;; amdgpu-corpus repo=ggml-org/llama.cpp kind=compiled arch=gfx950 opt=O3
	.amdgcn_target "amdgcn-amd-amdhsa--gfx950"
	.amdhsa_code_object_version 6
	.section	.text._ZL15flash_attn_tileILi128ELi128ELi8ELi8ELb0EEvPKcS1_S1_S1_S1_PKiPfP15HIP_vector_typeIfLj2EEffffjfiS5_IjLj3EEiiiiiiiiiiiliiliiiiil,"axG",@progbits,_ZL15flash_attn_tileILi128ELi128ELi8ELi8ELb0EEvPKcS1_S1_S1_S1_PKiPfP15HIP_vector_typeIfLj2EEffffjfiS5_IjLj3EEiiiiiiiiiiiliiliiiiil,comdat
	.globl	_ZL15flash_attn_tileILi128ELi128ELi8ELi8ELb0EEvPKcS1_S1_S1_S1_PKiPfP15HIP_vector_typeIfLj2EEffffjfiS5_IjLj3EEiiiiiiiiiiiliiliiiiil ; -- Begin function _ZL15flash_attn_tileILi128ELi128ELi8ELi8ELb0EEvPKcS1_S1_S1_S1_PKiPfP15HIP_vector_typeIfLj2EEffffjfiS5_IjLj3EEiiiiiiiiiiiliiliiiiil
	.p2align	8
	.type	_ZL15flash_attn_tileILi128ELi128ELi8ELi8ELb0EEvPKcS1_S1_S1_S1_PKiPfP15HIP_vector_typeIfLj2EEffffjfiS5_IjLj3EEiiiiiiiiiiiliiliiiiil,@function
_ZL15flash_attn_tileILi128ELi128ELi8ELi8ELb0EEvPKcS1_S1_S1_S1_PKiPfP15HIP_vector_typeIfLj2EEffffjfiS5_IjLj3EEiiiiiiiiiiiliiliiiiil: ; @_ZL15flash_attn_tileILi128ELi128ELi8ELi8ELb0EEvPKcS1_S1_S1_S1_PKiPfP15HIP_vector_typeIfLj2EEffffjfiS5_IjLj3EEiiiiiiiiiiiliiliiiiil
; %bb.0:
	s_load_dwordx4 s[76:79], s[0:1], 0x5c
	s_load_dwordx2 s[82:83], s[0:1], 0x80
	s_load_dwordx16 s[60:75], s[0:1], 0x0
	s_mov_b64 s[84:85], 0
	s_waitcnt lgkmcnt(0)
	s_ashr_i32 s5, s79, 31
	s_lshr_b32 s5, s5, 29
	s_add_i32 s5, s79, s5
	s_ashr_i32 s5, s5, 3
	v_cvt_f32_u32_e32 v1, s5
	s_sub_i32 s6, 0, s5
	v_rcp_iflag_f32_e32 v1, v1
	s_nop 0
	v_mul_f32_e32 v1, 0x4f7ffffe, v1
	v_cvt_u32_f32_e32 v1, v1
	s_nop 0
	v_readfirstlane_b32 s7, v1
	s_mul_i32 s6, s6, s7
	s_mul_hi_u32 s6, s7, s6
	s_add_i32 s7, s7, s6
	s_mul_hi_u32 s6, s4, s7
	s_mul_i32 s7, s6, s5
	s_sub_i32 s7, s4, s7
	s_add_i32 s8, s6, 1
	s_sub_i32 s9, s7, s5
	s_cmp_ge_u32 s7, s5
	s_cselect_b32 s6, s8, s6
	s_cselect_b32 s7, s9, s7
	s_add_i32 s8, s6, 1
	s_cmp_ge_u32 s7, s5
	s_cselect_b32 s33, s8, s6
	s_abs_i32 s5, s83
	v_cvt_f32_u32_e32 v1, s5
	s_lshl_b32 s4, s4, 3
	s_mul_i32 s8, s33, s79
	s_sub_i32 s9, 0, s5
	v_rcp_iflag_f32_e32 v1, v1
	s_sub_i32 s80, s4, s8
	s_abs_i32 s7, s79
	s_xor_b32 s6, s79, s83
	v_mul_f32_e32 v1, 0x4f7ffffe, v1
	v_cvt_u32_f32_e32 v1, v1
	s_ashr_i32 s6, s6, 31
	v_readfirstlane_b32 s4, v1
	s_mul_i32 s9, s9, s4
	s_mul_hi_u32 s8, s4, s9
	s_add_i32 s4, s4, s8
	s_mul_hi_u32 s4, s7, s4
	s_mul_i32 s8, s4, s5
	s_sub_i32 s7, s7, s8
	s_add_i32 s9, s4, 1
	s_sub_i32 s8, s7, s5
	s_cmp_ge_u32 s7, s5
	s_cselect_b32 s4, s9, s4
	s_cselect_b32 s7, s8, s7
	s_add_i32 s8, s4, 1
	s_cmp_ge_u32 s7, s5
	s_cselect_b32 s4, s8, s4
	s_xor_b32 s4, s4, s6
	s_sub_i32 s11, s4, s6
	s_abs_i32 s10, s11
	v_cvt_f32_u32_e32 v1, s10
	s_load_dwordx2 s[8:9], s[0:1], 0xb8
	s_cmp_eq_u64 s[66:67], 0
	v_rcp_iflag_f32_e32 v1, v1
	s_nop 0
	v_mul_f32_e32 v1, 0x4f7ffffe, v1
	v_cvt_u32_f32_e32 v1, v1
	s_nop 0
	v_readfirstlane_b32 s12, v1
	s_cbranch_scc1 .LBB0_2
; %bb.1:
	s_waitcnt lgkmcnt(0)
	s_abs_i32 s6, s8
	v_cvt_f32_u32_e32 v1, s6
	s_sub_i32 s13, 0, s6
	s_abs_i32 s8, s33
	s_ashr_i32 s7, s33, 31
	v_rcp_iflag_f32_e32 v1, v1
	s_load_dwordx2 s[4:5], s[0:1], 0xc8
	v_mul_f32_e32 v1, 0x4f7ffffe, v1
	v_cvt_u32_f32_e32 v1, v1
	s_nop 0
	v_readfirstlane_b32 s14, v1
	s_mul_i32 s13, s13, s14
	s_mul_hi_u32 s13, s14, s13
	s_add_i32 s14, s14, s13
	s_mul_hi_u32 s13, s8, s14
	s_mul_i32 s13, s13, s6
	s_sub_i32 s8, s8, s13
	s_sub_i32 s13, s8, s6
	s_cmp_ge_u32 s8, s6
	s_cselect_b32 s8, s13, s8
	s_sub_i32 s13, s8, s6
	s_cmp_ge_u32 s8, s6
	s_cselect_b32 s6, s13, s8
	s_xor_b32 s6, s6, s7
	s_sub_i32 s6, s6, s7
	s_ashr_i32 s7, s6, 31
	s_waitcnt lgkmcnt(0)
	s_mul_hi_u32 s8, s4, s6
	s_mul_i32 s7, s4, s7
	s_mul_i32 s5, s5, s6
	s_add_i32 s7, s8, s7
	s_add_i32 s7, s7, s5
	s_mul_i32 s4, s4, s6
	s_add_u32 s84, s66, s4
	s_addc_u32 s85, s67, s7
.LBB0_2:
	s_load_dwordx4 s[4:7], s[0:1], 0x70
	v_bfe_u32 v1, v0, 10, 10
	v_lshl_add_u32 v48, s2, 3, v1
	v_mul_hi_u32 v2, s76, v48
	v_add_u32_e32 v2, v48, v2
	s_waitcnt lgkmcnt(0)
	s_mul_i32 s6, s33, s6
	s_ashr_i32 s8, s6, 31
	s_mul_i32 s7, s80, s5
	s_add_u32 s6, s60, s6
	s_addc_u32 s8, s61, s8
	s_ashr_i32 s13, s7, 31
	s_add_u32 s6, s6, s7
	v_lshrrev_b32_e32 v2, s77, v2
	s_addc_u32 s7, s8, s13
	v_mul_lo_u32 v2, v2, s78
	s_ashr_i32 s15, s4, 31
	s_mov_b32 s14, s4
	v_sub_u32_e32 v4, v48, v2
	s_lshr_b64 s[16:17], s[14:15], 2
	v_mad_u64_u32 v[2:3], s[16:17], s16, v4, 0
	v_mov_b32_e32 v6, v3
	s_lshr_b32 s4, s15, 2
	v_mad_u64_u32 v[6:7], s[14:15], s4, v4, v[6:7]
	v_mov_b32_e32 v3, v6
	v_and_b32_e32 v28, 0x3ff, v0
	v_lshl_add_u64 v[6:7], v[2:3], 2, s[6:7]
	v_lshlrev_b32_e32 v2, 4, v28
	v_mov_b32_e32 v3, 0
	s_ashr_i32 s15, s5, 31
	s_mov_b32 s14, s5
	v_lshl_add_u64 v[26:27], v[6:7], 0, v[2:3]
	s_lshr_b64 s[6:7], s[14:15], 2
	s_and_b32 s14, s5, -4
	global_load_dwordx4 v[6:9], v[26:27], off
	v_lshl_add_u64 v[10:11], v[26:27], 0, s[14:15]
	global_load_dwordx4 v[10:13], v[10:11], off
	v_mad_u64_u32 v[18:19], s[4:5], s6, 12, v[26:27]
	v_lshl_add_u64 v[14:15], s[6:7], 3, v[26:27]
	s_lshr_b32 s7, s15, 2
	v_mov_b32_e32 v0, v19
	global_load_dwordx4 v[14:17], v[14:15], off
	v_mad_u64_u32 v[20:21], s[4:5], s7, 12, v[0:1]
	v_mov_b32_e32 v19, v20
	global_load_dwordx4 v[18:21], v[18:19], off
	s_andn2_b32 s15, s15, -2.0
	v_lshl_add_u64 v[22:23], s[14:15], 2, v[26:27]
	global_load_dwordx4 v[22:25], v[22:23], off
	v_mad_u64_u32 v[30:31], s[4:5], s6, 20, v[26:27]
	v_mov_b32_e32 v0, v31
	v_mad_u64_u32 v[32:33], s[4:5], s7, 20, v[0:1]
	v_mov_b32_e32 v31, v32
	global_load_dwordx4 v[30:33], v[30:31], off
	v_mad_u64_u32 v[34:35], s[4:5], s6, 24, v[26:27]
	v_mov_b32_e32 v0, v35
	v_mad_u64_u32 v[36:37], s[4:5], s7, 24, v[0:1]
	v_mov_b32_e32 v35, v36
	;; [unrolled: 5-line block ×3, first 2 shown]
	global_load_dwordx4 v[38:41], v[26:27], off
	s_load_dword s8, s[0:1], 0x40
	v_lshlrev_b32_e32 v49, 11, v1
	v_lshlrev_b32_e32 v0, 3, v28
	v_add_u32_e32 v3, v49, v0
	s_cmp_eq_u64 s[70:71], 0
	s_waitcnt vmcnt(7) lgkmcnt(0)
	v_fma_mixlo_f16 v5, s8, v6, 0
	v_fma_mixlo_f16 v6, s8, v7, 0
	;; [unrolled: 1-line block ×4, first 2 shown]
	v_lshlrev_b32_e32 v6, 16, v6
	v_and_b32_e32 v5, 0xffff, v5
	v_lshlrev_b32_e32 v8, 16, v8
	v_and_b32_e32 v7, 0xffff, v7
	s_waitcnt vmcnt(6)
	v_fma_mixlo_f16 v9, s8, v10, 0
	v_fma_mixlo_f16 v10, s8, v11, 0
	;; [unrolled: 1-line block ×4, first 2 shown]
	v_or_b32_e32 v5, v6, v5
	v_or3_b32 v7, v8, v7, 0
	v_lshlrev_b32_e32 v8, 16, v10
	v_and_b32_e32 v9, 0xffff, v9
	v_lshlrev_b32_e32 v10, 16, v12
	v_and_b32_e32 v11, 0xffff, v11
	v_or3_b32 v6, 0, 0, v5
	v_or_b32_e32 v5, v8, v9
	v_or3_b32 v9, v10, v11, 0
	v_or3_b32 v8, 0, 0, v5
	ds_write2_b64 v3, v[6:7], v[8:9] offset1:32
	s_waitcnt vmcnt(5)
	v_fma_mixlo_f16 v5, s8, v16, 0
	v_fma_mixlo_f16 v6, s8, v17, 0
	v_lshlrev_b32_e32 v6, 16, v6
	v_and_b32_e32 v5, 0xffff, v5
	v_or3_b32 v7, v6, v5, 0
	s_waitcnt vmcnt(4)
	v_fma_mixlo_f16 v5, s8, v18, 0
	v_fma_mixlo_f16 v8, s8, v19, 0
	;; [unrolled: 1-line block ×4, first 2 shown]
	v_lshlrev_b32_e32 v8, 16, v8
	v_and_b32_e32 v5, 0xffff, v5
	v_lshlrev_b32_e32 v12, 16, v14
	v_and_b32_e32 v13, 0xffff, v13
	v_or_b32_e32 v5, v8, v5
	v_fma_mixlo_f16 v8, s8, v20, 0
	v_fma_mixlo_f16 v9, s8, v21, 0
	v_or_b32_e32 v10, v12, v13
	v_lshlrev_b32_e32 v9, 16, v9
	v_and_b32_e32 v8, 0xffff, v8
	v_or3_b32 v6, 0, 0, v10
	v_or3_b32 v9, v9, v8, 0
	;; [unrolled: 1-line block ×3, first 2 shown]
	ds_write2_b64 v3, v[6:7], v[8:9] offset0:64 offset1:96
	s_waitcnt vmcnt(3)
	v_fma_mixlo_f16 v5, s8, v22, 0
	v_fma_mixlo_f16 v6, s8, v23, 0
	v_lshlrev_b32_e32 v6, 16, v6
	v_and_b32_e32 v5, 0xffff, v5
	v_or_b32_e32 v5, v6, v5
	v_fma_mixlo_f16 v6, s8, v24, 0
	v_fma_mixlo_f16 v7, s8, v25, 0
	v_lshlrev_b32_e32 v7, 16, v7
	v_and_b32_e32 v6, 0xffff, v6
	v_or3_b32 v7, v7, v6, 0
	v_or3_b32 v6, 0, 0, v5
	s_waitcnt vmcnt(2)
	v_fma_mixlo_f16 v5, s8, v30, 0
	v_fma_mixlo_f16 v8, s8, v31, 0
	v_lshlrev_b32_e32 v8, 16, v8
	v_and_b32_e32 v5, 0xffff, v5
	v_or_b32_e32 v5, v8, v5
	v_fma_mixlo_f16 v8, s8, v32, 0
	v_fma_mixlo_f16 v9, s8, v33, 0
	v_lshlrev_b32_e32 v9, 16, v9
	v_and_b32_e32 v8, 0xffff, v8
	v_or3_b32 v9, v9, v8, 0
	v_or3_b32 v8, 0, 0, v5
	ds_write2_b64 v3, v[6:7], v[8:9] offset0:128 offset1:160
	s_waitcnt vmcnt(1)
	v_fma_mixlo_f16 v5, s8, v34, 0
	v_fma_mixlo_f16 v6, s8, v35, 0
	v_lshlrev_b32_e32 v6, 16, v6
	v_and_b32_e32 v5, 0xffff, v5
	v_or_b32_e32 v5, v6, v5
	v_fma_mixlo_f16 v6, s8, v36, 0
	v_fma_mixlo_f16 v7, s8, v37, 0
	v_lshlrev_b32_e32 v7, 16, v7
	v_and_b32_e32 v6, 0xffff, v6
	v_or3_b32 v7, v7, v6, 0
	v_or3_b32 v6, 0, 0, v5
	s_waitcnt vmcnt(0)
	v_fma_mixlo_f16 v5, s8, v38, 0
	v_fma_mixlo_f16 v8, s8, v39, 0
	v_lshlrev_b32_e32 v8, 16, v8
	v_and_b32_e32 v5, 0xffff, v5
	v_or_b32_e32 v5, v8, v5
	v_fma_mixlo_f16 v8, s8, v40, 0
	v_fma_mixlo_f16 v9, s8, v41, 0
	v_lshlrev_b32_e32 v9, 16, v9
	v_and_b32_e32 v8, 0xffff, v8
	v_or3_b32 v9, v9, v8, 0
	v_or3_b32 v8, 0, 0, v5
	ds_write2_b64 v3, v[6:7], v[8:9] offset0:192 offset1:224
	s_waitcnt lgkmcnt(0)
	s_barrier
	s_cbranch_scc1 .LBB0_4
; %bb.3:
	s_load_dword s4, s[0:1], 0xd0
	s_mov_b32 s5, 0
	s_waitcnt lgkmcnt(0)
	s_mul_i32 s4, s4, s33
	s_add_i32 s4, s4, s2
	s_lshl_b64 s[4:5], s[4:5], 2
	s_add_u32 s4, s70, s4
	s_addc_u32 s5, s71, s5
	s_load_dword s82, s[4:5], 0x0
.LBB0_4:
	s_lshl_b32 s2, s3, 6
	s_waitcnt lgkmcnt(0)
	s_cmp_lt_i32 s2, s82
	v_mbcnt_lo_u32_b32 v3, -1, 0
	s_cbranch_scc1 .LBB0_7
; %bb.5:
	v_mbcnt_hi_u32_b32 v41, -1, v3
	v_and_b32_e32 v5, 0x60, v41
	v_add_u32_e32 v44, 32, v5
	v_xor_b32_e32 v53, 16, v41
	v_xor_b32_e32 v54, 8, v41
	;; [unrolled: 1-line block ×5, first 2 shown]
	v_lshlrev_b32_e32 v29, 2, v28
	s_cbranch_execz .LBB0_8
; %bb.6:
	v_mov_b32_e32 v31, 0
	v_mov_b32_e32 v76, 0
	;; [unrolled: 1-line block ×32, first 2 shown]
	s_branch .LBB0_10
.LBB0_7:
                                        ; implicit-def: $vgpr41
                                        ; implicit-def: $vgpr44
                                        ; implicit-def: $vgpr53
                                        ; implicit-def: $vgpr54
                                        ; implicit-def: $vgpr52
                                        ; implicit-def: $vgpr51
                                        ; implicit-def: $vgpr50
	v_lshlrev_b32_e32 v29, 2, v28
.LBB0_8:
	s_sub_i32 s4, 0, s10
	s_mul_i32 s4, s4, s12
	s_mul_hi_u32 s4, s12, s4
	s_add_i32 s14, s12, s4
	s_load_dwordx2 s[12:13], s[0:1], 0x8c
	s_load_dwordx4 s[4:7], s[0:1], 0x98
	s_abs_i32 s8, s80
	s_ashr_i32 s17, s80, 31
	s_ashr_i32 s11, s11, 31
	s_waitcnt lgkmcnt(0)
	s_ashr_i32 s77, s12, 2
	s_ashr_i32 s76, s6, 2
	;; [unrolled: 1-line block ×3, first 2 shown]
	s_mul_hi_u32 s12, s4, s33
	s_mul_i32 s18, s4, s6
	s_add_i32 s12, s12, s18
	s_mul_i32 s5, s5, s33
	s_ashr_i32 s9, s9, 1
	s_add_i32 s12, s12, s5
	s_mul_i32 s4, s4, s33
	s_mul_hi_u32 s16, s8, s14
	s_add_u32 s4, s62, s4
	s_addc_u32 s5, s63, s12
	s_mul_i32 s12, s16, s10
	s_sub_i32 s8, s8, s12
	s_xor_b32 s11, s17, s11
	s_add_i32 s12, s16, 1
	s_sub_i32 s17, s8, s10
	s_cmp_ge_u32 s8, s10
	s_cselect_b32 s12, s12, s16
	s_cselect_b32 s8, s17, s8
	s_add_i32 s16, s12, 1
	s_cmp_ge_u32 s8, s10
	s_load_dwordx2 s[14:15], s[0:1], 0xa8
	s_cselect_b32 s8, s16, s12
	s_xor_b32 s8, s8, s11
	s_sub_i32 s8, s8, s11
	s_mul_i32 s10, s8, s13
	s_ashr_i32 s11, s10, 31
	s_add_u32 s4, s4, s10
	s_waitcnt lgkmcnt(0)
	s_mul_hi_u32 s10, s14, s33
	s_mul_i32 s6, s14, s6
	s_addc_u32 s5, s5, s11
	s_add_i32 s6, s10, s6
	s_mul_i32 s10, s15, s33
	s_add_i32 s6, s6, s10
	s_mul_i32 s10, s14, s33
	s_add_u32 s10, s64, s10
	s_mul_i32 s8, s8, s7
	v_lshrrev_b32_e32 v5, 2, v28
	s_addc_u32 s11, s65, s6
	s_ashr_i32 s7, s8, 31
	v_lshl_add_u32 v5, v1, 3, v5
	v_and_b32_e32 v6, 12, v29
	s_add_u32 s6, s10, s8
	v_mul_u32_u24_e32 v7, 0x50, v5
	v_lshlrev_b32_e32 v44, 2, v6
	s_movk_i32 s10, 0x6000
	v_mul_lo_u32 v6, s77, v5
	v_add3_u32 v55, v7, v44, s10
	v_ashrrev_i32_e32 v7, 31, v6
	v_lshl_add_u64 v[6:7], v[6:7], 2, s[4:5]
	v_mad_u64_u32 v[40:41], s[4:5], v4, s9, v[28:29]
	v_mov_b32_e32 v4, 0x4000
	v_lshl_add_u32 v57, v1, 10, v4
	v_lshrrev_b32_e32 v4, 4, v28
	v_mov_b32_e32 v45, 0
	v_lshl_add_u32 v1, v1, 1, v4
	v_and_b32_e32 v4, 60, v29
	v_lshl_add_u64 v[38:39], v[6:7], 0, v[44:45]
	v_lshlrev_b32_e32 v44, 2, v4
	v_lshl_or_b32 v4, v1, 8, v44
	s_movk_i32 s8, 0x50
	v_mov_b32_e32 v5, 0x6000
	v_add_u32_e32 v58, 0x6000, v4
	v_mul_lo_u32 v4, s76, v1
	s_addc_u32 s7, s11, s7
	v_mad_u32_u24 v56, v28, s8, v5
	v_ashrrev_i32_e32 v5, 31, v4
	v_mbcnt_hi_u32_b32 v41, -1, v3
	v_lshl_add_u64 v[4:5], v[4:5], 2, s[6:7]
	v_or_b32_e32 v59, 0x6000, v0
	s_add_u32 s70, s0, 0xd0
	v_and_b32_e32 v1, 0x60, v41
	v_lshl_add_u64 v[42:43], v[4:5], 0, v[44:45]
	s_addc_u32 s71, s1, 0
	v_mov_b32_e32 v0, 0xfeffffff
	v_add_u32_e32 v44, 32, v1
	v_xor_b32_e32 v53, 16, v41
	v_xor_b32_e32 v54, 8, v41
	;; [unrolled: 1-line block ×5, first 2 shown]
	s_mov_b32 s81, 0x3fb8aa3b
	s_mov_b32 s83, 0xc2ce8ed0
	;; [unrolled: 1-line block ×3, first 2 shown]
	v_mov_b32_e32 v60, 0x7f800000
	s_mov_b32 s87, 0x10001
	v_add_u32_e32 v61, v57, v2
	v_add_u32_e32 v62, 0x800, v59
	v_mov_b32_e32 v63, v45
	v_mov_b32_e32 v65, v45
	;; [unrolled: 1-line block ×30, first 2 shown]
.LBB0_9:                                ; =>This Inner Loop Header: Depth=1
	s_mul_hi_i32 s5, s2, s77
	s_mul_i32 s4, s2, s77
	v_lshl_add_u64 v[46:47], s[4:5], 2, v[38:39]
	global_load_dwordx4 v[8:11], v[46:47], off
	v_mov_b32_e32 v78, 0
	v_mov_b32_e32 v79, 0
	v_mov_b32_e32 v80, 0
	v_mov_b32_e32 v81, 0
	v_mov_b32_e32 v82, 0
	v_mov_b32_e32 v83, 0
	v_mov_b32_e32 v84, 0
	v_mov_b32_e32 v85, 0
	v_cmp_lt_i32_e32 vcc, v53, v44
	v_cmp_lt_i32_e64 s[4:5], v54, v44
	v_cmp_lt_i32_e64 s[6:7], v52, v44
	;; [unrolled: 1-line block ×4, first 2 shown]
	s_mul_hi_i32 s89, s2, s76
	s_mul_i32 s88, s2, s76
	s_waitcnt vmcnt(0)
	ds_write_b128 v55, v[8:11]
	s_waitcnt lgkmcnt(0)
	s_barrier
	ds_read_b128 v[86:89], v56
	ds_read_b128 v[8:11], v56 offset:2560
	ds_read_b128 v[90:93], v49
	ds_read_b128 v[94:97], v49 offset:256
	ds_read_b128 v[98:101], v49 offset:512
	;; [unrolled: 1-line block ×7, first 2 shown]
	s_waitcnt lgkmcnt(7)
	;;#ASMSTART
	v_dot2_f32_f16 v78, v86, v90, v78
	;;#ASMEND
	s_nop 0
	;;#ASMSTART
	v_dot2_f32_f16 v78, v87, v91, v78
	;;#ASMEND
	s_nop 0
	;;#ASMSTART
	v_dot2_f32_f16 v78, v88, v92, v78
	;;#ASMEND
	s_nop 0
	;;#ASMSTART
	v_dot2_f32_f16 v78, v89, v93, v78
	;;#ASMEND
	s_waitcnt lgkmcnt(6)
	;;#ASMSTART
	v_dot2_f32_f16 v79, v86, v94, v79
	;;#ASMEND
	s_nop 0
	;;#ASMSTART
	v_dot2_f32_f16 v79, v87, v95, v79
	;;#ASMEND
	s_nop 0
	;;#ASMSTART
	v_dot2_f32_f16 v79, v88, v96, v79
	;;#ASMEND
	s_nop 0
	;;#ASMSTART
	v_dot2_f32_f16 v79, v89, v97, v79
	;;#ASMEND
	;; [unrolled: 16-line block ×7, first 2 shown]
	s_waitcnt lgkmcnt(0)
	;;#ASMSTART
	v_dot2_f32_f16 v85, v86, v12, v85
	;;#ASMEND
	v_mov_b32_e32 v86, 0
	;;#ASMSTART
	v_dot2_f32_f16 v85, v87, v13, v85
	;;#ASMEND
	v_mov_b32_e32 v87, 0
	;; [unrolled: 4-line block ×3, first 2 shown]
	;;#ASMSTART
	v_dot2_f32_f16 v85, v89, v15, v85
	;;#ASMEND
	;;#ASMSTART
	v_dot2_f32_f16 v86, v8, v90, v86
	;;#ASMEND
	v_mov_b32_e32 v89, 0
	;;#ASMSTART
	v_dot2_f32_f16 v86, v9, v91, v86
	;;#ASMEND
	v_mov_b32_e32 v90, 0
	;; [unrolled: 4-line block ×3, first 2 shown]
	;;#ASMSTART
	v_dot2_f32_f16 v86, v11, v93, v86
	;;#ASMEND
	;;#ASMSTART
	v_dot2_f32_f16 v87, v8, v94, v87
	;;#ASMEND
	v_cndmask_b32_e64 v3, v41, v54, s[4:5]
	;;#ASMSTART
	v_dot2_f32_f16 v87, v9, v95, v87
	;;#ASMEND
	s_nop 0
	;;#ASMSTART
	v_dot2_f32_f16 v87, v10, v96, v87
	;;#ASMEND
	s_nop 0
	;;#ASMSTART
	v_dot2_f32_f16 v87, v11, v97, v87
	;;#ASMEND
	;;#ASMSTART
	v_dot2_f32_f16 v88, v8, v98, v88
	;;#ASMEND
	s_nop 0
	;;#ASMSTART
	v_dot2_f32_f16 v88, v9, v99, v88
	;;#ASMEND
	s_nop 0
	;;#ASMSTART
	v_dot2_f32_f16 v88, v10, v100, v88
	;;#ASMEND
	s_nop 0
	;;#ASMSTART
	v_dot2_f32_f16 v88, v11, v101, v88
	;;#ASMEND
	;;#ASMSTART
	v_dot2_f32_f16 v89, v8, v102, v89
	;;#ASMEND
	s_nop 0
	;;#ASMSTART
	v_dot2_f32_f16 v89, v9, v103, v89
	;;#ASMEND
	s_nop 0
	;; [unrolled: 4-line block ×3, first 2 shown]
	;;#ASMSTART
	v_dot2_f32_f16 v89, v11, v105, v89
	;;#ASMEND
	;;#ASMSTART
	v_dot2_f32_f16 v90, v8, v24, v90
	;;#ASMEND
	v_mov_b32_e32 v24, 0
	;;#ASMSTART
	v_dot2_f32_f16 v90, v9, v25, v90
	;;#ASMEND
	s_nop 0
	;;#ASMSTART
	v_dot2_f32_f16 v90, v10, v26, v90
	;;#ASMEND
	s_nop 0
	;;#ASMSTART
	v_dot2_f32_f16 v90, v11, v27, v90
	;;#ASMEND
	;;#ASMSTART
	v_dot2_f32_f16 v24, v8, v20, v24
	;;#ASMEND
	v_mov_b32_e32 v20, 0
	;;#ASMSTART
	v_dot2_f32_f16 v24, v9, v21, v24
	;;#ASMEND
	v_mov_b32_e32 v21, 0
	;;#ASMSTART
	v_dot2_f32_f16 v24, v10, v22, v24
	;;#ASMEND
	s_nop 0
	;;#ASMSTART
	v_dot2_f32_f16 v24, v11, v23, v24
	;;#ASMEND
	;;#ASMSTART
	v_dot2_f32_f16 v20, v8, v16, v20
	;;#ASMEND
	s_nop 0
	;;#ASMSTART
	v_dot2_f32_f16 v20, v9, v17, v20
	;;#ASMEND
	s_nop 0
	;; [unrolled: 4-line block ×3, first 2 shown]
	;;#ASMSTART
	v_dot2_f32_f16 v20, v11, v19, v20
	;;#ASMEND
	;;#ASMSTART
	v_dot2_f32_f16 v21, v8, v12, v21
	;;#ASMEND
	s_nop 0
	;;#ASMSTART
	v_dot2_f32_f16 v21, v9, v13, v21
	;;#ASMEND
	s_nop 0
	;; [unrolled: 4-line block ×3, first 2 shown]
	;;#ASMSTART
	v_dot2_f32_f16 v21, v11, v15, v21
	;;#ASMEND
	ds_read_b128 v[8:11], v56 offset:16
	ds_read_b128 v[12:15], v56 offset:2576
	ds_read_b128 v[16:19], v49 offset:16
	ds_read_b128 v[92:95], v49 offset:272
	ds_read_b128 v[96:99], v49 offset:528
	ds_read_b128 v[100:103], v49 offset:784
	ds_read_b128 v[104:107], v49 offset:1040
	ds_read_b128 v[108:111], v49 offset:1296
	ds_read_b128 v[112:115], v49 offset:1552
	ds_read_b128 v[116:119], v49 offset:1808
	s_waitcnt lgkmcnt(7)
	;;#ASMSTART
	v_dot2_f32_f16 v78, v8, v16, v78
	;;#ASMEND
	s_nop 0
	;;#ASMSTART
	v_dot2_f32_f16 v78, v9, v17, v78
	;;#ASMEND
	s_nop 0
	;;#ASMSTART
	v_dot2_f32_f16 v78, v10, v18, v78
	;;#ASMEND
	s_nop 0
	;;#ASMSTART
	v_dot2_f32_f16 v78, v11, v19, v78
	;;#ASMEND
	s_waitcnt lgkmcnt(6)
	;;#ASMSTART
	v_dot2_f32_f16 v79, v8, v92, v79
	;;#ASMEND
	s_nop 0
	;;#ASMSTART
	v_dot2_f32_f16 v79, v9, v93, v79
	;;#ASMEND
	s_nop 0
	;;#ASMSTART
	v_dot2_f32_f16 v79, v10, v94, v79
	;;#ASMEND
	s_nop 0
	;;#ASMSTART
	v_dot2_f32_f16 v79, v11, v95, v79
	;;#ASMEND
	;; [unrolled: 16-line block ×8, first 2 shown]
	;;#ASMSTART
	v_dot2_f32_f16 v86, v12, v16, v86
	;;#ASMEND
	s_nop 0
	;;#ASMSTART
	v_dot2_f32_f16 v86, v13, v17, v86
	;;#ASMEND
	s_nop 0
	;;#ASMSTART
	v_dot2_f32_f16 v86, v14, v18, v86
	;;#ASMEND
	s_nop 0
	;;#ASMSTART
	v_dot2_f32_f16 v86, v15, v19, v86
	;;#ASMEND
	;;#ASMSTART
	v_dot2_f32_f16 v87, v12, v92, v87
	;;#ASMEND
	s_nop 0
	;;#ASMSTART
	v_dot2_f32_f16 v87, v13, v93, v87
	;;#ASMEND
	s_nop 0
	;;#ASMSTART
	v_dot2_f32_f16 v87, v14, v94, v87
	;;#ASMEND
	s_nop 0
	;;#ASMSTART
	v_dot2_f32_f16 v87, v15, v95, v87
	;;#ASMEND
	;; [unrolled: 15-line block ×8, first 2 shown]
	ds_read_b128 v[8:11], v56 offset:32
	ds_read_b128 v[12:15], v56 offset:2592
	;; [unrolled: 1-line block ×10, first 2 shown]
	s_waitcnt lgkmcnt(7)
	;;#ASMSTART
	v_dot2_f32_f16 v78, v8, v16, v78
	;;#ASMEND
	s_nop 0
	;;#ASMSTART
	v_dot2_f32_f16 v78, v9, v17, v78
	;;#ASMEND
	s_nop 0
	;;#ASMSTART
	v_dot2_f32_f16 v78, v10, v18, v78
	;;#ASMEND
	s_nop 0
	;;#ASMSTART
	v_dot2_f32_f16 v78, v11, v19, v78
	;;#ASMEND
	s_waitcnt lgkmcnt(6)
	;;#ASMSTART
	v_dot2_f32_f16 v79, v8, v92, v79
	;;#ASMEND
	s_nop 0
	;;#ASMSTART
	v_dot2_f32_f16 v79, v9, v93, v79
	;;#ASMEND
	s_nop 0
	;;#ASMSTART
	v_dot2_f32_f16 v79, v10, v94, v79
	;;#ASMEND
	s_nop 0
	;;#ASMSTART
	v_dot2_f32_f16 v79, v11, v95, v79
	;;#ASMEND
	;; [unrolled: 16-line block ×8, first 2 shown]
	;;#ASMSTART
	v_dot2_f32_f16 v86, v12, v16, v86
	;;#ASMEND
	s_nop 0
	;;#ASMSTART
	v_dot2_f32_f16 v86, v13, v17, v86
	;;#ASMEND
	s_nop 0
	;;#ASMSTART
	v_dot2_f32_f16 v86, v14, v18, v86
	;;#ASMEND
	s_nop 0
	;;#ASMSTART
	v_dot2_f32_f16 v86, v15, v19, v86
	;;#ASMEND
	;;#ASMSTART
	v_dot2_f32_f16 v87, v12, v92, v87
	;;#ASMEND
	s_nop 0
	;;#ASMSTART
	v_dot2_f32_f16 v87, v13, v93, v87
	;;#ASMEND
	s_nop 0
	;;#ASMSTART
	v_dot2_f32_f16 v87, v14, v94, v87
	;;#ASMEND
	s_nop 0
	;;#ASMSTART
	v_dot2_f32_f16 v87, v15, v95, v87
	;;#ASMEND
	;; [unrolled: 15-line block ×8, first 2 shown]
	ds_read_b128 v[8:11], v56 offset:48
	ds_read_b128 v[12:15], v56 offset:2608
	;; [unrolled: 1-line block ×10, first 2 shown]
	s_waitcnt lgkmcnt(7)
	;;#ASMSTART
	v_dot2_f32_f16 v78, v8, v16, v78
	;;#ASMEND
	s_nop 0
	;;#ASMSTART
	v_dot2_f32_f16 v78, v9, v17, v78
	;;#ASMEND
	s_nop 0
	;;#ASMSTART
	v_dot2_f32_f16 v78, v10, v18, v78
	;;#ASMEND
	s_nop 0
	;;#ASMSTART
	v_dot2_f32_f16 v78, v11, v19, v78
	;;#ASMEND
	s_waitcnt lgkmcnt(6)
	;;#ASMSTART
	v_dot2_f32_f16 v79, v8, v92, v79
	;;#ASMEND
	s_nop 0
	;;#ASMSTART
	v_dot2_f32_f16 v79, v9, v93, v79
	;;#ASMEND
	s_nop 0
	;;#ASMSTART
	v_dot2_f32_f16 v79, v10, v94, v79
	;;#ASMEND
	s_nop 0
	;;#ASMSTART
	v_dot2_f32_f16 v79, v11, v95, v79
	;;#ASMEND
	;; [unrolled: 16-line block ×8, first 2 shown]
	;;#ASMSTART
	v_dot2_f32_f16 v86, v12, v16, v86
	;;#ASMEND
	s_nop 0
	;;#ASMSTART
	v_dot2_f32_f16 v86, v13, v17, v86
	;;#ASMEND
	s_nop 0
	;;#ASMSTART
	v_dot2_f32_f16 v86, v14, v18, v86
	;;#ASMEND
	s_nop 0
	;;#ASMSTART
	v_dot2_f32_f16 v86, v15, v19, v86
	;;#ASMEND
	;;#ASMSTART
	v_dot2_f32_f16 v87, v12, v92, v87
	;;#ASMEND
	s_nop 0
	;;#ASMSTART
	v_dot2_f32_f16 v87, v13, v93, v87
	;;#ASMEND
	s_nop 0
	;;#ASMSTART
	v_dot2_f32_f16 v87, v14, v94, v87
	;;#ASMEND
	s_nop 0
	;;#ASMSTART
	v_dot2_f32_f16 v87, v15, v95, v87
	;;#ASMEND
	;;#ASMSTART
	v_dot2_f32_f16 v88, v12, v96, v88
	;;#ASMEND
	s_nop 0
	;;#ASMSTART
	v_dot2_f32_f16 v88, v13, v97, v88
	;;#ASMEND
	s_nop 0
	;;#ASMSTART
	v_dot2_f32_f16 v88, v14, v98, v88
	;;#ASMEND
	s_nop 0
	;;#ASMSTART
	v_dot2_f32_f16 v88, v15, v99, v88
	;;#ASMEND
	;;#ASMSTART
	v_dot2_f32_f16 v89, v12, v100, v89
	;;#ASMEND
	s_nop 0
	;;#ASMSTART
	v_dot2_f32_f16 v89, v13, v101, v89
	;;#ASMEND
	s_nop 0
	;;#ASMSTART
	v_dot2_f32_f16 v89, v14, v102, v89
	;;#ASMEND
	s_nop 0
	;;#ASMSTART
	v_dot2_f32_f16 v89, v15, v103, v89
	;;#ASMEND
	;;#ASMSTART
	v_dot2_f32_f16 v90, v12, v104, v90
	;;#ASMEND
	s_nop 0
	;;#ASMSTART
	v_dot2_f32_f16 v90, v13, v105, v90
	;;#ASMEND
	s_nop 0
	;;#ASMSTART
	v_dot2_f32_f16 v90, v14, v106, v90
	;;#ASMEND
	s_nop 0
	;;#ASMSTART
	v_dot2_f32_f16 v90, v15, v107, v90
	;;#ASMEND
	;;#ASMSTART
	v_dot2_f32_f16 v24, v12, v108, v24
	;;#ASMEND
	s_nop 0
	;;#ASMSTART
	v_dot2_f32_f16 v24, v13, v109, v24
	;;#ASMEND
	s_nop 0
	;;#ASMSTART
	v_dot2_f32_f16 v24, v14, v110, v24
	;;#ASMEND
	s_nop 0
	;;#ASMSTART
	v_dot2_f32_f16 v24, v15, v111, v24
	;;#ASMEND
	;;#ASMSTART
	v_dot2_f32_f16 v20, v12, v112, v20
	;;#ASMEND
	s_nop 0
	;;#ASMSTART
	v_dot2_f32_f16 v20, v13, v113, v20
	;;#ASMEND
	s_nop 0
	;;#ASMSTART
	v_dot2_f32_f16 v20, v14, v114, v20
	;;#ASMEND
	s_nop 0
	;;#ASMSTART
	v_dot2_f32_f16 v20, v15, v115, v20
	;;#ASMEND
	;;#ASMSTART
	v_dot2_f32_f16 v21, v12, v116, v21
	;;#ASMEND
	s_nop 0
	;;#ASMSTART
	v_dot2_f32_f16 v21, v13, v117, v21
	;;#ASMEND
	s_nop 0
	;;#ASMSTART
	v_dot2_f32_f16 v21, v14, v118, v21
	;;#ASMEND
	s_nop 0
	;;#ASMSTART
	v_dot2_f32_f16 v21, v15, v119, v21
	;;#ASMEND
	s_barrier
	global_load_dwordx4 v[8:11], v[46:47], off offset:64
	s_waitcnt vmcnt(0)
	ds_write_b128 v55, v[8:11]
	s_waitcnt lgkmcnt(0)
	s_barrier
	ds_read_b128 v[8:11], v56
	ds_read_b128 v[12:15], v56 offset:2560
	ds_read_b128 v[16:19], v49 offset:64
	;; [unrolled: 1-line block ×9, first 2 shown]
	s_waitcnt lgkmcnt(7)
	;;#ASMSTART
	v_dot2_f32_f16 v78, v8, v16, v78
	;;#ASMEND
	s_nop 0
	;;#ASMSTART
	v_dot2_f32_f16 v78, v9, v17, v78
	;;#ASMEND
	s_nop 0
	;;#ASMSTART
	v_dot2_f32_f16 v78, v10, v18, v78
	;;#ASMEND
	s_nop 0
	;;#ASMSTART
	v_dot2_f32_f16 v78, v11, v19, v78
	;;#ASMEND
	s_waitcnt lgkmcnt(6)
	;;#ASMSTART
	v_dot2_f32_f16 v79, v8, v92, v79
	;;#ASMEND
	s_nop 0
	;;#ASMSTART
	v_dot2_f32_f16 v79, v9, v93, v79
	;;#ASMEND
	s_nop 0
	;;#ASMSTART
	v_dot2_f32_f16 v79, v10, v94, v79
	;;#ASMEND
	s_nop 0
	;;#ASMSTART
	v_dot2_f32_f16 v79, v11, v95, v79
	;;#ASMEND
	;; [unrolled: 16-line block ×8, first 2 shown]
	;;#ASMSTART
	v_dot2_f32_f16 v86, v12, v16, v86
	;;#ASMEND
	s_nop 0
	;;#ASMSTART
	v_dot2_f32_f16 v86, v13, v17, v86
	;;#ASMEND
	s_nop 0
	;;#ASMSTART
	v_dot2_f32_f16 v86, v14, v18, v86
	;;#ASMEND
	s_nop 0
	;;#ASMSTART
	v_dot2_f32_f16 v86, v15, v19, v86
	;;#ASMEND
	;;#ASMSTART
	v_dot2_f32_f16 v87, v12, v92, v87
	;;#ASMEND
	s_nop 0
	;;#ASMSTART
	v_dot2_f32_f16 v87, v13, v93, v87
	;;#ASMEND
	s_nop 0
	;;#ASMSTART
	v_dot2_f32_f16 v87, v14, v94, v87
	;;#ASMEND
	s_nop 0
	;;#ASMSTART
	v_dot2_f32_f16 v87, v15, v95, v87
	;;#ASMEND
	;; [unrolled: 15-line block ×8, first 2 shown]
	ds_read_b128 v[8:11], v56 offset:16
	ds_read_b128 v[12:15], v56 offset:2576
	;; [unrolled: 1-line block ×10, first 2 shown]
	s_waitcnt lgkmcnt(7)
	;;#ASMSTART
	v_dot2_f32_f16 v78, v8, v16, v78
	;;#ASMEND
	s_nop 0
	;;#ASMSTART
	v_dot2_f32_f16 v78, v9, v17, v78
	;;#ASMEND
	s_nop 0
	;;#ASMSTART
	v_dot2_f32_f16 v78, v10, v18, v78
	;;#ASMEND
	s_nop 0
	;;#ASMSTART
	v_dot2_f32_f16 v78, v11, v19, v78
	;;#ASMEND
	s_waitcnt lgkmcnt(6)
	;;#ASMSTART
	v_dot2_f32_f16 v79, v8, v92, v79
	;;#ASMEND
	s_nop 0
	;;#ASMSTART
	v_dot2_f32_f16 v79, v9, v93, v79
	;;#ASMEND
	s_nop 0
	;;#ASMSTART
	v_dot2_f32_f16 v79, v10, v94, v79
	;;#ASMEND
	s_nop 0
	;;#ASMSTART
	v_dot2_f32_f16 v79, v11, v95, v79
	;;#ASMEND
	s_waitcnt lgkmcnt(5)
	;;#ASMSTART
	v_dot2_f32_f16 v80, v8, v96, v80
	;;#ASMEND
	s_nop 0
	;;#ASMSTART
	v_dot2_f32_f16 v80, v9, v97, v80
	;;#ASMEND
	s_nop 0
	;;#ASMSTART
	v_dot2_f32_f16 v80, v10, v98, v80
	;;#ASMEND
	s_nop 0
	;;#ASMSTART
	v_dot2_f32_f16 v80, v11, v99, v80
	;;#ASMEND
	s_waitcnt lgkmcnt(4)
	;;#ASMSTART
	v_dot2_f32_f16 v81, v8, v100, v81
	;;#ASMEND
	s_nop 0
	;;#ASMSTART
	v_dot2_f32_f16 v81, v9, v101, v81
	;;#ASMEND
	s_nop 0
	;;#ASMSTART
	v_dot2_f32_f16 v81, v10, v102, v81
	;;#ASMEND
	s_nop 0
	;;#ASMSTART
	v_dot2_f32_f16 v81, v11, v103, v81
	;;#ASMEND
	s_waitcnt lgkmcnt(3)
	;;#ASMSTART
	v_dot2_f32_f16 v82, v8, v104, v82
	;;#ASMEND
	s_nop 0
	;;#ASMSTART
	v_dot2_f32_f16 v82, v9, v105, v82
	;;#ASMEND
	s_nop 0
	;;#ASMSTART
	v_dot2_f32_f16 v82, v10, v106, v82
	;;#ASMEND
	s_nop 0
	;;#ASMSTART
	v_dot2_f32_f16 v82, v11, v107, v82
	;;#ASMEND
	s_waitcnt lgkmcnt(2)
	;;#ASMSTART
	v_dot2_f32_f16 v83, v8, v108, v83
	;;#ASMEND
	s_nop 0
	;;#ASMSTART
	v_dot2_f32_f16 v83, v9, v109, v83
	;;#ASMEND
	s_nop 0
	;;#ASMSTART
	v_dot2_f32_f16 v83, v10, v110, v83
	;;#ASMEND
	s_nop 0
	;;#ASMSTART
	v_dot2_f32_f16 v83, v11, v111, v83
	;;#ASMEND
	s_waitcnt lgkmcnt(1)
	;;#ASMSTART
	v_dot2_f32_f16 v84, v8, v112, v84
	;;#ASMEND
	s_nop 0
	;;#ASMSTART
	v_dot2_f32_f16 v84, v9, v113, v84
	;;#ASMEND
	s_nop 0
	;;#ASMSTART
	v_dot2_f32_f16 v84, v10, v114, v84
	;;#ASMEND
	s_nop 0
	;;#ASMSTART
	v_dot2_f32_f16 v84, v11, v115, v84
	;;#ASMEND
	s_waitcnt lgkmcnt(0)
	;;#ASMSTART
	v_dot2_f32_f16 v85, v8, v116, v85
	;;#ASMEND
	s_nop 0
	;;#ASMSTART
	v_dot2_f32_f16 v85, v9, v117, v85
	;;#ASMEND
	s_nop 0
	;;#ASMSTART
	v_dot2_f32_f16 v85, v10, v118, v85
	;;#ASMEND
	s_nop 0
	;;#ASMSTART
	v_dot2_f32_f16 v85, v11, v119, v85
	;;#ASMEND
	;;#ASMSTART
	v_dot2_f32_f16 v86, v12, v16, v86
	;;#ASMEND
	s_nop 0
	;;#ASMSTART
	v_dot2_f32_f16 v86, v13, v17, v86
	;;#ASMEND
	s_nop 0
	;;#ASMSTART
	v_dot2_f32_f16 v86, v14, v18, v86
	;;#ASMEND
	s_nop 0
	;;#ASMSTART
	v_dot2_f32_f16 v86, v15, v19, v86
	;;#ASMEND
	;;#ASMSTART
	v_dot2_f32_f16 v87, v12, v92, v87
	;;#ASMEND
	s_nop 0
	;;#ASMSTART
	v_dot2_f32_f16 v87, v13, v93, v87
	;;#ASMEND
	s_nop 0
	;;#ASMSTART
	v_dot2_f32_f16 v87, v14, v94, v87
	;;#ASMEND
	s_nop 0
	;;#ASMSTART
	v_dot2_f32_f16 v87, v15, v95, v87
	;;#ASMEND
	;; [unrolled: 15-line block ×8, first 2 shown]
	ds_read_b128 v[8:11], v56 offset:32
	ds_read_b128 v[12:15], v56 offset:2592
	;; [unrolled: 1-line block ×10, first 2 shown]
	s_waitcnt lgkmcnt(7)
	;;#ASMSTART
	v_dot2_f32_f16 v78, v8, v16, v78
	;;#ASMEND
	s_nop 0
	;;#ASMSTART
	v_dot2_f32_f16 v78, v9, v17, v78
	;;#ASMEND
	s_nop 0
	;;#ASMSTART
	v_dot2_f32_f16 v78, v10, v18, v78
	;;#ASMEND
	s_nop 0
	;;#ASMSTART
	v_dot2_f32_f16 v78, v11, v19, v78
	;;#ASMEND
	s_waitcnt lgkmcnt(6)
	;;#ASMSTART
	v_dot2_f32_f16 v79, v8, v92, v79
	;;#ASMEND
	s_nop 0
	;;#ASMSTART
	v_dot2_f32_f16 v79, v9, v93, v79
	;;#ASMEND
	s_nop 0
	;;#ASMSTART
	v_dot2_f32_f16 v79, v10, v94, v79
	;;#ASMEND
	s_nop 0
	;;#ASMSTART
	v_dot2_f32_f16 v79, v11, v95, v79
	;;#ASMEND
	;; [unrolled: 16-line block ×8, first 2 shown]
	;;#ASMSTART
	v_dot2_f32_f16 v86, v12, v16, v86
	;;#ASMEND
	s_nop 0
	;;#ASMSTART
	v_dot2_f32_f16 v86, v13, v17, v86
	;;#ASMEND
	s_nop 0
	;;#ASMSTART
	v_dot2_f32_f16 v86, v14, v18, v86
	;;#ASMEND
	s_nop 0
	;;#ASMSTART
	v_dot2_f32_f16 v86, v15, v19, v86
	;;#ASMEND
	;;#ASMSTART
	v_dot2_f32_f16 v87, v12, v92, v87
	;;#ASMEND
	s_nop 0
	;;#ASMSTART
	v_dot2_f32_f16 v87, v13, v93, v87
	;;#ASMEND
	s_nop 0
	;;#ASMSTART
	v_dot2_f32_f16 v87, v14, v94, v87
	;;#ASMEND
	s_nop 0
	;;#ASMSTART
	v_dot2_f32_f16 v87, v15, v95, v87
	;;#ASMEND
	;; [unrolled: 15-line block ×8, first 2 shown]
	ds_read_b128 v[8:11], v56 offset:48
	ds_read_b128 v[12:15], v56 offset:2608
	ds_read_b128 v[16:19], v49 offset:112
	ds_read_b128 v[92:95], v49 offset:368
	ds_read_b128 v[96:99], v49 offset:624
	ds_read_b128 v[100:103], v49 offset:880
	ds_read_b128 v[104:107], v49 offset:1136
	ds_read_b128 v[108:111], v49 offset:1392
	ds_read_b128 v[112:115], v49 offset:1648
	ds_read_b128 v[116:119], v49 offset:1904
	s_waitcnt lgkmcnt(7)
	;;#ASMSTART
	v_dot2_f32_f16 v78, v8, v16, v78
	;;#ASMEND
	s_nop 0
	;;#ASMSTART
	v_dot2_f32_f16 v78, v9, v17, v78
	;;#ASMEND
	s_nop 0
	;;#ASMSTART
	v_dot2_f32_f16 v78, v10, v18, v78
	;;#ASMEND
	s_nop 0
	;;#ASMSTART
	v_dot2_f32_f16 v78, v11, v19, v78
	;;#ASMEND
	s_waitcnt lgkmcnt(6)
	;;#ASMSTART
	v_dot2_f32_f16 v79, v8, v92, v79
	;;#ASMEND
	s_nop 0
	;;#ASMSTART
	v_dot2_f32_f16 v79, v9, v93, v79
	;;#ASMEND
	s_nop 0
	;;#ASMSTART
	v_dot2_f32_f16 v79, v10, v94, v79
	;;#ASMEND
	s_nop 0
	;;#ASMSTART
	v_dot2_f32_f16 v79, v11, v95, v79
	;;#ASMEND
	;; [unrolled: 16-line block ×8, first 2 shown]
	;;#ASMSTART
	v_dot2_f32_f16 v86, v12, v16, v86
	;;#ASMEND
	s_nop 0
	;;#ASMSTART
	v_dot2_f32_f16 v86, v13, v17, v86
	;;#ASMEND
	s_nop 0
	;;#ASMSTART
	v_dot2_f32_f16 v86, v14, v18, v86
	;;#ASMEND
	s_nop 0
	;;#ASMSTART
	v_dot2_f32_f16 v86, v15, v19, v86
	;;#ASMEND
	;;#ASMSTART
	v_dot2_f32_f16 v87, v12, v92, v87
	;;#ASMEND
	s_nop 0
	;;#ASMSTART
	v_dot2_f32_f16 v87, v13, v93, v87
	;;#ASMEND
	s_nop 0
	;;#ASMSTART
	v_dot2_f32_f16 v87, v14, v94, v87
	;;#ASMEND
	s_nop 0
	;;#ASMSTART
	v_dot2_f32_f16 v87, v15, v95, v87
	;;#ASMEND
	;; [unrolled: 15-line block ×8, first 2 shown]
	s_barrier
	global_load_dwordx4 v[8:11], v[46:47], off offset:128
	s_waitcnt vmcnt(0)
	ds_write_b128 v55, v[8:11]
	s_waitcnt lgkmcnt(0)
	s_barrier
	ds_read_b128 v[8:11], v56
	ds_read_b128 v[12:15], v56 offset:2560
	ds_read_b128 v[16:19], v49 offset:128
	;; [unrolled: 1-line block ×9, first 2 shown]
	s_waitcnt lgkmcnt(7)
	;;#ASMSTART
	v_dot2_f32_f16 v78, v8, v16, v78
	;;#ASMEND
	s_nop 0
	;;#ASMSTART
	v_dot2_f32_f16 v78, v9, v17, v78
	;;#ASMEND
	s_nop 0
	;;#ASMSTART
	v_dot2_f32_f16 v78, v10, v18, v78
	;;#ASMEND
	s_nop 0
	;;#ASMSTART
	v_dot2_f32_f16 v78, v11, v19, v78
	;;#ASMEND
	s_waitcnt lgkmcnt(6)
	;;#ASMSTART
	v_dot2_f32_f16 v79, v8, v92, v79
	;;#ASMEND
	s_nop 0
	;;#ASMSTART
	v_dot2_f32_f16 v79, v9, v93, v79
	;;#ASMEND
	s_nop 0
	;;#ASMSTART
	v_dot2_f32_f16 v79, v10, v94, v79
	;;#ASMEND
	s_nop 0
	;;#ASMSTART
	v_dot2_f32_f16 v79, v11, v95, v79
	;;#ASMEND
	;; [unrolled: 16-line block ×8, first 2 shown]
	;;#ASMSTART
	v_dot2_f32_f16 v86, v12, v16, v86
	;;#ASMEND
	s_nop 0
	;;#ASMSTART
	v_dot2_f32_f16 v86, v13, v17, v86
	;;#ASMEND
	s_nop 0
	;;#ASMSTART
	v_dot2_f32_f16 v86, v14, v18, v86
	;;#ASMEND
	s_nop 0
	;;#ASMSTART
	v_dot2_f32_f16 v86, v15, v19, v86
	;;#ASMEND
	;;#ASMSTART
	v_dot2_f32_f16 v87, v12, v92, v87
	;;#ASMEND
	s_nop 0
	;;#ASMSTART
	v_dot2_f32_f16 v87, v13, v93, v87
	;;#ASMEND
	s_nop 0
	;;#ASMSTART
	v_dot2_f32_f16 v87, v14, v94, v87
	;;#ASMEND
	s_nop 0
	;;#ASMSTART
	v_dot2_f32_f16 v87, v15, v95, v87
	;;#ASMEND
	;; [unrolled: 15-line block ×8, first 2 shown]
	ds_read_b128 v[8:11], v56 offset:16
	ds_read_b128 v[12:15], v56 offset:2576
	;; [unrolled: 1-line block ×10, first 2 shown]
	s_waitcnt lgkmcnt(7)
	;;#ASMSTART
	v_dot2_f32_f16 v78, v8, v16, v78
	;;#ASMEND
	s_nop 0
	;;#ASMSTART
	v_dot2_f32_f16 v78, v9, v17, v78
	;;#ASMEND
	s_nop 0
	;;#ASMSTART
	v_dot2_f32_f16 v78, v10, v18, v78
	;;#ASMEND
	s_nop 0
	;;#ASMSTART
	v_dot2_f32_f16 v78, v11, v19, v78
	;;#ASMEND
	s_waitcnt lgkmcnt(6)
	;;#ASMSTART
	v_dot2_f32_f16 v79, v8, v92, v79
	;;#ASMEND
	s_nop 0
	;;#ASMSTART
	v_dot2_f32_f16 v79, v9, v93, v79
	;;#ASMEND
	s_nop 0
	;;#ASMSTART
	v_dot2_f32_f16 v79, v10, v94, v79
	;;#ASMEND
	s_nop 0
	;;#ASMSTART
	v_dot2_f32_f16 v79, v11, v95, v79
	;;#ASMEND
	;; [unrolled: 16-line block ×8, first 2 shown]
	;;#ASMSTART
	v_dot2_f32_f16 v86, v12, v16, v86
	;;#ASMEND
	s_nop 0
	;;#ASMSTART
	v_dot2_f32_f16 v86, v13, v17, v86
	;;#ASMEND
	s_nop 0
	;;#ASMSTART
	v_dot2_f32_f16 v86, v14, v18, v86
	;;#ASMEND
	s_nop 0
	;;#ASMSTART
	v_dot2_f32_f16 v86, v15, v19, v86
	;;#ASMEND
	;;#ASMSTART
	v_dot2_f32_f16 v87, v12, v92, v87
	;;#ASMEND
	s_nop 0
	;;#ASMSTART
	v_dot2_f32_f16 v87, v13, v93, v87
	;;#ASMEND
	s_nop 0
	;;#ASMSTART
	v_dot2_f32_f16 v87, v14, v94, v87
	;;#ASMEND
	s_nop 0
	;;#ASMSTART
	v_dot2_f32_f16 v87, v15, v95, v87
	;;#ASMEND
	;; [unrolled: 15-line block ×8, first 2 shown]
	ds_read_b128 v[8:11], v56 offset:32
	ds_read_b128 v[12:15], v56 offset:2592
	;; [unrolled: 1-line block ×10, first 2 shown]
	s_waitcnt lgkmcnt(7)
	;;#ASMSTART
	v_dot2_f32_f16 v78, v8, v16, v78
	;;#ASMEND
	s_nop 0
	;;#ASMSTART
	v_dot2_f32_f16 v78, v9, v17, v78
	;;#ASMEND
	s_nop 0
	;;#ASMSTART
	v_dot2_f32_f16 v78, v10, v18, v78
	;;#ASMEND
	s_nop 0
	;;#ASMSTART
	v_dot2_f32_f16 v78, v11, v19, v78
	;;#ASMEND
	s_waitcnt lgkmcnt(6)
	;;#ASMSTART
	v_dot2_f32_f16 v79, v8, v92, v79
	;;#ASMEND
	s_nop 0
	;;#ASMSTART
	v_dot2_f32_f16 v79, v9, v93, v79
	;;#ASMEND
	s_nop 0
	;;#ASMSTART
	v_dot2_f32_f16 v79, v10, v94, v79
	;;#ASMEND
	s_nop 0
	;;#ASMSTART
	v_dot2_f32_f16 v79, v11, v95, v79
	;;#ASMEND
	;; [unrolled: 16-line block ×8, first 2 shown]
	;;#ASMSTART
	v_dot2_f32_f16 v86, v12, v16, v86
	;;#ASMEND
	s_nop 0
	;;#ASMSTART
	v_dot2_f32_f16 v86, v13, v17, v86
	;;#ASMEND
	s_nop 0
	;;#ASMSTART
	v_dot2_f32_f16 v86, v14, v18, v86
	;;#ASMEND
	s_nop 0
	;;#ASMSTART
	v_dot2_f32_f16 v86, v15, v19, v86
	;;#ASMEND
	;;#ASMSTART
	v_dot2_f32_f16 v87, v12, v92, v87
	;;#ASMEND
	s_nop 0
	;;#ASMSTART
	v_dot2_f32_f16 v87, v13, v93, v87
	;;#ASMEND
	s_nop 0
	;;#ASMSTART
	v_dot2_f32_f16 v87, v14, v94, v87
	;;#ASMEND
	s_nop 0
	;;#ASMSTART
	v_dot2_f32_f16 v87, v15, v95, v87
	;;#ASMEND
	;; [unrolled: 15-line block ×8, first 2 shown]
	ds_read_b128 v[8:11], v56 offset:48
	ds_read_b128 v[12:15], v56 offset:2608
	ds_read_b128 v[16:19], v49 offset:176
	ds_read_b128 v[92:95], v49 offset:432
	ds_read_b128 v[96:99], v49 offset:688
	ds_read_b128 v[100:103], v49 offset:944
	ds_read_b128 v[104:107], v49 offset:1200
	ds_read_b128 v[108:111], v49 offset:1456
	ds_read_b128 v[112:115], v49 offset:1712
	ds_read_b128 v[116:119], v49 offset:1968
	s_waitcnt lgkmcnt(7)
	;;#ASMSTART
	v_dot2_f32_f16 v78, v8, v16, v78
	;;#ASMEND
	s_nop 0
	;;#ASMSTART
	v_dot2_f32_f16 v78, v9, v17, v78
	;;#ASMEND
	s_nop 0
	;;#ASMSTART
	v_dot2_f32_f16 v78, v10, v18, v78
	;;#ASMEND
	s_nop 0
	;;#ASMSTART
	v_dot2_f32_f16 v78, v11, v19, v78
	;;#ASMEND
	s_waitcnt lgkmcnt(6)
	;;#ASMSTART
	v_dot2_f32_f16 v79, v8, v92, v79
	;;#ASMEND
	s_nop 0
	;;#ASMSTART
	v_dot2_f32_f16 v79, v9, v93, v79
	;;#ASMEND
	s_nop 0
	;;#ASMSTART
	v_dot2_f32_f16 v79, v10, v94, v79
	;;#ASMEND
	s_nop 0
	;;#ASMSTART
	v_dot2_f32_f16 v79, v11, v95, v79
	;;#ASMEND
	;; [unrolled: 16-line block ×8, first 2 shown]
	;;#ASMSTART
	v_dot2_f32_f16 v86, v12, v16, v86
	;;#ASMEND
	s_nop 0
	;;#ASMSTART
	v_dot2_f32_f16 v86, v13, v17, v86
	;;#ASMEND
	s_nop 0
	;;#ASMSTART
	v_dot2_f32_f16 v86, v14, v18, v86
	;;#ASMEND
	s_nop 0
	;;#ASMSTART
	v_dot2_f32_f16 v86, v15, v19, v86
	;;#ASMEND
	;;#ASMSTART
	v_dot2_f32_f16 v87, v12, v92, v87
	;;#ASMEND
	s_nop 0
	;;#ASMSTART
	v_dot2_f32_f16 v87, v13, v93, v87
	;;#ASMEND
	s_nop 0
	;;#ASMSTART
	v_dot2_f32_f16 v87, v14, v94, v87
	;;#ASMEND
	s_nop 0
	;;#ASMSTART
	v_dot2_f32_f16 v87, v15, v95, v87
	;;#ASMEND
	;; [unrolled: 15-line block ×8, first 2 shown]
	s_barrier
	global_load_dwordx4 v[8:11], v[46:47], off offset:192
	v_mov_b32_e32 v47, v0
	v_add_u32_e32 v0, s2, v40
	v_mov_b32_e32 v46, v1
	v_ashrrev_i32_e32 v1, 31, v0
	v_lshl_add_u64 v[0:1], v[0:1], 1, s[84:85]
	s_waitcnt vmcnt(0)
	ds_write_b128 v55, v[8:11]
	s_waitcnt lgkmcnt(0)
	s_barrier
	ds_read_b128 v[8:11], v56
	ds_read_b128 v[12:15], v56 offset:2560
	ds_read_b128 v[16:19], v49 offset:192
	ds_read_b128 v[92:95], v49 offset:448
	ds_read_b128 v[96:99], v49 offset:704
	ds_read_b128 v[100:103], v49 offset:960
	ds_read_b128 v[104:107], v49 offset:1216
	ds_read_b128 v[108:111], v49 offset:1472
	ds_read_b128 v[112:115], v49 offset:1728
	ds_read_b128 v[116:119], v49 offset:1984
	s_waitcnt lgkmcnt(7)
	;;#ASMSTART
	v_dot2_f32_f16 v78, v8, v16, v78
	;;#ASMEND
	s_nop 0
	;;#ASMSTART
	v_dot2_f32_f16 v78, v9, v17, v78
	;;#ASMEND
	s_nop 0
	;;#ASMSTART
	v_dot2_f32_f16 v78, v10, v18, v78
	;;#ASMEND
	s_nop 0
	;;#ASMSTART
	v_dot2_f32_f16 v78, v11, v19, v78
	;;#ASMEND
	s_waitcnt lgkmcnt(6)
	;;#ASMSTART
	v_dot2_f32_f16 v79, v8, v92, v79
	;;#ASMEND
	s_nop 0
	;;#ASMSTART
	v_dot2_f32_f16 v79, v9, v93, v79
	;;#ASMEND
	s_nop 0
	;;#ASMSTART
	v_dot2_f32_f16 v79, v10, v94, v79
	;;#ASMEND
	s_nop 0
	;;#ASMSTART
	v_dot2_f32_f16 v79, v11, v95, v79
	;;#ASMEND
	;; [unrolled: 16-line block ×8, first 2 shown]
	;;#ASMSTART
	v_dot2_f32_f16 v86, v12, v16, v86
	;;#ASMEND
	s_nop 0
	;;#ASMSTART
	v_dot2_f32_f16 v86, v13, v17, v86
	;;#ASMEND
	s_nop 0
	;;#ASMSTART
	v_dot2_f32_f16 v86, v14, v18, v86
	;;#ASMEND
	s_nop 0
	;;#ASMSTART
	v_dot2_f32_f16 v86, v15, v19, v86
	;;#ASMEND
	;;#ASMSTART
	v_dot2_f32_f16 v87, v12, v92, v87
	;;#ASMEND
	s_nop 0
	;;#ASMSTART
	v_dot2_f32_f16 v87, v13, v93, v87
	;;#ASMEND
	s_nop 0
	;;#ASMSTART
	v_dot2_f32_f16 v87, v14, v94, v87
	;;#ASMEND
	s_nop 0
	;;#ASMSTART
	v_dot2_f32_f16 v87, v15, v95, v87
	;;#ASMEND
	;; [unrolled: 15-line block ×8, first 2 shown]
	ds_read_b128 v[8:11], v56 offset:16
	ds_read_b128 v[12:15], v56 offset:2576
	;; [unrolled: 1-line block ×10, first 2 shown]
	s_waitcnt lgkmcnt(7)
	;;#ASMSTART
	v_dot2_f32_f16 v78, v8, v16, v78
	;;#ASMEND
	s_nop 0
	;;#ASMSTART
	v_dot2_f32_f16 v78, v9, v17, v78
	;;#ASMEND
	s_nop 0
	;;#ASMSTART
	v_dot2_f32_f16 v78, v10, v18, v78
	;;#ASMEND
	s_nop 0
	;;#ASMSTART
	v_dot2_f32_f16 v78, v11, v19, v78
	;;#ASMEND
	s_waitcnt lgkmcnt(6)
	;;#ASMSTART
	v_dot2_f32_f16 v79, v8, v92, v79
	;;#ASMEND
	s_nop 0
	;;#ASMSTART
	v_dot2_f32_f16 v79, v9, v93, v79
	;;#ASMEND
	s_nop 0
	;;#ASMSTART
	v_dot2_f32_f16 v79, v10, v94, v79
	;;#ASMEND
	s_nop 0
	;;#ASMSTART
	v_dot2_f32_f16 v79, v11, v95, v79
	;;#ASMEND
	;; [unrolled: 16-line block ×8, first 2 shown]
	;;#ASMSTART
	v_dot2_f32_f16 v86, v12, v16, v86
	;;#ASMEND
	s_nop 0
	;;#ASMSTART
	v_dot2_f32_f16 v86, v13, v17, v86
	;;#ASMEND
	s_nop 0
	;;#ASMSTART
	v_dot2_f32_f16 v86, v14, v18, v86
	;;#ASMEND
	s_nop 0
	;;#ASMSTART
	v_dot2_f32_f16 v86, v15, v19, v86
	;;#ASMEND
	;;#ASMSTART
	v_dot2_f32_f16 v87, v12, v92, v87
	;;#ASMEND
	s_nop 0
	;;#ASMSTART
	v_dot2_f32_f16 v87, v13, v93, v87
	;;#ASMEND
	s_nop 0
	;;#ASMSTART
	v_dot2_f32_f16 v87, v14, v94, v87
	;;#ASMEND
	s_nop 0
	;;#ASMSTART
	v_dot2_f32_f16 v87, v15, v95, v87
	;;#ASMEND
	;; [unrolled: 15-line block ×8, first 2 shown]
	ds_read_b128 v[8:11], v56 offset:32
	ds_read_b128 v[12:15], v56 offset:2592
	ds_read_b128 v[16:19], v49 offset:224
	ds_read_b128 v[92:95], v49 offset:480
	ds_read_b128 v[96:99], v49 offset:736
	ds_read_b128 v[100:103], v49 offset:992
	ds_read_b128 v[104:107], v49 offset:1248
	ds_read_b128 v[108:111], v49 offset:1504
	ds_read_b128 v[112:115], v49 offset:1760
	ds_read_b128 v[116:119], v49 offset:2016
	s_waitcnt lgkmcnt(7)
	;;#ASMSTART
	v_dot2_f32_f16 v78, v8, v16, v78
	;;#ASMEND
	s_nop 0
	;;#ASMSTART
	v_dot2_f32_f16 v78, v9, v17, v78
	;;#ASMEND
	s_nop 0
	;;#ASMSTART
	v_dot2_f32_f16 v78, v10, v18, v78
	;;#ASMEND
	s_nop 0
	;;#ASMSTART
	v_dot2_f32_f16 v78, v11, v19, v78
	;;#ASMEND
	s_waitcnt lgkmcnt(6)
	;;#ASMSTART
	v_dot2_f32_f16 v79, v8, v92, v79
	;;#ASMEND
	s_nop 0
	;;#ASMSTART
	v_dot2_f32_f16 v79, v9, v93, v79
	;;#ASMEND
	s_nop 0
	;;#ASMSTART
	v_dot2_f32_f16 v79, v10, v94, v79
	;;#ASMEND
	s_nop 0
	;;#ASMSTART
	v_dot2_f32_f16 v79, v11, v95, v79
	;;#ASMEND
	;; [unrolled: 16-line block ×8, first 2 shown]
	;;#ASMSTART
	v_dot2_f32_f16 v86, v12, v16, v86
	;;#ASMEND
	s_nop 0
	;;#ASMSTART
	v_dot2_f32_f16 v86, v13, v17, v86
	;;#ASMEND
	s_nop 0
	;;#ASMSTART
	v_dot2_f32_f16 v86, v14, v18, v86
	;;#ASMEND
	s_nop 0
	;;#ASMSTART
	v_dot2_f32_f16 v86, v15, v19, v86
	;;#ASMEND
	;;#ASMSTART
	v_dot2_f32_f16 v87, v12, v92, v87
	;;#ASMEND
	s_nop 0
	;;#ASMSTART
	v_dot2_f32_f16 v87, v13, v93, v87
	;;#ASMEND
	s_nop 0
	;;#ASMSTART
	v_dot2_f32_f16 v87, v14, v94, v87
	;;#ASMEND
	s_nop 0
	;;#ASMSTART
	v_dot2_f32_f16 v87, v15, v95, v87
	;;#ASMEND
	;; [unrolled: 15-line block ×8, first 2 shown]
	ds_read_b128 v[92:95], v56 offset:48
	ds_read_b128 v[8:11], v56 offset:2608
	;; [unrolled: 1-line block ×10, first 2 shown]
	s_waitcnt lgkmcnt(7)
	;;#ASMSTART
	v_dot2_f32_f16 v78, v92, v96, v78
	;;#ASMEND
	s_nop 0
	;;#ASMSTART
	v_dot2_f32_f16 v78, v93, v97, v78
	;;#ASMEND
	s_nop 0
	;;#ASMSTART
	v_dot2_f32_f16 v78, v94, v98, v78
	;;#ASMEND
	s_nop 0
	;;#ASMSTART
	v_dot2_f32_f16 v78, v95, v99, v78
	;;#ASMEND
	s_waitcnt lgkmcnt(6)
	;;#ASMSTART
	v_dot2_f32_f16 v79, v92, v100, v79
	;;#ASMEND
	s_nop 0
	;;#ASMSTART
	v_dot2_f32_f16 v79, v93, v101, v79
	;;#ASMEND
	s_nop 0
	;;#ASMSTART
	v_dot2_f32_f16 v79, v94, v102, v79
	;;#ASMEND
	s_nop 0
	;;#ASMSTART
	v_dot2_f32_f16 v79, v95, v103, v79
	;;#ASMEND
	;; [unrolled: 16-line block ×7, first 2 shown]
	s_waitcnt lgkmcnt(0)
	;;#ASMSTART
	v_dot2_f32_f16 v85, v92, v12, v85
	;;#ASMEND
	v_mov_b32_e32 v92, v2
	;;#ASMSTART
	v_dot2_f32_f16 v85, v93, v13, v85
	;;#ASMEND
	v_cndmask_b32_e32 v2, v41, v53, vcc
	;;#ASMSTART
	v_dot2_f32_f16 v85, v94, v14, v85
	;;#ASMEND
	v_mov_b32_e32 v93, v5
	;;#ASMSTART
	v_dot2_f32_f16 v85, v95, v15, v85
	;;#ASMEND
	;;#ASMSTART
	v_dot2_f32_f16 v86, v8, v96, v86
	;;#ASMEND
	v_lshlrev_b32_e32 v96, 2, v2
	;;#ASMSTART
	v_dot2_f32_f16 v86, v9, v97, v86
	;;#ASMEND
	v_lshlrev_b32_e32 v95, 2, v3
	;;#ASMSTART
	v_dot2_f32_f16 v86, v10, v98, v86
	;;#ASMEND
	v_mov_b32_e32 v94, v4
	;;#ASMSTART
	v_dot2_f32_f16 v86, v11, v99, v86
	;;#ASMEND
	;;#ASMSTART
	v_dot2_f32_f16 v87, v8, v100, v87
	;;#ASMEND
	v_cndmask_b32_e64 v4, v41, v52, s[6:7]
	;;#ASMSTART
	v_dot2_f32_f16 v87, v9, v101, v87
	;;#ASMEND
	v_cndmask_b32_e64 v5, v41, v51, s[8:9]
	;;#ASMSTART
	v_dot2_f32_f16 v87, v10, v102, v87
	;;#ASMEND
	v_lshlrev_b32_e32 v27, 2, v4
	;;#ASMSTART
	v_dot2_f32_f16 v87, v11, v103, v87
	;;#ASMEND
	;;#ASMSTART
	v_dot2_f32_f16 v88, v8, v104, v88
	;;#ASMEND
	v_lshlrev_b32_e32 v4, 2, v5
	;;#ASMSTART
	v_dot2_f32_f16 v88, v9, v105, v88
	;;#ASMEND
	s_nop 0
	;;#ASMSTART
	v_dot2_f32_f16 v88, v10, v106, v88
	;;#ASMEND
	s_nop 0
	;;#ASMSTART
	v_dot2_f32_f16 v88, v11, v107, v88
	;;#ASMEND
	;;#ASMSTART
	v_dot2_f32_f16 v89, v8, v108, v89
	;;#ASMEND
	s_nop 0
	;;#ASMSTART
	v_dot2_f32_f16 v89, v9, v109, v89
	;;#ASMEND
	s_nop 0
	;;#ASMSTART
	v_dot2_f32_f16 v89, v10, v110, v89
	;;#ASMEND
	s_nop 0
	;;#ASMSTART
	v_dot2_f32_f16 v89, v11, v111, v89
	;;#ASMEND
	;;#ASMSTART
	v_dot2_f32_f16 v90, v8, v112, v90
	;;#ASMEND
	s_nop 0
	;; [unrolled: 15-line block ×4, first 2 shown]
	;;#ASMSTART
	v_dot2_f32_f16 v20, v9, v17, v20
	;;#ASMEND
	s_nop 0
	;;#ASMSTART
	v_dot2_f32_f16 v20, v10, v18, v20
	;;#ASMEND
	s_nop 0
	;;#ASMSTART
	v_dot2_f32_f16 v20, v11, v19, v20
	;;#ASMEND
	;;#ASMSTART
	v_dot2_f32_f16 v21, v8, v12, v21
	;;#ASMEND
	v_cndmask_b32_e64 v8, v41, v50, s[10:11]
	;;#ASMSTART
	v_dot2_f32_f16 v21, v9, v13, v21
	;;#ASMEND
	v_lshlrev_b32_e32 v5, 2, v8
	;;#ASMSTART
	v_dot2_f32_f16 v21, v10, v14, v21
	;;#ASMEND
	s_nop 0
	;;#ASMSTART
	v_dot2_f32_f16 v21, v11, v15, v21
	;;#ASMEND
	global_load_ushort v2, v[0:1], off
	global_load_ushort v3, v[0:1], off offset:64
	s_barrier
	s_waitcnt vmcnt(1)
	v_cvt_f32_f16_e32 v0, v2
	s_waitcnt vmcnt(0)
	v_cvt_f32_f16_e32 v1, v3
	v_add_f32_e32 v18, v78, v0
	v_add_f32_e32 v19, v86, v1
	;; [unrolled: 1-line block ×18, first 2 shown]
	v_max3_f32 v0, v47, v0, v1
	ds_bpermute_b32 v1, v96, v0
	v_add_f32_e32 v2, 0x40051340, v22
	v_add_f32_e32 v3, 0x40051340, v25
	;; [unrolled: 1-line block ×4, first 2 shown]
	s_waitcnt lgkmcnt(0)
	v_max_f32_e32 v1, v1, v1
	v_max_f32_e32 v0, v0, v1
	ds_bpermute_b32 v1, v95, v0
	v_add_f32_e32 v24, 0x40051340, v13
	v_mov_b32_e32 v78, v6
	v_add_f32_e32 v6, 0x40051340, v11
	v_mov_b32_e32 v79, v7
	s_waitcnt lgkmcnt(0)
	v_max_f32_e32 v1, v1, v1
	v_max_f32_e32 v0, v0, v1
	ds_bpermute_b32 v1, v27, v0
	v_add_f32_e32 v7, 0x40051340, v9
	s_waitcnt lgkmcnt(0)
	v_max_f32_e32 v1, v1, v1
	v_max_f32_e32 v0, v0, v1
	ds_bpermute_b32 v1, v4, v0
	s_waitcnt lgkmcnt(0)
	v_max_f32_e32 v1, v1, v1
	v_max_f32_e32 v0, v0, v1
	ds_bpermute_b32 v1, v5, v0
	s_waitcnt lgkmcnt(0)
	v_max_f32_e32 v1, v1, v1
	v_max_f32_e32 v0, v0, v1
	v_add_f32_e32 v1, 0x40051340, v23
	v_max3_f32 v1, v46, v2, v1
	ds_bpermute_b32 v2, v96, v1
	v_sub_f32_e32 v18, v18, v0
	v_sub_f32_e32 v19, v19, v0
	v_cmp_ngt_f32_e64 s[10:11], s83, v18
	v_cmp_nlt_f32_e32 vcc, s86, v18
	s_waitcnt lgkmcnt(0)
	v_max_f32_e32 v2, v2, v2
	v_max_f32_e32 v1, v1, v2
	ds_bpermute_b32 v2, v95, v1
	v_cmp_ngt_f32_e64 s[12:13], s83, v19
	v_cmp_nlt_f32_e64 s[66:67], s86, v19
	s_waitcnt lgkmcnt(0)
	v_max_f32_e32 v2, v2, v2
	v_max_f32_e32 v1, v1, v2
	ds_bpermute_b32 v2, v27, v1
	s_waitcnt lgkmcnt(0)
	v_max_f32_e32 v2, v2, v2
	v_max_f32_e32 v1, v1, v2
	ds_bpermute_b32 v2, v4, v1
	s_waitcnt lgkmcnt(0)
	v_max_f32_e32 v2, v2, v2
	v_max_f32_e32 v1, v1, v2
	ds_bpermute_b32 v2, v5, v1
	s_waitcnt lgkmcnt(0)
	v_max_f32_e32 v2, v2, v2
	v_max_f32_e32 v1, v1, v2
	v_add_f32_e32 v2, 0x40051340, v26
	v_max3_f32 v2, v92, v3, v2
	ds_bpermute_b32 v3, v96, v2
	s_waitcnt lgkmcnt(0)
	v_max_f32_e32 v3, v3, v3
	v_max_f32_e32 v2, v2, v3
	ds_bpermute_b32 v3, v95, v2
	s_waitcnt lgkmcnt(0)
	v_max_f32_e32 v3, v3, v3
	v_max_f32_e32 v2, v2, v3
	;; [unrolled: 4-line block ×5, first 2 shown]
	v_add_f32_e32 v3, 0x40051340, v16
	v_max3_f32 v3, v91, v20, v3
	ds_bpermute_b32 v20, v96, v3
	s_waitcnt lgkmcnt(0)
	v_max_f32_e32 v20, v20, v20
	v_max_f32_e32 v3, v3, v20
	ds_bpermute_b32 v20, v95, v3
	s_waitcnt lgkmcnt(0)
	v_max_f32_e32 v20, v20, v20
	v_max_f32_e32 v3, v3, v20
	;; [unrolled: 4-line block ×5, first 2 shown]
	v_add_f32_e32 v20, 0x40051340, v14
	v_max3_f32 v20, v94, v21, v20
	v_add_f32_e32 v21, 0x40051340, v12
	v_max3_f32 v21, v93, v24, v21
	v_add_f32_e32 v24, 0x40051340, v10
	v_max3_f32 v6, v78, v6, v24
	v_add_f32_e32 v24, 0x40051340, v8
	v_max3_f32 v7, v79, v7, v24
	ds_bpermute_b32 v24, v96, v20
	v_sub_f32_e32 v17, v17, v3
	v_sub_f32_e32 v16, v16, v3
	v_cmp_ngt_f32_e64 s[30:31], s83, v17
	v_cmp_nlt_f32_e64 s[22:23], s86, v17
	s_waitcnt lgkmcnt(0)
	v_max_f32_e32 v24, v24, v24
	v_max_f32_e32 v20, v20, v24
	ds_bpermute_b32 v24, v96, v21
	v_cmp_ngt_f32_e64 s[36:37], s83, v16
	v_cmp_nlt_f32_e64 s[24:25], s86, v16
	s_waitcnt lgkmcnt(0)
	v_max_f32_e32 v24, v24, v24
	v_max_f32_e32 v21, v21, v24
	ds_bpermute_b32 v24, v96, v6
	s_waitcnt lgkmcnt(0)
	v_max_f32_e32 v24, v24, v24
	v_max_f32_e32 v6, v6, v24
	ds_bpermute_b32 v24, v96, v7
	;; [unrolled: 4-line block ×13, first 2 shown]
	ds_bpermute_b32 v4, v4, v7
	s_waitcnt lgkmcnt(1)
	v_max_f32_e32 v24, v24, v24
	s_waitcnt lgkmcnt(0)
	v_max_f32_e32 v4, v4, v4
	v_max_f32_e32 v7, v7, v4
	ds_bpermute_b32 v4, v5, v20
	v_max_f32_e32 v6, v6, v24
	ds_bpermute_b32 v24, v5, v6
	s_waitcnt lgkmcnt(1)
	v_max_f32_e32 v4, v4, v4
	v_max_f32_e32 v4, v20, v4
	ds_bpermute_b32 v20, v5, v21
	ds_bpermute_b32 v5, v5, v7
	s_waitcnt lgkmcnt(2)
	v_max_f32_e32 v24, v24, v24
	v_max_f32_e32 v6, v6, v24
	v_mul_f32_e32 v24, 0x3fb8aa3b, v18
	s_waitcnt lgkmcnt(1)
	v_max_f32_e32 v20, v20, v20
	s_waitcnt lgkmcnt(0)
	v_max_f32_e32 v27, v5, v5
	v_max_f32_e32 v5, v21, v20
	v_sub_f32_e32 v20, v22, v1
	v_sub_f32_e32 v22, v25, v2
	v_mul_f32_e32 v25, 0x3fb8aa3b, v19
	v_fma_f32 v81, v18, s81, -v24
	v_sub_f32_e32 v21, v23, v1
	v_sub_f32_e32 v23, v26, v2
	v_mul_f32_e32 v26, 0x3fb8aa3b, v20
	v_fmac_f32_e32 v81, 0x32a5705f, v18
	v_fma_f32 v18, v19, s81, -v25
	v_max_f32_e32 v7, v7, v27
	v_mul_f32_e32 v27, 0x3fb8aa3b, v21
	v_fmac_f32_e32 v18, 0x32a5705f, v19
	v_fma_f32 v19, v20, s81, -v26
	v_cmp_ngt_f32_e64 s[14:15], s83, v20
	v_cmp_nlt_f32_e64 s[4:5], s86, v20
	v_mul_f32_e32 v80, 0x3fb8aa3b, v22
	v_fmac_f32_e32 v19, 0x32a5705f, v20
	v_fma_f32 v20, v21, s81, -v27
	v_cmp_ngt_f32_e64 s[18:19], s83, v21
	v_cmp_nlt_f32_e64 s[6:7], s86, v21
	v_fmac_f32_e32 v20, 0x32a5705f, v21
	v_fma_f32 v21, v22, s81, -v80
	v_cmp_ngt_f32_e64 s[20:21], s83, v22
	v_cmp_nlt_f32_e64 s[8:9], s86, v22
	v_fmac_f32_e32 v21, 0x32a5705f, v22
	v_mul_f32_e32 v22, 0x3fb8aa3b, v23
	v_fma_f32 v82, v23, s81, -v22
	v_cmp_ngt_f32_e64 s[28:29], s83, v23
	v_cmp_nlt_f32_e64 s[16:17], s86, v23
	v_fmac_f32_e32 v82, 0x32a5705f, v23
	v_mul_f32_e32 v23, 0x3fb8aa3b, v17
	v_fma_f32 v83, v17, s81, -v23
	v_sub_f32_e32 v8, v8, v7
	v_fmac_f32_e32 v83, 0x32a5705f, v17
	v_mul_f32_e32 v17, 0x3fb8aa3b, v16
	v_mul_f32_e32 v98, 0x3fb8aa3b, v8
	v_fma_f32 v84, v16, s81, -v17
	v_sub_f32_e32 v15, v15, v4
	v_fma_f32 v99, v8, s81, -v98
	v_rndne_f32_e32 v100, v24
	v_fmac_f32_e32 v84, 0x32a5705f, v16
	v_mul_f32_e32 v16, 0x3fb8aa3b, v15
	v_cmp_ngt_f32_e64 s[64:65], s83, v8
	v_cmp_nlt_f32_e64 s[58:59], s86, v8
	v_fmac_f32_e32 v99, 0x32a5705f, v8
	v_sub_f32_e32 v8, v24, v100
	v_rndne_f32_e32 v101, v25
	v_fma_f32 v85, v15, s81, -v16
	v_sub_f32_e32 v14, v14, v4
	v_add_f32_e32 v24, v8, v81
	v_sub_f32_e32 v8, v25, v101
	v_rndne_f32_e32 v102, v26
	v_cmp_ngt_f32_e64 s[40:41], s83, v15
	v_cmp_nlt_f32_e64 s[26:27], s86, v15
	v_fmac_f32_e32 v85, 0x32a5705f, v15
	v_mul_f32_e32 v15, 0x3fb8aa3b, v14
	v_add_f32_e32 v25, v8, v18
	v_sub_f32_e32 v8, v26, v102
	v_rndne_f32_e32 v26, v27
	v_fma_f32 v86, v14, s81, -v15
	v_sub_f32_e32 v13, v13, v5
	v_add_f32_e32 v19, v8, v19
	v_sub_f32_e32 v8, v27, v26
	v_rndne_f32_e32 v103, v80
	v_cmp_ngt_f32_e64 s[44:45], s83, v14
	v_cmp_nlt_f32_e64 s[34:35], s86, v14
	v_fmac_f32_e32 v86, 0x32a5705f, v14
	v_mul_f32_e32 v14, 0x3fb8aa3b, v13
	v_add_f32_e32 v27, v8, v20
	v_sub_f32_e32 v8, v80, v103
	v_rndne_f32_e32 v105, v22
	v_fma_f32 v87, v13, s81, -v14
	v_sub_f32_e32 v12, v12, v5
	v_sub_f32_e32 v10, v10, v6
	;; [unrolled: 1-line block ×3, first 2 shown]
	v_add_f32_e32 v104, v8, v21
	v_sub_f32_e32 v8, v22, v105
	v_rndne_f32_e32 v106, v23
	v_cmp_ngt_f32_e64 s[48:49], s83, v13
	v_cmp_nlt_f32_e64 s[38:39], s86, v13
	v_fmac_f32_e32 v87, 0x32a5705f, v13
	v_mul_f32_e32 v13, 0x3fb8aa3b, v12
	v_mul_f32_e32 v90, 0x3fb8aa3b, v10
	;; [unrolled: 1-line block ×3, first 2 shown]
	v_add_f32_e32 v82, v8, v82
	v_sub_f32_e32 v8, v23, v106
	v_rndne_f32_e32 v107, v17
	v_fma_f32 v95, v10, s81, -v90
	v_fma_f32 v97, v9, s81, -v96
	v_add_f32_e32 v83, v8, v83
	v_sub_f32_e32 v8, v17, v107
	v_rndne_f32_e32 v108, v16
	v_rndne_f32_e32 v80, v13
	;; [unrolled: 1-line block ×3, first 2 shown]
	v_fma_f32 v88, v12, s81, -v13
	v_cmp_ngt_f32_e64 s[60:61], s83, v10
	v_cmp_nlt_f32_e64 s[50:51], s86, v10
	v_fmac_f32_e32 v95, 0x32a5705f, v10
	v_fmac_f32_e32 v97, 0x32a5705f, v9
	v_add_f32_e32 v84, v8, v84
	v_sub_f32_e32 v8, v16, v108
	v_rndne_f32_e32 v109, v15
	v_sub_f32_e32 v10, v13, v80
	v_sub_f32_e32 v13, v96, v17
	v_rndne_f32_e32 v20, v98
	v_add_f32_e32 v85, v8, v85
	v_sub_f32_e32 v8, v15, v109
	v_add_f32_e32 v15, v13, v97
	v_sub_f32_e32 v13, v98, v20
	v_add_f32_e32 v18, v13, v99
	v_cvt_i32_f32_e32 v13, v100
	v_exp_f32_e32 v16, v24
	v_exp_f32_e32 v21, v25
	;; [unrolled: 1-line block ×4, first 2 shown]
	v_ldexp_f32 v13, v16, v13
	v_cvt_i32_f32_e32 v16, v101
	v_exp_f32_e32 v23, v104
	v_exp_f32_e32 v24, v82
	;; [unrolled: 1-line block ×3, first 2 shown]
	v_ldexp_f32 v16, v21, v16
	v_cvt_i32_f32_e32 v21, v102
	v_sub_f32_e32 v11, v11, v6
	v_cmp_ngt_f32_e64 s[52:53], s83, v12
	v_cmp_nlt_f32_e64 s[42:43], s86, v12
	v_ldexp_f32 v19, v19, v21
	v_cvt_i32_f32_e32 v21, v26
	v_exp_f32_e32 v26, v84
	v_fmac_f32_e32 v88, 0x32a5705f, v12
	v_mul_f32_e32 v12, 0x3fb8aa3b, v11
	v_ldexp_f32 v21, v22, v21
	v_cvt_i32_f32_e32 v22, v103
	v_fma_f32 v89, v11, s81, -v12
	v_add_f32_e32 v86, v8, v86
	v_rndne_f32_e32 v8, v14
	v_ldexp_f32 v22, v23, v22
	v_cvt_i32_f32_e32 v23, v105
	v_exp_f32_e32 v27, v85
	v_cmp_ngt_f32_e64 s[56:57], s83, v11
	v_cmp_nlt_f32_e64 s[46:47], s86, v11
	v_ldexp_f32 v23, v24, v23
	v_cvt_i32_f32_e32 v24, v106
	v_fmac_f32_e32 v89, 0x32a5705f, v11
	v_cmp_ngt_f32_e64 s[62:63], s83, v9
	v_cmp_nlt_f32_e64 s[54:55], s86, v9
	v_ldexp_f32 v24, v25, v24
	v_cvt_i32_f32_e32 v25, v107
	v_sub_f32_e32 v9, v14, v8
	v_rndne_f32_e32 v11, v12
	v_rndne_f32_e32 v14, v90
	v_ldexp_f32 v25, v26, v25
	v_cvt_i32_f32_e32 v26, v108
	v_add_f32_e32 v81, v10, v88
	v_sub_f32_e32 v10, v12, v11
	v_sub_f32_e32 v12, v90, v14
	v_add_f32_e32 v9, v9, v87
	v_add_f32_e32 v10, v10, v89
	v_add_f32_e32 v12, v12, v95
	v_ldexp_f32 v26, v27, v26
	v_cvt_i32_f32_e32 v27, v109
	v_exp_f32_e32 v82, v86
	v_cvt_i32_f32_e32 v8, v8
	v_exp_f32_e32 v9, v9
	v_cvt_i32_f32_e32 v11, v11
	v_cvt_i32_f32_e32 v14, v14
	v_exp_f32_e32 v10, v10
	v_exp_f32_e32 v12, v12
	v_cvt_i32_f32_e32 v17, v17
	v_cvt_i32_f32_e32 v20, v20
	v_exp_f32_e32 v15, v15
	v_exp_f32_e32 v18, v18
	v_ldexp_f32 v27, v82, v27
	v_cvt_i32_f32_e32 v82, v80
	v_ldexp_f32 v80, v9, v8
	v_ldexp_f32 v10, v10, v11
	;; [unrolled: 1-line block ×3, first 2 shown]
	v_lshl_add_u64 v[8:9], s[88:89], 2, v[42:43]
	v_ldexp_f32 v12, v15, v17
	v_ldexp_f32 v14, v18, v20
	v_cndmask_b32_e64 v13, 0, v13, s[10:11]
	v_cndmask_b32_e64 v15, 0, v16, s[12:13]
	;; [unrolled: 1-line block ×14, first 2 shown]
	v_cndmask_b32_e32 v12, v60, v13, vcc
	v_cndmask_b32_e64 v13, v60, v16, s[4:5]
	v_cndmask_b32_e64 v16, v60, v18, s[8:9]
	;; [unrolled: 1-line block ×7, first 2 shown]
	global_load_dwordx4 v[8:11], v[8:9], off
	v_exp_f32_e32 v81, v81
	v_cndmask_b32_e64 v80, 0, v14, s[64:65]
	v_cndmask_b32_e64 v14, v60, v15, s[66:67]
	;; [unrolled: 1-line block ×3, first 2 shown]
	v_ldexp_f32 v81, v81, v82
	v_cndmask_b32_e64 v25, 0, v81, s[52:53]
	v_cndmask_b32_e64 v17, v60, v20, s[22:23]
	;; [unrolled: 1-line block ×7, first 2 shown]
	v_cvt_pk_f16_f32 v83, v24, v25
	v_cvt_pk_f16_f32 v82, v20, v21
	;; [unrolled: 1-line block ×4, first 2 shown]
	ds_write_b128 v61, v[80:83]
	v_cvt_pk_f16_f32 v83, v26, v27
	v_cvt_pk_f16_f32 v82, v22, v23
	;; [unrolled: 1-line block ×4, first 2 shown]
	ds_write_b128 v61, v[80:83] offset:512
	s_waitcnt vmcnt(0)
	ds_write_b128 v58, v[8:11]
	s_waitcnt lgkmcnt(0)
	s_barrier
	ds_read_b128 v[8:11], v57
	s_waitcnt lgkmcnt(0)
	v_mul_u32_u24_sdwa v107, v8, s87 dst_sel:DWORD dst_unused:UNUSED_PAD src0_sel:WORD_0 src1_sel:DWORD
	v_mul_u32_u24_sdwa v108, v8, s87 dst_sel:DWORD dst_unused:UNUSED_PAD src0_sel:WORD_1 src1_sel:DWORD
	v_mul_u32_u24_sdwa v109, v9, s87 dst_sel:DWORD dst_unused:UNUSED_PAD src0_sel:WORD_0 src1_sel:DWORD
	v_mul_u32_u24_sdwa v110, v9, s87 dst_sel:DWORD dst_unused:UNUSED_PAD src0_sel:WORD_1 src1_sel:DWORD
	v_mul_u32_u24_sdwa v111, v10, s87 dst_sel:DWORD dst_unused:UNUSED_PAD src0_sel:WORD_0 src1_sel:DWORD
	v_mul_u32_u24_sdwa v112, v10, s87 dst_sel:DWORD dst_unused:UNUSED_PAD src0_sel:WORD_1 src1_sel:DWORD
	v_mul_u32_u24_sdwa v113, v11, s87 dst_sel:DWORD dst_unused:UNUSED_PAD src0_sel:WORD_0 src1_sel:DWORD
	v_mul_u32_u24_sdwa v114, v11, s87 dst_sel:DWORD dst_unused:UNUSED_PAD src0_sel:WORD_1 src1_sel:DWORD
	ds_read_b128 v[8:11], v57 offset:16
	s_waitcnt lgkmcnt(0)
	v_mul_u32_u24_sdwa v115, v8, s87 dst_sel:DWORD dst_unused:UNUSED_PAD src0_sel:WORD_0 src1_sel:DWORD
	v_mul_u32_u24_sdwa v103, v8, s87 dst_sel:DWORD dst_unused:UNUSED_PAD src0_sel:WORD_1 src1_sel:DWORD
	v_mul_u32_u24_sdwa v104, v9, s87 dst_sel:DWORD dst_unused:UNUSED_PAD src0_sel:WORD_0 src1_sel:DWORD
	v_mul_u32_u24_sdwa v105, v9, s87 dst_sel:DWORD dst_unused:UNUSED_PAD src0_sel:WORD_1 src1_sel:DWORD
	v_mul_u32_u24_sdwa v106, v10, s87 dst_sel:DWORD dst_unused:UNUSED_PAD src0_sel:WORD_0 src1_sel:DWORD
	v_mul_u32_u24_sdwa v101, v10, s87 dst_sel:DWORD dst_unused:UNUSED_PAD src0_sel:WORD_1 src1_sel:DWORD
	v_mul_u32_u24_sdwa v88, v11, s87 dst_sel:DWORD dst_unused:UNUSED_PAD src0_sel:WORD_0 src1_sel:DWORD
	v_mul_u32_u24_sdwa v87, v11, s87 dst_sel:DWORD dst_unused:UNUSED_PAD src0_sel:WORD_1 src1_sel:DWORD
	ds_read_b128 v[8:11], v57 offset:32
	;; [unrolled: 10-line block ×3, first 2 shown]
	s_waitcnt lgkmcnt(0)
	v_mul_u32_u24_sdwa v86, v10, s87 dst_sel:DWORD dst_unused:UNUSED_PAD src0_sel:WORD_0 src1_sel:DWORD
	v_mul_u32_u24_sdwa v82, v10, s87 dst_sel:DWORD dst_unused:UNUSED_PAD src0_sel:WORD_1 src1_sel:DWORD
	v_mul_u32_u24_sdwa v81, v11, s87 dst_sel:DWORD dst_unused:UNUSED_PAD src0_sel:WORD_0 src1_sel:DWORD
	v_mul_u32_u24_sdwa v80, v11, s87 dst_sel:DWORD dst_unused:UNUSED_PAD src0_sel:WORD_1 src1_sel:DWORD
	v_pk_add_f32 v[10:11], v[16:17], v[18:19]
	v_sub_f32_e32 v16, v78, v6
	v_mul_f32_e32 v17, 0x3fb8aa3b, v16
	v_fma_f32 v18, v16, s81, -v17
	v_cmp_ngt_f32_e32 vcc, s83, v16
	v_cmp_nlt_f32_e64 s[4:5], s86, v16
	v_fmac_f32_e32 v18, 0x32a5705f, v16
	v_sub_f32_e32 v16, v79, v7
	v_mul_f32_e32 v19, 0x3fb8aa3b, v16
	v_mul_u32_u24_sdwa v102, v8, s87 dst_sel:DWORD dst_unused:UNUSED_PAD src0_sel:WORD_0 src1_sel:DWORD
	v_mul_u32_u24_sdwa v83, v8, s87 dst_sel:DWORD dst_unused:UNUSED_PAD src0_sel:WORD_1 src1_sel:DWORD
	v_mul_u32_u24_sdwa v84, v9, s87 dst_sel:DWORD dst_unused:UNUSED_PAD src0_sel:WORD_0 src1_sel:DWORD
	v_mul_u32_u24_sdwa v85, v9, s87 dst_sel:DWORD dst_unused:UNUSED_PAD src0_sel:WORD_1 src1_sel:DWORD
	v_pk_add_f32 v[8:9], v[12:13], v[14:15]
	v_pk_add_f32 v[12:13], v[20:21], v[22:23]
	v_fma_f32 v20, v16, s81, -v19
	v_cmp_ngt_f32_e64 s[6:7], s83, v16
	v_cmp_nlt_f32_e64 s[8:9], s86, v16
	v_fmac_f32_e32 v20, 0x32a5705f, v16
	v_rndne_f32_e32 v16, v17
	v_sub_f32_e32 v17, v17, v16
	v_add_f32_e32 v17, v17, v18
	v_cvt_i32_f32_e32 v16, v16
	v_exp_f32_e32 v17, v17
	v_rndne_f32_e32 v18, v19
	v_sub_f32_e32 v19, v19, v18
	v_add_f32_e32 v19, v19, v20
	v_ldexp_f32 v16, v17, v16
	v_cvt_i32_f32_e32 v17, v18
	v_exp_f32_e32 v18, v19
	v_cndmask_b32_e32 v16, 0, v16, vcc
	v_pk_add_f32 v[14:15], v[24:25], v[26:27]
	v_cndmask_b32_e64 v16, v60, v16, s[4:5]
	v_ldexp_f32 v17, v18, v17
	v_cndmask_b32_e64 v17, 0, v17, s[6:7]
	v_cndmask_b32_e64 v17, v60, v17, s[8:9]
	v_pk_fma_f32 v[30:31], v[30:31], v[16:17], v[14:15]
	v_sub_f32_e32 v14, v94, v4
	v_mul_f32_e32 v15, 0x3fb8aa3b, v14
	v_fma_f32 v18, v14, s81, -v15
	v_cmp_ngt_f32_e32 vcc, s83, v14
	v_cmp_nlt_f32_e64 s[4:5], s86, v14
	v_fmac_f32_e32 v18, 0x32a5705f, v14
	v_sub_f32_e32 v14, v93, v5
	v_mul_f32_e32 v19, 0x3fb8aa3b, v14
	v_fma_f32 v20, v14, s81, -v19
	v_cmp_ngt_f32_e64 s[6:7], s83, v14
	v_cmp_nlt_f32_e64 s[8:9], s86, v14
	v_fmac_f32_e32 v20, 0x32a5705f, v14
	v_rndne_f32_e32 v14, v15
	v_sub_f32_e32 v15, v15, v14
	v_add_f32_e32 v15, v15, v18
	v_cvt_i32_f32_e32 v14, v14
	v_exp_f32_e32 v15, v15
	v_rndne_f32_e32 v18, v19
	v_sub_f32_e32 v19, v19, v18
	v_add_f32_e32 v19, v19, v20
	v_ldexp_f32 v14, v15, v14
	v_cvt_i32_f32_e32 v15, v18
	v_exp_f32_e32 v18, v19
	v_cndmask_b32_e32 v14, 0, v14, vcc
	v_cndmask_b32_e64 v14, v60, v14, s[4:5]
	v_ldexp_f32 v15, v18, v15
	v_cndmask_b32_e64 v15, 0, v15, s[6:7]
	v_cndmask_b32_e64 v15, v60, v15, s[8:9]
	v_pk_fma_f32 v[32:33], v[32:33], v[14:15], v[12:13]
	v_sub_f32_e32 v12, v92, v2
	v_mul_f32_e32 v13, 0x3fb8aa3b, v12
	v_fma_f32 v18, v12, s81, -v13
	v_cmp_ngt_f32_e32 vcc, s83, v12
	v_cmp_nlt_f32_e64 s[4:5], s86, v12
	v_fmac_f32_e32 v18, 0x32a5705f, v12
	v_sub_f32_e32 v12, v91, v3
	v_mul_f32_e32 v19, 0x3fb8aa3b, v12
	v_fma_f32 v20, v12, s81, -v19
	v_cmp_ngt_f32_e64 s[6:7], s83, v12
	v_cmp_nlt_f32_e64 s[8:9], s86, v12
	v_fmac_f32_e32 v20, 0x32a5705f, v12
	v_rndne_f32_e32 v12, v13
	v_sub_f32_e32 v13, v13, v12
	v_add_f32_e32 v13, v13, v18
	v_cvt_i32_f32_e32 v12, v12
	v_exp_f32_e32 v13, v13
	v_rndne_f32_e32 v18, v19
	v_sub_f32_e32 v19, v19, v18
	v_add_f32_e32 v19, v19, v20
	v_ldexp_f32 v12, v13, v12
	v_cvt_i32_f32_e32 v13, v18
	v_exp_f32_e32 v18, v19
	v_cndmask_b32_e32 v12, 0, v12, vcc
	;; [unrolled: 29-line block ×3, first 2 shown]
	v_cndmask_b32_e64 v10, v60, v10, s[4:5]
	s_or_b32 s4, s2, 16
	v_ldexp_f32 v11, v18, v11
	v_cndmask_b32_e64 v11, 0, v11, s[6:7]
	v_cndmask_b32_e64 v11, v60, v11, s[8:9]
	v_pk_fma_f32 v[36:37], v[36:37], v[10:11], v[8:9]
	v_cvt_f16_f32_e32 v8, v10
	v_cvt_f16_f32_e32 v9, v11
	;; [unrolled: 1-line block ×5, first 2 shown]
	v_mul_u32_u24_e32 v8, 0x10001, v8
	v_cvt_f16_f32_e32 v13, v15
	v_cvt_f16_f32_e32 v14, v16
	;; [unrolled: 1-line block ×3, first 2 shown]
	v_pk_mul_f16 v16, v76, v8
	v_pk_mul_f16 v17, v77, v8
	v_mul_u32_u24_e32 v8, 0x10001, v9
	v_pk_mul_f16 v18, v74, v8
	v_pk_mul_f16 v19, v75, v8
	v_mul_u32_u24_e32 v8, 0x10001, v10
	;; [unrolled: 3-line block ×7, first 2 shown]
	v_pk_mul_f16 v15, v45, v8
	v_pk_mul_f16 v27, v63, v8
	ds_read2_b64 v[8:11], v59 offset1:32
	s_mul_hi_i32 s5, s4, s76
	s_mul_i32 s4, s4, s76
	s_waitcnt lgkmcnt(0)
	v_pk_fma_f16 v16, v8, v107, v16
	v_pk_fma_f16 v17, v9, v107, v17
	;; [unrolled: 1-line block ×18, first 2 shown]
	ds_read_b128 v[12:15], v57 offset:64
	v_pk_fma_f16 v64, v10, v103, v18
	v_pk_fma_f16 v20, v10, v104, v20
	;; [unrolled: 1-line block ×8, first 2 shown]
	ds_read_b128 v[16:19], v57 offset:80
	v_pk_fma_f16 v46, v10, v101, v46
	v_pk_fma_f16 v25, v11, v101, v25
	v_pk_fma_f16 v47, v10, v88, v47
	v_pk_fma_f16 v26, v11, v88, v26
	v_pk_fma_f16 v68, v10, v87, v8
	v_pk_fma_f16 v69, v11, v87, v9
	ds_read2_b64 v[8:11], v59 offset0:64 offset1:96
	s_waitcnt lgkmcnt(2)
	v_mul_u32_u24_sdwa v74, v15, s87 dst_sel:DWORD dst_unused:UNUSED_PAD src0_sel:WORD_0 src1_sel:DWORD
	v_mul_u32_u24_sdwa v75, v15, s87 dst_sel:DWORD dst_unused:UNUSED_PAD src0_sel:WORD_1 src1_sel:DWORD
	s_waitcnt lgkmcnt(1)
	v_mul_u32_u24_sdwa v76, v16, s87 dst_sel:DWORD dst_unused:UNUSED_PAD src0_sel:WORD_0 src1_sel:DWORD
	v_mul_u32_u24_sdwa v77, v16, s87 dst_sel:DWORD dst_unused:UNUSED_PAD src0_sel:WORD_1 src1_sel:DWORD
	s_waitcnt lgkmcnt(0)
	v_pk_fma_f16 v15, v8, v100, v27
	v_pk_fma_f16 v16, v9, v100, v63
	;; [unrolled: 1-line block ×16, first 2 shown]
	v_mul_u32_u24_sdwa v66, v12, s87 dst_sel:DWORD dst_unused:UNUSED_PAD src0_sel:WORD_0 src1_sel:DWORD
	v_mul_u32_u24_sdwa v67, v12, s87 dst_sel:DWORD dst_unused:UNUSED_PAD src0_sel:WORD_1 src1_sel:DWORD
	v_mul_u32_u24_sdwa v70, v13, s87 dst_sel:DWORD dst_unused:UNUSED_PAD src0_sel:WORD_0 src1_sel:DWORD
	v_mul_u32_u24_sdwa v71, v13, s87 dst_sel:DWORD dst_unused:UNUSED_PAD src0_sel:WORD_1 src1_sel:DWORD
	;; [unrolled: 2-line block ×6, first 2 shown]
	v_pk_fma_f16 v68, v10, v102, v15
	v_pk_fma_f16 v69, v11, v102, v16
	ds_read_b128 v[16:19], v57 offset:96
	v_pk_fma_f16 v88, v10, v83, v27
	v_pk_fma_f16 v20, v10, v84, v20
	;; [unrolled: 1-line block ×8, first 2 shown]
	ds_read_b128 v[24:27], v57 offset:112
	v_pk_fma_f16 v46, v10, v82, v46
	v_pk_fma_f16 v64, v11, v82, v64
	;; [unrolled: 1-line block ×6, first 2 shown]
	ds_read2_b64 v[8:11], v59 offset0:128 offset1:160
	s_waitcnt lgkmcnt(2)
	v_mul_u32_u24_sdwa v82, v16, s87 dst_sel:DWORD dst_unused:UNUSED_PAD src0_sel:WORD_0 src1_sel:DWORD
	v_mul_u32_u24_sdwa v81, v16, s87 dst_sel:DWORD dst_unused:UNUSED_PAD src0_sel:WORD_1 src1_sel:DWORD
	v_mul_u32_u24_sdwa v86, v17, s87 dst_sel:DWORD dst_unused:UNUSED_PAD src0_sel:WORD_0 src1_sel:DWORD
	v_mul_u32_u24_sdwa v90, v17, s87 dst_sel:DWORD dst_unused:UNUSED_PAD src0_sel:WORD_1 src1_sel:DWORD
	;; [unrolled: 2-line block ×4, first 2 shown]
	s_waitcnt lgkmcnt(1)
	v_mul_u32_u24_sdwa v95, v24, s87 dst_sel:DWORD dst_unused:UNUSED_PAD src0_sel:WORD_0 src1_sel:DWORD
	v_mul_u32_u24_sdwa v22, v24, s87 dst_sel:DWORD dst_unused:UNUSED_PAD src0_sel:WORD_1 src1_sel:DWORD
	v_mul_u32_u24_sdwa v23, v25, s87 dst_sel:DWORD dst_unused:UNUSED_PAD src0_sel:WORD_0 src1_sel:DWORD
	v_mul_u32_u24_sdwa v24, v25, s87 dst_sel:DWORD dst_unused:UNUSED_PAD src0_sel:WORD_1 src1_sel:DWORD
	;; [unrolled: 2-line block ×4, first 2 shown]
	s_waitcnt lgkmcnt(0)
	v_pk_fma_f16 v18, v8, v66, v68
	v_pk_fma_f16 v19, v9, v66, v69
	;; [unrolled: 1-line block ×18, first 2 shown]
	ds_read_b128 v[18:21], v57 offset:128
	v_pk_fma_f16 v26, v10, v77, v26
	v_pk_fma_f16 v63, v10, v78, v63
	;; [unrolled: 1-line block ×8, first 2 shown]
	ds_read_b128 v[64:67], v57 offset:144
	v_pk_fma_f16 v46, v10, v14, v46
	v_pk_fma_f16 v70, v11, v14, v70
	;; [unrolled: 1-line block ×6, first 2 shown]
	ds_read2_b64 v[8:11], v59 offset0:192 offset1:224
	s_waitcnt lgkmcnt(2)
	v_mul_u32_u24_sdwa v76, v18, s87 dst_sel:DWORD dst_unused:UNUSED_PAD src0_sel:WORD_0 src1_sel:DWORD
	v_mul_u32_u24_sdwa v77, v18, s87 dst_sel:DWORD dst_unused:UNUSED_PAD src0_sel:WORD_1 src1_sel:DWORD
	v_mul_u32_u24_sdwa v80, v19, s87 dst_sel:DWORD dst_unused:UNUSED_PAD src0_sel:WORD_0 src1_sel:DWORD
	v_mul_u32_u24_sdwa v83, v19, s87 dst_sel:DWORD dst_unused:UNUSED_PAD src0_sel:WORD_1 src1_sel:DWORD
	;; [unrolled: 2-line block ×3, first 2 shown]
	s_waitcnt lgkmcnt(1)
	v_mul_u32_u24_sdwa v89, v64, s87 dst_sel:DWORD dst_unused:UNUSED_PAD src0_sel:WORD_0 src1_sel:DWORD
	v_mul_u32_u24_sdwa v18, v64, s87 dst_sel:DWORD dst_unused:UNUSED_PAD src0_sel:WORD_1 src1_sel:DWORD
	v_mul_u32_u24_sdwa v19, v65, s87 dst_sel:DWORD dst_unused:UNUSED_PAD src0_sel:WORD_0 src1_sel:DWORD
	v_mul_u32_u24_sdwa v20, v65, s87 dst_sel:DWORD dst_unused:UNUSED_PAD src0_sel:WORD_1 src1_sel:DWORD
	s_waitcnt lgkmcnt(0)
	v_pk_fma_f16 v64, v8, v82, v72
	v_pk_fma_f16 v65, v9, v82, v73
	;; [unrolled: 1-line block ×16, first 2 shown]
	v_mul_u32_u24_sdwa v87, v21, s87 dst_sel:DWORD dst_unused:UNUSED_PAD src0_sel:WORD_0 src1_sel:DWORD
	v_mul_u32_u24_sdwa v88, v21, s87 dst_sel:DWORD dst_unused:UNUSED_PAD src0_sel:WORD_1 src1_sel:DWORD
	v_mul_u32_u24_sdwa v21, v66, s87 dst_sel:DWORD dst_unused:UNUSED_PAD src0_sel:WORD_0 src1_sel:DWORD
	v_mul_u32_u24_sdwa v14, v66, s87 dst_sel:DWORD dst_unused:UNUSED_PAD src0_sel:WORD_1 src1_sel:DWORD
	;; [unrolled: 2-line block ×3, first 2 shown]
	v_pk_fma_f16 v74, v10, v95, v64
	v_pk_fma_f16 v75, v11, v95, v65
	ds_read_b128 v[64:67], v57 offset:160
	v_pk_fma_f16 v26, v10, v22, v26
	v_pk_fma_f16 v63, v10, v23, v63
	;; [unrolled: 1-line block ×8, first 2 shown]
	ds_read_b128 v[22:25], v57 offset:176
	v_pk_fma_f16 v46, v10, v17, v46
	v_pk_fma_f16 v17, v11, v17, v70
	;; [unrolled: 1-line block ×6, first 2 shown]
	ds_read2_b64 v[8:11], v62 offset1:32
	s_waitcnt lgkmcnt(1)
	v_mul_u32_u24_sdwa v82, v22, s87 dst_sel:DWORD dst_unused:UNUSED_PAD src0_sel:WORD_0 src1_sel:DWORD
	v_mul_u32_u24_sdwa v86, v22, s87 dst_sel:DWORD dst_unused:UNUSED_PAD src0_sel:WORD_1 src1_sel:DWORD
	v_mul_u32_u24_sdwa v90, v23, s87 dst_sel:DWORD dst_unused:UNUSED_PAD src0_sel:WORD_0 src1_sel:DWORD
	v_mul_u32_u24_sdwa v91, v23, s87 dst_sel:DWORD dst_unused:UNUSED_PAD src0_sel:WORD_1 src1_sel:DWORD
	s_waitcnt lgkmcnt(0)
	v_pk_fma_f16 v22, v8, v76, v74
	v_pk_fma_f16 v23, v9, v76, v75
	v_mul_u32_u24_sdwa v92, v24, s87 dst_sel:DWORD dst_unused:UNUSED_PAD src0_sel:WORD_0 src1_sel:DWORD
	v_mul_u32_u24_sdwa v93, v24, s87 dst_sel:DWORD dst_unused:UNUSED_PAD src0_sel:WORD_1 src1_sel:DWORD
	v_mul_u32_u24_sdwa v94, v25, s87 dst_sel:DWORD dst_unused:UNUSED_PAD src0_sel:WORD_0 src1_sel:DWORD
	v_mul_u32_u24_sdwa v95, v25, s87 dst_sel:DWORD dst_unused:UNUSED_PAD src0_sel:WORD_1 src1_sel:DWORD
	v_pk_fma_f16 v26, v8, v77, v26
	v_pk_fma_f16 v27, v9, v77, v27
	;; [unrolled: 1-line block ×16, first 2 shown]
	ds_read_b128 v[22:25], v57 offset:192
	v_pk_fma_f16 v26, v10, v18, v26
	v_pk_fma_f16 v63, v10, v19, v63
	;; [unrolled: 1-line block ×8, first 2 shown]
	ds_read_b128 v[16:19], v57 offset:208
	v_pk_fma_f16 v46, v10, v14, v46
	v_pk_fma_f16 v68, v11, v14, v71
	s_waitcnt lgkmcnt(1)
	v_mul_u32_u24_sdwa v69, v22, s87 dst_sel:DWORD dst_unused:UNUSED_PAD src0_sel:WORD_0 src1_sel:DWORD
	v_pk_fma_f16 v47, v10, v13, v47
	v_pk_fma_f16 v71, v11, v13, v74
	v_mul_u32_u24_sdwa v74, v22, s87 dst_sel:DWORD dst_unused:UNUSED_PAD src0_sel:WORD_1 src1_sel:DWORD
	v_pk_fma_f16 v22, v10, v12, v8
	v_pk_fma_f16 v76, v11, v12, v9
	ds_read2_b64 v[8:11], v62 offset0:64 offset1:96
	v_mul_u32_u24_sdwa v70, v64, s87 dst_sel:DWORD dst_unused:UNUSED_PAD src0_sel:WORD_0 src1_sel:DWORD
	v_mul_u32_u24_sdwa v64, v64, s87 dst_sel:DWORD dst_unused:UNUSED_PAD src0_sel:WORD_1 src1_sel:DWORD
	v_mul_u32_u24_sdwa v78, v65, s87 dst_sel:DWORD dst_unused:UNUSED_PAD src0_sel:WORD_0 src1_sel:DWORD
	v_mul_u32_u24_sdwa v65, v65, s87 dst_sel:DWORD dst_unused:UNUSED_PAD src0_sel:WORD_1 src1_sel:DWORD
	;; [unrolled: 2-line block ×4, first 2 shown]
	s_waitcnt lgkmcnt(1)
	v_mul_u32_u24_sdwa v85, v16, s87 dst_sel:DWORD dst_unused:UNUSED_PAD src0_sel:WORD_0 src1_sel:DWORD
	v_mul_u32_u24_sdwa v87, v16, s87 dst_sel:DWORD dst_unused:UNUSED_PAD src0_sel:WORD_1 src1_sel:DWORD
	s_waitcnt lgkmcnt(0)
	v_pk_fma_f16 v16, v9, v70, v75
	v_mul_u32_u24_sdwa v77, v23, s87 dst_sel:DWORD dst_unused:UNUSED_PAD src0_sel:WORD_0 src1_sel:DWORD
	v_mul_u32_u24_sdwa v80, v23, s87 dst_sel:DWORD dst_unused:UNUSED_PAD src0_sel:WORD_1 src1_sel:DWORD
	v_mul_u32_u24_sdwa v88, v17, s87 dst_sel:DWORD dst_unused:UNUSED_PAD src0_sel:WORD_0 src1_sel:DWORD
	v_mul_u32_u24_sdwa v89, v17, s87 dst_sel:DWORD dst_unused:UNUSED_PAD src0_sel:WORD_1 src1_sel:DWORD
	;; [unrolled: 2-line block ×4, first 2 shown]
	v_pk_fma_f16 v15, v8, v70, v15
	v_pk_fma_f16 v23, v8, v64, v26
	;; [unrolled: 1-line block ×16, first 2 shown]
	ds_read_b128 v[16:19], v57 offset:224
	v_pk_fma_f16 v15, v10, v82, v15
	v_pk_fma_f16 v68, v10, v86, v23
	;; [unrolled: 1-line block ×9, first 2 shown]
	ds_read_b128 v[20:23], v57 offset:240
	v_pk_fma_f16 v46, v10, v93, v46
	v_pk_fma_f16 v65, v11, v93, v65
	s_waitcnt lgkmcnt(1)
	v_mul_u32_u24_sdwa v72, v16, s87 dst_sel:DWORD dst_unused:UNUSED_PAD src0_sel:WORD_0 src1_sel:DWORD
	v_pk_fma_f16 v47, v10, v94, v47
	v_pk_fma_f16 v66, v11, v94, v66
	v_mul_u32_u24_sdwa v73, v16, s87 dst_sel:DWORD dst_unused:UNUSED_PAD src0_sel:WORD_1 src1_sel:DWORD
	v_pk_fma_f16 v16, v10, v95, v8
	v_pk_fma_f16 v75, v11, v95, v9
	ds_read2_b64 v[8:11], v62 offset0:128 offset1:160
	v_mul_u32_u24_sdwa v83, v24, s87 dst_sel:DWORD dst_unused:UNUSED_PAD src0_sel:WORD_0 src1_sel:DWORD
	v_mul_u32_u24_sdwa v24, v24, s87 dst_sel:DWORD dst_unused:UNUSED_PAD src0_sel:WORD_1 src1_sel:DWORD
	v_mul_u32_u24_sdwa v84, v25, s87 dst_sel:DWORD dst_unused:UNUSED_PAD src0_sel:WORD_0 src1_sel:DWORD
	v_mul_u32_u24_sdwa v25, v25, s87 dst_sel:DWORD dst_unused:UNUSED_PAD src0_sel:WORD_1 src1_sel:DWORD
	;; [unrolled: 2-line block ×5, first 2 shown]
	s_waitcnt lgkmcnt(1)
	v_mul_u32_u24_sdwa v90, v20, s87 dst_sel:DWORD dst_unused:UNUSED_PAD src0_sel:WORD_0 src1_sel:DWORD
	v_mul_u32_u24_sdwa v91, v20, s87 dst_sel:DWORD dst_unused:UNUSED_PAD src0_sel:WORD_1 src1_sel:DWORD
	v_mul_u32_u24_sdwa v92, v21, s87 dst_sel:DWORD dst_unused:UNUSED_PAD src0_sel:WORD_0 src1_sel:DWORD
	v_mul_u32_u24_sdwa v93, v21, s87 dst_sel:DWORD dst_unused:UNUSED_PAD src0_sel:WORD_1 src1_sel:DWORD
	;; [unrolled: 2-line block ×4, first 2 shown]
	s_waitcnt lgkmcnt(0)
	v_pk_fma_f16 v17, v9, v69, v67
	v_pk_fma_f16 v18, v8, v74, v68
	;; [unrolled: 1-line block ×5, first 2 shown]
	v_lshl_add_u64 v[20:21], s[4:5], 2, v[42:43]
	v_pk_fma_f16 v15, v8, v69, v15
	v_pk_fma_f16 v26, v8, v80, v64
	;; [unrolled: 1-line block ×16, first 2 shown]
	ds_read2_b64 v[16:19], v62 offset0:192 offset1:224
	s_waitcnt lgkmcnt(0)
	s_barrier
	global_load_dwordx4 v[20:23], v[20:21], off
	v_pk_fma_f16 v15, v10, v85, v15
	v_pk_fma_f16 v26, v10, v89, v26
	;; [unrolled: 1-line block ×43, first 2 shown]
	s_or_b32 s4, s2, 32
	s_mul_hi_i32 s5, s4, s76
	s_mul_i32 s4, s4, s76
	s_waitcnt vmcnt(0)
	ds_write_b128 v58, v[20:23]
	s_waitcnt lgkmcnt(0)
	s_barrier
	ds_read_b128 v[8:11], v57 offset:256
	ds_read_b128 v[12:15], v57 offset:272
	;; [unrolled: 1-line block ×4, first 2 shown]
	s_waitcnt lgkmcnt(3)
	v_mul_u32_u24_sdwa v72, v8, s87 dst_sel:DWORD dst_unused:UNUSED_PAD src0_sel:WORD_0 src1_sel:DWORD
	v_mul_u32_u24_sdwa v73, v8, s87 dst_sel:DWORD dst_unused:UNUSED_PAD src0_sel:WORD_1 src1_sel:DWORD
	v_mul_u32_u24_sdwa v74, v9, s87 dst_sel:DWORD dst_unused:UNUSED_PAD src0_sel:WORD_0 src1_sel:DWORD
	v_mul_u32_u24_sdwa v75, v9, s87 dst_sel:DWORD dst_unused:UNUSED_PAD src0_sel:WORD_1 src1_sel:DWORD
	;; [unrolled: 2-line block ×4, first 2 shown]
	ds_read2_b64 v[8:11], v59 offset1:32
	s_waitcnt lgkmcnt(3)
	v_mul_u32_u24_sdwa v80, v12, s87 dst_sel:DWORD dst_unused:UNUSED_PAD src0_sel:WORD_0 src1_sel:DWORD
	v_mul_u32_u24_sdwa v84, v14, s87 dst_sel:DWORD dst_unused:UNUSED_PAD src0_sel:WORD_0 src1_sel:DWORD
	v_mul_u32_u24_sdwa v85, v14, s87 dst_sel:DWORD dst_unused:UNUSED_PAD src0_sel:WORD_1 src1_sel:DWORD
	v_mul_u32_u24_sdwa v86, v15, s87 dst_sel:DWORD dst_unused:UNUSED_PAD src0_sel:WORD_0 src1_sel:DWORD
	v_mul_u32_u24_sdwa v87, v15, s87 dst_sel:DWORD dst_unused:UNUSED_PAD src0_sel:WORD_1 src1_sel:DWORD
	s_waitcnt lgkmcnt(0)
	v_pk_fma_f16 v14, v8, v72, v63
	v_pk_fma_f16 v15, v9, v72, v68
	v_mul_u32_u24_sdwa v88, v16, s87 dst_sel:DWORD dst_unused:UNUSED_PAD src0_sel:WORD_0 src1_sel:DWORD
	v_mul_u32_u24_sdwa v89, v16, s87 dst_sel:DWORD dst_unused:UNUSED_PAD src0_sel:WORD_1 src1_sel:DWORD
	v_mul_u32_u24_sdwa v90, v17, s87 dst_sel:DWORD dst_unused:UNUSED_PAD src0_sel:WORD_0 src1_sel:DWORD
	v_mul_u32_u24_sdwa v91, v17, s87 dst_sel:DWORD dst_unused:UNUSED_PAD src0_sel:WORD_1 src1_sel:DWORD
	;; [unrolled: 2-line block ×3, first 2 shown]
	v_pk_fma_f16 v18, v8, v73, v64
	v_pk_fma_f16 v63, v10, v80, v14
	;; [unrolled: 1-line block ×3, first 2 shown]
	ds_read_b128 v[14:17], v57 offset:320
	v_mul_u32_u24_sdwa v81, v12, s87 dst_sel:DWORD dst_unused:UNUSED_PAD src0_sel:WORD_1 src1_sel:DWORD
	v_mul_u32_u24_sdwa v82, v13, s87 dst_sel:DWORD dst_unused:UNUSED_PAD src0_sel:WORD_0 src1_sel:DWORD
	v_mul_u32_u24_sdwa v83, v13, s87 dst_sel:DWORD dst_unused:UNUSED_PAD src0_sel:WORD_1 src1_sel:DWORD
	v_mul_u32_u24_sdwa v94, v19, s87 dst_sel:DWORD dst_unused:UNUSED_PAD src0_sel:WORD_0 src1_sel:DWORD
	;; [unrolled: 2-line block ×5, first 2 shown]
	v_mul_u32_u24_sdwa v12, v23, s87 dst_sel:DWORD dst_unused:UNUSED_PAD src0_sel:WORD_1 src1_sel:DWORD
	v_pk_fma_f16 v19, v9, v73, v45
	v_pk_fma_f16 v20, v8, v74, v65
	;; [unrolled: 1-line block ×21, first 2 shown]
	ds_read_b128 v[18:21], v57 offset:336
	v_pk_fma_f16 v25, v10, v85, v25
	v_pk_fma_f16 v46, v11, v85, v46
	s_waitcnt lgkmcnt(1)
	v_mul_u32_u24_sdwa v69, v14, s87 dst_sel:DWORD dst_unused:UNUSED_PAD src0_sel:WORD_0 src1_sel:DWORD
	v_pk_fma_f16 v26, v10, v86, v26
	v_pk_fma_f16 v47, v11, v86, v47
	v_mul_u32_u24_sdwa v70, v14, s87 dst_sel:DWORD dst_unused:UNUSED_PAD src0_sel:WORD_1 src1_sel:DWORD
	v_pk_fma_f16 v14, v10, v87, v8
	v_pk_fma_f16 v71, v11, v87, v9
	ds_read2_b64 v[8:11], v59 offset0:64 offset1:96
	v_mul_u32_u24_sdwa v72, v15, s87 dst_sel:DWORD dst_unused:UNUSED_PAD src0_sel:WORD_0 src1_sel:DWORD
	v_mul_u32_u24_sdwa v73, v15, s87 dst_sel:DWORD dst_unused:UNUSED_PAD src0_sel:WORD_1 src1_sel:DWORD
	v_mul_u32_u24_sdwa v74, v16, s87 dst_sel:DWORD dst_unused:UNUSED_PAD src0_sel:WORD_0 src1_sel:DWORD
	v_mul_u32_u24_sdwa v75, v16, s87 dst_sel:DWORD dst_unused:UNUSED_PAD src0_sel:WORD_1 src1_sel:DWORD
	s_waitcnt lgkmcnt(0)
	v_pk_fma_f16 v15, v8, v88, v63
	v_pk_fma_f16 v16, v9, v88, v64
	v_mul_u32_u24_sdwa v76, v17, s87 dst_sel:DWORD dst_unused:UNUSED_PAD src0_sel:WORD_0 src1_sel:DWORD
	v_mul_u32_u24_sdwa v77, v17, s87 dst_sel:DWORD dst_unused:UNUSED_PAD src0_sel:WORD_1 src1_sel:DWORD
	v_mul_u32_u24_sdwa v78, v18, s87 dst_sel:DWORD dst_unused:UNUSED_PAD src0_sel:WORD_0 src1_sel:DWORD
	v_mul_u32_u24_sdwa v79, v18, s87 dst_sel:DWORD dst_unused:UNUSED_PAD src0_sel:WORD_1 src1_sel:DWORD
	;; [unrolled: 2-line block ×3, first 2 shown]
	v_pk_fma_f16 v18, v8, v89, v65
	v_pk_fma_f16 v20, v8, v90, v66
	v_pk_fma_f16 v23, v8, v91, v23
	v_pk_fma_f16 v24, v8, v92, v24
	v_pk_fma_f16 v25, v8, v93, v25
	v_pk_fma_f16 v26, v8, v94, v26
	v_pk_fma_f16 v8, v8, v95, v14
	v_pk_fma_f16 v63, v10, v96, v15
	v_pk_fma_f16 v64, v11, v96, v16
	ds_read_b128 v[14:17], v57 offset:352
	v_mul_u32_u24_sdwa v100, v22, s87 dst_sel:DWORD dst_unused:UNUSED_PAD src0_sel:WORD_0 src1_sel:DWORD
	v_mul_u32_u24_sdwa v22, v22, s87 dst_sel:DWORD dst_unused:UNUSED_PAD src0_sel:WORD_1 src1_sel:DWORD
	v_mul_u32_u24_sdwa v80, v19, s87 dst_sel:DWORD dst_unused:UNUSED_PAD src0_sel:WORD_0 src1_sel:DWORD
	v_mul_u32_u24_sdwa v81, v19, s87 dst_sel:DWORD dst_unused:UNUSED_PAD src0_sel:WORD_1 src1_sel:DWORD
	;; [unrolled: 2-line block ×3, first 2 shown]
	v_pk_fma_f16 v19, v9, v89, v67
	v_pk_fma_f16 v21, v9, v90, v68
	;; [unrolled: 1-line block ×15, first 2 shown]
	ds_read_b128 v[18:21], v57 offset:368
	v_pk_fma_f16 v25, v10, v22, v25
	v_pk_fma_f16 v22, v11, v22, v46
	s_waitcnt lgkmcnt(1)
	v_mul_u32_u24_sdwa v46, v14, s87 dst_sel:DWORD dst_unused:UNUSED_PAD src0_sel:WORD_0 src1_sel:DWORD
	v_pk_fma_f16 v26, v10, v13, v26
	v_pk_fma_f16 v13, v11, v13, v47
	v_mul_u32_u24_sdwa v47, v14, s87 dst_sel:DWORD dst_unused:UNUSED_PAD src0_sel:WORD_1 src1_sel:DWORD
	v_pk_fma_f16 v14, v10, v12, v8
	v_pk_fma_f16 v12, v11, v12, v9
	ds_read2_b64 v[8:11], v59 offset0:128 offset1:160
	v_mul_u32_u24_sdwa v71, v15, s87 dst_sel:DWORD dst_unused:UNUSED_PAD src0_sel:WORD_0 src1_sel:DWORD
	v_mul_u32_u24_sdwa v86, v15, s87 dst_sel:DWORD dst_unused:UNUSED_PAD src0_sel:WORD_1 src1_sel:DWORD
	v_mul_u32_u24_sdwa v87, v16, s87 dst_sel:DWORD dst_unused:UNUSED_PAD src0_sel:WORD_0 src1_sel:DWORD
	v_mul_u32_u24_sdwa v88, v16, s87 dst_sel:DWORD dst_unused:UNUSED_PAD src0_sel:WORD_1 src1_sel:DWORD
	s_waitcnt lgkmcnt(0)
	v_pk_fma_f16 v15, v8, v69, v63
	v_mul_u32_u24_sdwa v89, v17, s87 dst_sel:DWORD dst_unused:UNUSED_PAD src0_sel:WORD_0 src1_sel:DWORD
	v_mul_u32_u24_sdwa v90, v17, s87 dst_sel:DWORD dst_unused:UNUSED_PAD src0_sel:WORD_1 src1_sel:DWORD
	v_mul_u32_u24_sdwa v91, v18, s87 dst_sel:DWORD dst_unused:UNUSED_PAD src0_sel:WORD_0 src1_sel:DWORD
	v_mul_u32_u24_sdwa v92, v18, s87 dst_sel:DWORD dst_unused:UNUSED_PAD src0_sel:WORD_1 src1_sel:DWORD
	;; [unrolled: 2-line block ×3, first 2 shown]
	v_pk_fma_f16 v16, v9, v69, v64
	v_pk_fma_f16 v17, v8, v70, v65
	;; [unrolled: 1-line block ×16, first 2 shown]
	ds_read_b128 v[12:15], v57 offset:384
	v_pk_fma_f16 v66, v11, v78, v16
	v_pk_fma_f16 v67, v10, v79, v17
	;; [unrolled: 1-line block ×9, first 2 shown]
	ds_read_b128 v[16:19], v57 offset:400
	v_pk_fma_f16 v25, v10, v83, v25
	v_pk_fma_f16 v22, v11, v83, v22
	s_waitcnt lgkmcnt(1)
	v_mul_u32_u24_sdwa v70, v12, s87 dst_sel:DWORD dst_unused:UNUSED_PAD src0_sel:WORD_0 src1_sel:DWORD
	v_pk_fma_f16 v26, v10, v84, v26
	v_pk_fma_f16 v64, v11, v84, v64
	v_mul_u32_u24_sdwa v72, v12, s87 dst_sel:DWORD dst_unused:UNUSED_PAD src0_sel:WORD_1 src1_sel:DWORD
	v_pk_fma_f16 v12, v10, v85, v8
	v_pk_fma_f16 v73, v11, v85, v9
	ds_read2_b64 v[8:11], v59 offset0:192 offset1:224
	v_mul_u32_u24_sdwa v74, v13, s87 dst_sel:DWORD dst_unused:UNUSED_PAD src0_sel:WORD_0 src1_sel:DWORD
	v_mul_u32_u24_sdwa v75, v13, s87 dst_sel:DWORD dst_unused:UNUSED_PAD src0_sel:WORD_1 src1_sel:DWORD
	v_mul_u32_u24_sdwa v76, v14, s87 dst_sel:DWORD dst_unused:UNUSED_PAD src0_sel:WORD_0 src1_sel:DWORD
	v_mul_u32_u24_sdwa v77, v14, s87 dst_sel:DWORD dst_unused:UNUSED_PAD src0_sel:WORD_1 src1_sel:DWORD
	s_waitcnt lgkmcnt(0)
	v_pk_fma_f16 v13, v8, v46, v65
	v_pk_fma_f16 v14, v9, v46, v66
	v_mul_u32_u24_sdwa v78, v15, s87 dst_sel:DWORD dst_unused:UNUSED_PAD src0_sel:WORD_0 src1_sel:DWORD
	v_mul_u32_u24_sdwa v79, v15, s87 dst_sel:DWORD dst_unused:UNUSED_PAD src0_sel:WORD_1 src1_sel:DWORD
	v_mul_u32_u24_sdwa v80, v16, s87 dst_sel:DWORD dst_unused:UNUSED_PAD src0_sel:WORD_0 src1_sel:DWORD
	v_mul_u32_u24_sdwa v81, v16, s87 dst_sel:DWORD dst_unused:UNUSED_PAD src0_sel:WORD_1 src1_sel:DWORD
	;; [unrolled: 2-line block ×5, first 2 shown]
	v_pk_fma_f16 v16, v8, v47, v67
	v_pk_fma_f16 v17, v9, v47, v69
	;; [unrolled: 1-line block ×11, first 2 shown]
	ds_read_b128 v[12:15], v57 offset:416
	v_mul_u32_u24_sdwa v95, v20, s87 dst_sel:DWORD dst_unused:UNUSED_PAD src0_sel:WORD_0 src1_sel:DWORD
	v_mul_u32_u24_sdwa v20, v20, s87 dst_sel:DWORD dst_unused:UNUSED_PAD src0_sel:WORD_1 src1_sel:DWORD
	v_mul_u32_u24_sdwa v96, v21, s87 dst_sel:DWORD dst_unused:UNUSED_PAD src0_sel:WORD_0 src1_sel:DWORD
	v_mul_u32_u24_sdwa v21, v21, s87 dst_sel:DWORD dst_unused:UNUSED_PAD src0_sel:WORD_1 src1_sel:DWORD
	v_pk_fma_f16 v27, v9, v86, v27
	v_pk_fma_f16 v45, v9, v87, v45
	;; [unrolled: 1-line block ×13, first 2 shown]
	ds_read_b128 v[16:19], v57 offset:432
	v_pk_fma_f16 v25, v10, v20, v25
	v_pk_fma_f16 v20, v11, v20, v22
	s_waitcnt lgkmcnt(1)
	v_mul_u32_u24_sdwa v22, v12, s87 dst_sel:DWORD dst_unused:UNUSED_PAD src0_sel:WORD_0 src1_sel:DWORD
	v_pk_fma_f16 v26, v10, v96, v26
	v_pk_fma_f16 v46, v11, v96, v46
	v_mul_u32_u24_sdwa v68, v12, s87 dst_sel:DWORD dst_unused:UNUSED_PAD src0_sel:WORD_1 src1_sel:DWORD
	v_pk_fma_f16 v12, v10, v21, v8
	v_pk_fma_f16 v21, v11, v21, v9
	ds_read2_b64 v[8:11], v62 offset1:32
	v_mul_u32_u24_sdwa v69, v13, s87 dst_sel:DWORD dst_unused:UNUSED_PAD src0_sel:WORD_0 src1_sel:DWORD
	v_mul_u32_u24_sdwa v71, v13, s87 dst_sel:DWORD dst_unused:UNUSED_PAD src0_sel:WORD_1 src1_sel:DWORD
	v_mul_u32_u24_sdwa v73, v14, s87 dst_sel:DWORD dst_unused:UNUSED_PAD src0_sel:WORD_0 src1_sel:DWORD
	v_mul_u32_u24_sdwa v86, v14, s87 dst_sel:DWORD dst_unused:UNUSED_PAD src0_sel:WORD_1 src1_sel:DWORD
	s_waitcnt lgkmcnt(1)
	v_mul_u32_u24_sdwa v89, v16, s87 dst_sel:DWORD dst_unused:UNUSED_PAD src0_sel:WORD_0 src1_sel:DWORD
	v_mul_u32_u24_sdwa v90, v16, s87 dst_sel:DWORD dst_unused:UNUSED_PAD src0_sel:WORD_1 src1_sel:DWORD
	v_mul_u32_u24_sdwa v91, v17, s87 dst_sel:DWORD dst_unused:UNUSED_PAD src0_sel:WORD_0 src1_sel:DWORD
	v_mul_u32_u24_sdwa v92, v17, s87 dst_sel:DWORD dst_unused:UNUSED_PAD src0_sel:WORD_1 src1_sel:DWORD
	;; [unrolled: 2-line block ×4, first 2 shown]
	s_waitcnt lgkmcnt(0)
	v_pk_fma_f16 v13, v8, v70, v47
	v_pk_fma_f16 v14, v9, v70, v63
	;; [unrolled: 1-line block ×16, first 2 shown]
	v_mul_u32_u24_sdwa v87, v15, s87 dst_sel:DWORD dst_unused:UNUSED_PAD src0_sel:WORD_0 src1_sel:DWORD
	v_mul_u32_u24_sdwa v88, v15, s87 dst_sel:DWORD dst_unused:UNUSED_PAD src0_sel:WORD_1 src1_sel:DWORD
	v_pk_fma_f16 v21, v10, v80, v13
	v_pk_fma_f16 v47, v11, v80, v14
	ds_read_b128 v[12:15], v57 offset:448
	v_pk_fma_f16 v63, v10, v81, v16
	v_pk_fma_f16 v64, v10, v82, v18
	;; [unrolled: 1-line block ×8, first 2 shown]
	ds_read_b128 v[16:19], v57 offset:464
	v_pk_fma_f16 v25, v10, v85, v25
	v_pk_fma_f16 v20, v11, v85, v20
	;; [unrolled: 1-line block ×6, first 2 shown]
	ds_read2_b64 v[8:11], v62 offset0:64 offset1:96
	s_waitcnt lgkmcnt(1)
	v_mul_u32_u24_sdwa v80, v16, s87 dst_sel:DWORD dst_unused:UNUSED_PAD src0_sel:WORD_0 src1_sel:DWORD
	v_mul_u32_u24_sdwa v81, v16, s87 dst_sel:DWORD dst_unused:UNUSED_PAD src0_sel:WORD_1 src1_sel:DWORD
	v_mul_u32_u24_sdwa v82, v17, s87 dst_sel:DWORD dst_unused:UNUSED_PAD src0_sel:WORD_0 src1_sel:DWORD
	v_mul_u32_u24_sdwa v83, v17, s87 dst_sel:DWORD dst_unused:UNUSED_PAD src0_sel:WORD_1 src1_sel:DWORD
	s_waitcnt lgkmcnt(0)
	v_pk_fma_f16 v16, v8, v22, v21
	v_pk_fma_f16 v17, v9, v22, v47
	v_mul_u32_u24_sdwa v67, v12, s87 dst_sel:DWORD dst_unused:UNUSED_PAD src0_sel:WORD_0 src1_sel:DWORD
	v_mul_u32_u24_sdwa v70, v12, s87 dst_sel:DWORD dst_unused:UNUSED_PAD src0_sel:WORD_1 src1_sel:DWORD
	v_mul_u32_u24_sdwa v75, v13, s87 dst_sel:DWORD dst_unused:UNUSED_PAD src0_sel:WORD_0 src1_sel:DWORD
	v_mul_u32_u24_sdwa v76, v13, s87 dst_sel:DWORD dst_unused:UNUSED_PAD src0_sel:WORD_1 src1_sel:DWORD
	;; [unrolled: 2-line block ×5, first 2 shown]
	v_pk_fma_f16 v21, v8, v68, v63
	v_pk_fma_f16 v22, v9, v68, v65
	;; [unrolled: 1-line block ×5, first 2 shown]
	ds_read_b128 v[16:19], v57 offset:480
	v_pk_fma_f16 v47, v8, v69, v64
	v_pk_fma_f16 v23, v8, v71, v23
	;; [unrolled: 1-line block ×19, first 2 shown]
	ds_read_b128 v[20:23], v57 offset:496
	v_pk_fma_f16 v25, v10, v94, v25
	v_pk_fma_f16 v64, v11, v94, v64
	s_waitcnt lgkmcnt(1)
	v_mul_u32_u24_sdwa v72, v16, s87 dst_sel:DWORD dst_unused:UNUSED_PAD src0_sel:WORD_0 src1_sel:DWORD
	v_pk_fma_f16 v26, v10, v95, v26
	v_pk_fma_f16 v46, v11, v95, v46
	v_mul_u32_u24_sdwa v73, v16, s87 dst_sel:DWORD dst_unused:UNUSED_PAD src0_sel:WORD_1 src1_sel:DWORD
	v_pk_fma_f16 v16, v10, v96, v8
	v_pk_fma_f16 v74, v11, v96, v9
	ds_read2_b64 v[8:11], v62 offset0:128 offset1:160
	v_mul_u32_u24_sdwa v79, v15, s87 dst_sel:DWORD dst_unused:UNUSED_PAD src0_sel:WORD_0 src1_sel:DWORD
	v_mul_u32_u24_sdwa v15, v15, s87 dst_sel:DWORD dst_unused:UNUSED_PAD src0_sel:WORD_1 src1_sel:DWORD
	v_mul_u32_u24_sdwa v85, v17, s87 dst_sel:DWORD dst_unused:UNUSED_PAD src0_sel:WORD_0 src1_sel:DWORD
	v_mul_u32_u24_sdwa v86, v17, s87 dst_sel:DWORD dst_unused:UNUSED_PAD src0_sel:WORD_1 src1_sel:DWORD
	;; [unrolled: 2-line block ×4, first 2 shown]
	s_waitcnt lgkmcnt(1)
	v_mul_u32_u24_sdwa v91, v20, s87 dst_sel:DWORD dst_unused:UNUSED_PAD src0_sel:WORD_0 src1_sel:DWORD
	v_mul_u32_u24_sdwa v92, v20, s87 dst_sel:DWORD dst_unused:UNUSED_PAD src0_sel:WORD_1 src1_sel:DWORD
	v_mul_u32_u24_sdwa v93, v21, s87 dst_sel:DWORD dst_unused:UNUSED_PAD src0_sel:WORD_0 src1_sel:DWORD
	v_mul_u32_u24_sdwa v94, v21, s87 dst_sel:DWORD dst_unused:UNUSED_PAD src0_sel:WORD_1 src1_sel:DWORD
	;; [unrolled: 2-line block ×4, first 2 shown]
	s_waitcnt lgkmcnt(0)
	v_pk_fma_f16 v17, v8, v67, v65
	v_pk_fma_f16 v18, v9, v67, v66
	;; [unrolled: 1-line block ×5, first 2 shown]
	v_lshl_add_u64 v[20:21], s[4:5], 2, v[42:43]
	v_pk_fma_f16 v47, v9, v75, v63
	v_pk_fma_f16 v63, v8, v76, v69
	;; [unrolled: 1-line block ×16, first 2 shown]
	ds_read2_b64 v[16:19], v62 offset0:192 offset1:224
	s_waitcnt lgkmcnt(0)
	s_barrier
	global_load_dwordx4 v[20:23], v[20:21], off
	v_pk_fma_f16 v47, v11, v82, v47
	v_pk_fma_f16 v63, v10, v83, v63
	;; [unrolled: 1-line block ×43, first 2 shown]
	s_or_b32 s4, s2, 48
	s_mul_hi_i32 s5, s4, s76
	s_mul_i32 s4, s4, s76
	s_waitcnt vmcnt(0)
	ds_write_b128 v58, v[20:23]
	s_waitcnt lgkmcnt(0)
	s_barrier
	ds_read_b128 v[8:11], v57 offset:512
	ds_read_b128 v[12:15], v57 offset:528
	;; [unrolled: 1-line block ×4, first 2 shown]
	s_waitcnt lgkmcnt(3)
	v_mul_u32_u24_sdwa v72, v8, s87 dst_sel:DWORD dst_unused:UNUSED_PAD src0_sel:WORD_0 src1_sel:DWORD
	v_mul_u32_u24_sdwa v73, v8, s87 dst_sel:DWORD dst_unused:UNUSED_PAD src0_sel:WORD_1 src1_sel:DWORD
	v_mul_u32_u24_sdwa v74, v9, s87 dst_sel:DWORD dst_unused:UNUSED_PAD src0_sel:WORD_0 src1_sel:DWORD
	v_mul_u32_u24_sdwa v75, v9, s87 dst_sel:DWORD dst_unused:UNUSED_PAD src0_sel:WORD_1 src1_sel:DWORD
	;; [unrolled: 2-line block ×4, first 2 shown]
	ds_read2_b64 v[8:11], v59 offset1:32
	s_waitcnt lgkmcnt(3)
	v_mul_u32_u24_sdwa v80, v12, s87 dst_sel:DWORD dst_unused:UNUSED_PAD src0_sel:WORD_0 src1_sel:DWORD
	v_mul_u32_u24_sdwa v84, v14, s87 dst_sel:DWORD dst_unused:UNUSED_PAD src0_sel:WORD_0 src1_sel:DWORD
	v_mul_u32_u24_sdwa v85, v14, s87 dst_sel:DWORD dst_unused:UNUSED_PAD src0_sel:WORD_1 src1_sel:DWORD
	v_mul_u32_u24_sdwa v86, v15, s87 dst_sel:DWORD dst_unused:UNUSED_PAD src0_sel:WORD_0 src1_sel:DWORD
	v_mul_u32_u24_sdwa v87, v15, s87 dst_sel:DWORD dst_unused:UNUSED_PAD src0_sel:WORD_1 src1_sel:DWORD
	s_waitcnt lgkmcnt(0)
	v_pk_fma_f16 v14, v8, v72, v63
	v_pk_fma_f16 v15, v9, v72, v68
	v_mul_u32_u24_sdwa v88, v16, s87 dst_sel:DWORD dst_unused:UNUSED_PAD src0_sel:WORD_0 src1_sel:DWORD
	v_mul_u32_u24_sdwa v89, v16, s87 dst_sel:DWORD dst_unused:UNUSED_PAD src0_sel:WORD_1 src1_sel:DWORD
	v_mul_u32_u24_sdwa v90, v17, s87 dst_sel:DWORD dst_unused:UNUSED_PAD src0_sel:WORD_0 src1_sel:DWORD
	v_mul_u32_u24_sdwa v91, v17, s87 dst_sel:DWORD dst_unused:UNUSED_PAD src0_sel:WORD_1 src1_sel:DWORD
	v_mul_u32_u24_sdwa v92, v18, s87 dst_sel:DWORD dst_unused:UNUSED_PAD src0_sel:WORD_0 src1_sel:DWORD
	v_mul_u32_u24_sdwa v93, v18, s87 dst_sel:DWORD dst_unused:UNUSED_PAD src0_sel:WORD_1 src1_sel:DWORD
	v_pk_fma_f16 v18, v8, v73, v64
	v_pk_fma_f16 v63, v10, v80, v14
	;; [unrolled: 1-line block ×3, first 2 shown]
	ds_read_b128 v[14:17], v57 offset:576
	v_mul_u32_u24_sdwa v81, v12, s87 dst_sel:DWORD dst_unused:UNUSED_PAD src0_sel:WORD_1 src1_sel:DWORD
	v_mul_u32_u24_sdwa v82, v13, s87 dst_sel:DWORD dst_unused:UNUSED_PAD src0_sel:WORD_0 src1_sel:DWORD
	v_mul_u32_u24_sdwa v83, v13, s87 dst_sel:DWORD dst_unused:UNUSED_PAD src0_sel:WORD_1 src1_sel:DWORD
	v_mul_u32_u24_sdwa v94, v19, s87 dst_sel:DWORD dst_unused:UNUSED_PAD src0_sel:WORD_0 src1_sel:DWORD
	;; [unrolled: 2-line block ×5, first 2 shown]
	v_mul_u32_u24_sdwa v12, v23, s87 dst_sel:DWORD dst_unused:UNUSED_PAD src0_sel:WORD_1 src1_sel:DWORD
	v_pk_fma_f16 v19, v9, v73, v46
	v_pk_fma_f16 v20, v8, v74, v65
	;; [unrolled: 1-line block ×21, first 2 shown]
	ds_read_b128 v[18:21], v57 offset:592
	v_pk_fma_f16 v25, v10, v85, v25
	v_pk_fma_f16 v46, v11, v85, v46
	s_waitcnt lgkmcnt(1)
	v_mul_u32_u24_sdwa v69, v14, s87 dst_sel:DWORD dst_unused:UNUSED_PAD src0_sel:WORD_0 src1_sel:DWORD
	v_pk_fma_f16 v26, v10, v86, v26
	v_pk_fma_f16 v47, v11, v86, v47
	v_mul_u32_u24_sdwa v70, v14, s87 dst_sel:DWORD dst_unused:UNUSED_PAD src0_sel:WORD_1 src1_sel:DWORD
	v_pk_fma_f16 v14, v10, v87, v8
	v_pk_fma_f16 v71, v11, v87, v9
	ds_read2_b64 v[8:11], v59 offset0:64 offset1:96
	v_mul_u32_u24_sdwa v72, v15, s87 dst_sel:DWORD dst_unused:UNUSED_PAD src0_sel:WORD_0 src1_sel:DWORD
	v_mul_u32_u24_sdwa v73, v15, s87 dst_sel:DWORD dst_unused:UNUSED_PAD src0_sel:WORD_1 src1_sel:DWORD
	v_mul_u32_u24_sdwa v74, v16, s87 dst_sel:DWORD dst_unused:UNUSED_PAD src0_sel:WORD_0 src1_sel:DWORD
	v_mul_u32_u24_sdwa v75, v16, s87 dst_sel:DWORD dst_unused:UNUSED_PAD src0_sel:WORD_1 src1_sel:DWORD
	s_waitcnt lgkmcnt(0)
	v_pk_fma_f16 v15, v8, v88, v63
	v_pk_fma_f16 v16, v9, v88, v64
	v_mul_u32_u24_sdwa v76, v17, s87 dst_sel:DWORD dst_unused:UNUSED_PAD src0_sel:WORD_0 src1_sel:DWORD
	v_mul_u32_u24_sdwa v77, v17, s87 dst_sel:DWORD dst_unused:UNUSED_PAD src0_sel:WORD_1 src1_sel:DWORD
	v_mul_u32_u24_sdwa v78, v18, s87 dst_sel:DWORD dst_unused:UNUSED_PAD src0_sel:WORD_0 src1_sel:DWORD
	v_mul_u32_u24_sdwa v79, v18, s87 dst_sel:DWORD dst_unused:UNUSED_PAD src0_sel:WORD_1 src1_sel:DWORD
	;; [unrolled: 2-line block ×3, first 2 shown]
	v_pk_fma_f16 v18, v8, v89, v65
	v_pk_fma_f16 v20, v8, v90, v66
	;; [unrolled: 1-line block ×9, first 2 shown]
	ds_read_b128 v[14:17], v57 offset:608
	v_mul_u32_u24_sdwa v100, v22, s87 dst_sel:DWORD dst_unused:UNUSED_PAD src0_sel:WORD_0 src1_sel:DWORD
	v_mul_u32_u24_sdwa v22, v22, s87 dst_sel:DWORD dst_unused:UNUSED_PAD src0_sel:WORD_1 src1_sel:DWORD
	v_mul_u32_u24_sdwa v80, v19, s87 dst_sel:DWORD dst_unused:UNUSED_PAD src0_sel:WORD_0 src1_sel:DWORD
	v_mul_u32_u24_sdwa v81, v19, s87 dst_sel:DWORD dst_unused:UNUSED_PAD src0_sel:WORD_1 src1_sel:DWORD
	;; [unrolled: 2-line block ×3, first 2 shown]
	v_pk_fma_f16 v19, v9, v89, v67
	v_pk_fma_f16 v21, v9, v90, v68
	;; [unrolled: 1-line block ×15, first 2 shown]
	ds_read_b128 v[18:21], v57 offset:624
	v_pk_fma_f16 v25, v10, v22, v25
	v_pk_fma_f16 v22, v11, v22, v46
	s_waitcnt lgkmcnt(1)
	v_mul_u32_u24_sdwa v46, v14, s87 dst_sel:DWORD dst_unused:UNUSED_PAD src0_sel:WORD_0 src1_sel:DWORD
	v_pk_fma_f16 v26, v10, v13, v26
	v_pk_fma_f16 v13, v11, v13, v47
	v_mul_u32_u24_sdwa v47, v14, s87 dst_sel:DWORD dst_unused:UNUSED_PAD src0_sel:WORD_1 src1_sel:DWORD
	v_pk_fma_f16 v14, v10, v12, v8
	v_pk_fma_f16 v12, v11, v12, v9
	ds_read2_b64 v[8:11], v59 offset0:128 offset1:160
	v_mul_u32_u24_sdwa v71, v15, s87 dst_sel:DWORD dst_unused:UNUSED_PAD src0_sel:WORD_0 src1_sel:DWORD
	v_mul_u32_u24_sdwa v86, v15, s87 dst_sel:DWORD dst_unused:UNUSED_PAD src0_sel:WORD_1 src1_sel:DWORD
	v_mul_u32_u24_sdwa v87, v16, s87 dst_sel:DWORD dst_unused:UNUSED_PAD src0_sel:WORD_0 src1_sel:DWORD
	v_mul_u32_u24_sdwa v88, v16, s87 dst_sel:DWORD dst_unused:UNUSED_PAD src0_sel:WORD_1 src1_sel:DWORD
	s_waitcnt lgkmcnt(0)
	v_pk_fma_f16 v15, v8, v69, v63
	v_mul_u32_u24_sdwa v89, v17, s87 dst_sel:DWORD dst_unused:UNUSED_PAD src0_sel:WORD_0 src1_sel:DWORD
	v_mul_u32_u24_sdwa v90, v17, s87 dst_sel:DWORD dst_unused:UNUSED_PAD src0_sel:WORD_1 src1_sel:DWORD
	v_mul_u32_u24_sdwa v91, v18, s87 dst_sel:DWORD dst_unused:UNUSED_PAD src0_sel:WORD_0 src1_sel:DWORD
	v_mul_u32_u24_sdwa v92, v18, s87 dst_sel:DWORD dst_unused:UNUSED_PAD src0_sel:WORD_1 src1_sel:DWORD
	;; [unrolled: 2-line block ×3, first 2 shown]
	v_pk_fma_f16 v16, v9, v69, v64
	v_pk_fma_f16 v17, v8, v70, v65
	;; [unrolled: 1-line block ×16, first 2 shown]
	ds_read_b128 v[12:15], v57 offset:640
	v_pk_fma_f16 v66, v11, v78, v16
	v_pk_fma_f16 v67, v10, v79, v17
	v_pk_fma_f16 v68, v10, v80, v19
	v_pk_fma_f16 v23, v10, v81, v23
	v_pk_fma_f16 v24, v10, v82, v24
	v_pk_fma_f16 v69, v11, v79, v18
	v_pk_fma_f16 v63, v11, v80, v63
	v_pk_fma_f16 v27, v11, v81, v27
	v_pk_fma_f16 v45, v11, v82, v45
	ds_read_b128 v[16:19], v57 offset:656
	v_pk_fma_f16 v25, v10, v83, v25
	v_pk_fma_f16 v22, v11, v83, v22
	s_waitcnt lgkmcnt(1)
	v_mul_u32_u24_sdwa v70, v12, s87 dst_sel:DWORD dst_unused:UNUSED_PAD src0_sel:WORD_0 src1_sel:DWORD
	v_pk_fma_f16 v26, v10, v84, v26
	v_pk_fma_f16 v64, v11, v84, v64
	v_mul_u32_u24_sdwa v72, v12, s87 dst_sel:DWORD dst_unused:UNUSED_PAD src0_sel:WORD_1 src1_sel:DWORD
	v_pk_fma_f16 v12, v10, v85, v8
	v_pk_fma_f16 v73, v11, v85, v9
	ds_read2_b64 v[8:11], v59 offset0:192 offset1:224
	v_mul_u32_u24_sdwa v74, v13, s87 dst_sel:DWORD dst_unused:UNUSED_PAD src0_sel:WORD_0 src1_sel:DWORD
	v_mul_u32_u24_sdwa v75, v13, s87 dst_sel:DWORD dst_unused:UNUSED_PAD src0_sel:WORD_1 src1_sel:DWORD
	v_mul_u32_u24_sdwa v76, v14, s87 dst_sel:DWORD dst_unused:UNUSED_PAD src0_sel:WORD_0 src1_sel:DWORD
	v_mul_u32_u24_sdwa v77, v14, s87 dst_sel:DWORD dst_unused:UNUSED_PAD src0_sel:WORD_1 src1_sel:DWORD
	s_waitcnt lgkmcnt(0)
	v_pk_fma_f16 v13, v8, v46, v65
	v_pk_fma_f16 v14, v9, v46, v66
	v_mul_u32_u24_sdwa v78, v15, s87 dst_sel:DWORD dst_unused:UNUSED_PAD src0_sel:WORD_0 src1_sel:DWORD
	v_mul_u32_u24_sdwa v79, v15, s87 dst_sel:DWORD dst_unused:UNUSED_PAD src0_sel:WORD_1 src1_sel:DWORD
	v_mul_u32_u24_sdwa v80, v16, s87 dst_sel:DWORD dst_unused:UNUSED_PAD src0_sel:WORD_0 src1_sel:DWORD
	v_mul_u32_u24_sdwa v81, v16, s87 dst_sel:DWORD dst_unused:UNUSED_PAD src0_sel:WORD_1 src1_sel:DWORD
	;; [unrolled: 2-line block ×5, first 2 shown]
	v_pk_fma_f16 v16, v8, v47, v67
	v_pk_fma_f16 v17, v9, v47, v69
	;; [unrolled: 1-line block ×11, first 2 shown]
	ds_read_b128 v[12:15], v57 offset:672
	v_mul_u32_u24_sdwa v95, v20, s87 dst_sel:DWORD dst_unused:UNUSED_PAD src0_sel:WORD_0 src1_sel:DWORD
	v_mul_u32_u24_sdwa v20, v20, s87 dst_sel:DWORD dst_unused:UNUSED_PAD src0_sel:WORD_1 src1_sel:DWORD
	v_mul_u32_u24_sdwa v96, v21, s87 dst_sel:DWORD dst_unused:UNUSED_PAD src0_sel:WORD_0 src1_sel:DWORD
	v_mul_u32_u24_sdwa v21, v21, s87 dst_sel:DWORD dst_unused:UNUSED_PAD src0_sel:WORD_1 src1_sel:DWORD
	v_pk_fma_f16 v27, v9, v86, v27
	v_pk_fma_f16 v45, v9, v87, v45
	;; [unrolled: 1-line block ×13, first 2 shown]
	ds_read_b128 v[16:19], v57 offset:688
	v_pk_fma_f16 v25, v10, v20, v25
	v_pk_fma_f16 v20, v11, v20, v22
	s_waitcnt lgkmcnt(1)
	v_mul_u32_u24_sdwa v22, v12, s87 dst_sel:DWORD dst_unused:UNUSED_PAD src0_sel:WORD_0 src1_sel:DWORD
	v_pk_fma_f16 v26, v10, v96, v26
	v_pk_fma_f16 v46, v11, v96, v46
	v_mul_u32_u24_sdwa v68, v12, s87 dst_sel:DWORD dst_unused:UNUSED_PAD src0_sel:WORD_1 src1_sel:DWORD
	v_pk_fma_f16 v12, v10, v21, v8
	v_pk_fma_f16 v21, v11, v21, v9
	ds_read2_b64 v[8:11], v62 offset1:32
	v_mul_u32_u24_sdwa v69, v13, s87 dst_sel:DWORD dst_unused:UNUSED_PAD src0_sel:WORD_0 src1_sel:DWORD
	v_mul_u32_u24_sdwa v71, v13, s87 dst_sel:DWORD dst_unused:UNUSED_PAD src0_sel:WORD_1 src1_sel:DWORD
	v_mul_u32_u24_sdwa v73, v14, s87 dst_sel:DWORD dst_unused:UNUSED_PAD src0_sel:WORD_0 src1_sel:DWORD
	v_mul_u32_u24_sdwa v86, v14, s87 dst_sel:DWORD dst_unused:UNUSED_PAD src0_sel:WORD_1 src1_sel:DWORD
	s_waitcnt lgkmcnt(1)
	v_mul_u32_u24_sdwa v89, v16, s87 dst_sel:DWORD dst_unused:UNUSED_PAD src0_sel:WORD_0 src1_sel:DWORD
	v_mul_u32_u24_sdwa v90, v16, s87 dst_sel:DWORD dst_unused:UNUSED_PAD src0_sel:WORD_1 src1_sel:DWORD
	v_mul_u32_u24_sdwa v91, v17, s87 dst_sel:DWORD dst_unused:UNUSED_PAD src0_sel:WORD_0 src1_sel:DWORD
	v_mul_u32_u24_sdwa v92, v17, s87 dst_sel:DWORD dst_unused:UNUSED_PAD src0_sel:WORD_1 src1_sel:DWORD
	;; [unrolled: 2-line block ×4, first 2 shown]
	s_waitcnt lgkmcnt(0)
	v_pk_fma_f16 v13, v8, v70, v47
	v_pk_fma_f16 v14, v9, v70, v63
	v_pk_fma_f16 v16, v8, v72, v64
	v_pk_fma_f16 v17, v9, v72, v66
	v_pk_fma_f16 v18, v8, v74, v65
	v_pk_fma_f16 v19, v9, v74, v67
	v_pk_fma_f16 v23, v8, v75, v23
	v_pk_fma_f16 v27, v9, v75, v27
	v_pk_fma_f16 v24, v8, v76, v24
	v_pk_fma_f16 v45, v9, v76, v45
	v_pk_fma_f16 v25, v8, v77, v25
	v_pk_fma_f16 v26, v8, v78, v26
	v_pk_fma_f16 v8, v8, v79, v12
	v_pk_fma_f16 v20, v9, v77, v20
	v_pk_fma_f16 v46, v9, v78, v46
	v_pk_fma_f16 v9, v9, v79, v21
	v_mul_u32_u24_sdwa v87, v15, s87 dst_sel:DWORD dst_unused:UNUSED_PAD src0_sel:WORD_0 src1_sel:DWORD
	v_mul_u32_u24_sdwa v88, v15, s87 dst_sel:DWORD dst_unused:UNUSED_PAD src0_sel:WORD_1 src1_sel:DWORD
	v_pk_fma_f16 v21, v10, v80, v13
	v_pk_fma_f16 v47, v11, v80, v14
	ds_read_b128 v[12:15], v57 offset:704
	v_pk_fma_f16 v63, v10, v81, v16
	v_pk_fma_f16 v64, v10, v82, v18
	;; [unrolled: 1-line block ×8, first 2 shown]
	ds_read_b128 v[16:19], v57 offset:720
	v_pk_fma_f16 v25, v10, v85, v25
	v_pk_fma_f16 v20, v11, v85, v20
	v_pk_fma_f16 v26, v10, v97, v26
	v_pk_fma_f16 v46, v11, v97, v46
	v_pk_fma_f16 v72, v10, v98, v8
	v_pk_fma_f16 v74, v11, v98, v9
	ds_read2_b64 v[8:11], v62 offset0:64 offset1:96
	s_waitcnt lgkmcnt(1)
	v_mul_u32_u24_sdwa v80, v16, s87 dst_sel:DWORD dst_unused:UNUSED_PAD src0_sel:WORD_0 src1_sel:DWORD
	v_mul_u32_u24_sdwa v81, v16, s87 dst_sel:DWORD dst_unused:UNUSED_PAD src0_sel:WORD_1 src1_sel:DWORD
	v_mul_u32_u24_sdwa v82, v17, s87 dst_sel:DWORD dst_unused:UNUSED_PAD src0_sel:WORD_0 src1_sel:DWORD
	v_mul_u32_u24_sdwa v83, v17, s87 dst_sel:DWORD dst_unused:UNUSED_PAD src0_sel:WORD_1 src1_sel:DWORD
	s_waitcnt lgkmcnt(0)
	v_pk_fma_f16 v16, v8, v22, v21
	v_pk_fma_f16 v17, v9, v22, v47
	v_mul_u32_u24_sdwa v67, v12, s87 dst_sel:DWORD dst_unused:UNUSED_PAD src0_sel:WORD_0 src1_sel:DWORD
	v_mul_u32_u24_sdwa v70, v12, s87 dst_sel:DWORD dst_unused:UNUSED_PAD src0_sel:WORD_1 src1_sel:DWORD
	v_mul_u32_u24_sdwa v75, v13, s87 dst_sel:DWORD dst_unused:UNUSED_PAD src0_sel:WORD_0 src1_sel:DWORD
	v_mul_u32_u24_sdwa v76, v13, s87 dst_sel:DWORD dst_unused:UNUSED_PAD src0_sel:WORD_1 src1_sel:DWORD
	;; [unrolled: 2-line block ×5, first 2 shown]
	v_pk_fma_f16 v21, v8, v68, v63
	v_pk_fma_f16 v22, v9, v68, v65
	;; [unrolled: 1-line block ×5, first 2 shown]
	ds_read_b128 v[16:19], v57 offset:736
	v_pk_fma_f16 v47, v8, v69, v64
	v_pk_fma_f16 v23, v8, v71, v23
	;; [unrolled: 1-line block ×19, first 2 shown]
	ds_read_b128 v[20:23], v57 offset:752
	v_pk_fma_f16 v25, v10, v94, v25
	v_pk_fma_f16 v64, v11, v94, v64
	s_waitcnt lgkmcnt(1)
	v_mul_u32_u24_sdwa v72, v16, s87 dst_sel:DWORD dst_unused:UNUSED_PAD src0_sel:WORD_0 src1_sel:DWORD
	v_pk_fma_f16 v26, v10, v95, v26
	v_pk_fma_f16 v46, v11, v95, v46
	v_mul_u32_u24_sdwa v73, v16, s87 dst_sel:DWORD dst_unused:UNUSED_PAD src0_sel:WORD_1 src1_sel:DWORD
	v_pk_fma_f16 v16, v10, v96, v8
	v_pk_fma_f16 v74, v11, v96, v9
	ds_read2_b64 v[8:11], v62 offset0:128 offset1:160
	v_mul_u32_u24_sdwa v79, v15, s87 dst_sel:DWORD dst_unused:UNUSED_PAD src0_sel:WORD_0 src1_sel:DWORD
	v_mul_u32_u24_sdwa v15, v15, s87 dst_sel:DWORD dst_unused:UNUSED_PAD src0_sel:WORD_1 src1_sel:DWORD
	v_mul_u32_u24_sdwa v85, v17, s87 dst_sel:DWORD dst_unused:UNUSED_PAD src0_sel:WORD_0 src1_sel:DWORD
	v_mul_u32_u24_sdwa v86, v17, s87 dst_sel:DWORD dst_unused:UNUSED_PAD src0_sel:WORD_1 src1_sel:DWORD
	;; [unrolled: 2-line block ×4, first 2 shown]
	s_waitcnt lgkmcnt(1)
	v_mul_u32_u24_sdwa v91, v20, s87 dst_sel:DWORD dst_unused:UNUSED_PAD src0_sel:WORD_0 src1_sel:DWORD
	v_mul_u32_u24_sdwa v92, v20, s87 dst_sel:DWORD dst_unused:UNUSED_PAD src0_sel:WORD_1 src1_sel:DWORD
	v_mul_u32_u24_sdwa v93, v21, s87 dst_sel:DWORD dst_unused:UNUSED_PAD src0_sel:WORD_0 src1_sel:DWORD
	v_mul_u32_u24_sdwa v94, v21, s87 dst_sel:DWORD dst_unused:UNUSED_PAD src0_sel:WORD_1 src1_sel:DWORD
	v_mul_u32_u24_sdwa v95, v22, s87 dst_sel:DWORD dst_unused:UNUSED_PAD src0_sel:WORD_0 src1_sel:DWORD
	v_mul_u32_u24_sdwa v96, v22, s87 dst_sel:DWORD dst_unused:UNUSED_PAD src0_sel:WORD_1 src1_sel:DWORD
	v_mul_u32_u24_sdwa v97, v23, s87 dst_sel:DWORD dst_unused:UNUSED_PAD src0_sel:WORD_0 src1_sel:DWORD
	v_mul_u32_u24_sdwa v98, v23, s87 dst_sel:DWORD dst_unused:UNUSED_PAD src0_sel:WORD_1 src1_sel:DWORD
	s_waitcnt lgkmcnt(0)
	v_pk_fma_f16 v17, v8, v67, v65
	v_pk_fma_f16 v18, v9, v67, v66
	v_pk_fma_f16 v19, v8, v70, v68
	v_pk_fma_f16 v22, v9, v70, v71
	v_pk_fma_f16 v23, v8, v75, v47
	v_lshl_add_u64 v[20:21], s[4:5], 2, v[42:43]
	v_pk_fma_f16 v47, v9, v75, v63
	v_pk_fma_f16 v63, v8, v76, v69
	;; [unrolled: 1-line block ×16, first 2 shown]
	ds_read2_b64 v[16:19], v62 offset0:192 offset1:224
	s_waitcnt lgkmcnt(0)
	s_barrier
	global_load_dwordx4 v[20:23], v[20:21], off
	v_pk_fma_f16 v47, v11, v82, v47
	v_pk_fma_f16 v63, v10, v83, v63
	;; [unrolled: 1-line block ×43, first 2 shown]
	s_waitcnt vmcnt(0)
	ds_write_b128 v58, v[20:23]
	s_waitcnt lgkmcnt(0)
	s_barrier
	ds_read_b128 v[8:11], v57 offset:768
	ds_read_b128 v[12:15], v57 offset:784
	;; [unrolled: 1-line block ×4, first 2 shown]
	s_waitcnt lgkmcnt(3)
	v_mul_u32_u24_sdwa v72, v8, s87 dst_sel:DWORD dst_unused:UNUSED_PAD src0_sel:WORD_0 src1_sel:DWORD
	v_mul_u32_u24_sdwa v73, v8, s87 dst_sel:DWORD dst_unused:UNUSED_PAD src0_sel:WORD_1 src1_sel:DWORD
	v_mul_u32_u24_sdwa v74, v9, s87 dst_sel:DWORD dst_unused:UNUSED_PAD src0_sel:WORD_0 src1_sel:DWORD
	v_mul_u32_u24_sdwa v75, v9, s87 dst_sel:DWORD dst_unused:UNUSED_PAD src0_sel:WORD_1 src1_sel:DWORD
	;; [unrolled: 2-line block ×4, first 2 shown]
	ds_read2_b64 v[8:11], v59 offset1:32
	s_waitcnt lgkmcnt(3)
	v_mul_u32_u24_sdwa v80, v12, s87 dst_sel:DWORD dst_unused:UNUSED_PAD src0_sel:WORD_0 src1_sel:DWORD
	v_mul_u32_u24_sdwa v84, v14, s87 dst_sel:DWORD dst_unused:UNUSED_PAD src0_sel:WORD_0 src1_sel:DWORD
	v_mul_u32_u24_sdwa v85, v14, s87 dst_sel:DWORD dst_unused:UNUSED_PAD src0_sel:WORD_1 src1_sel:DWORD
	v_mul_u32_u24_sdwa v86, v15, s87 dst_sel:DWORD dst_unused:UNUSED_PAD src0_sel:WORD_0 src1_sel:DWORD
	v_mul_u32_u24_sdwa v87, v15, s87 dst_sel:DWORD dst_unused:UNUSED_PAD src0_sel:WORD_1 src1_sel:DWORD
	s_waitcnt lgkmcnt(0)
	v_pk_fma_f16 v14, v8, v72, v63
	v_pk_fma_f16 v15, v9, v72, v68
	v_mul_u32_u24_sdwa v88, v16, s87 dst_sel:DWORD dst_unused:UNUSED_PAD src0_sel:WORD_0 src1_sel:DWORD
	v_mul_u32_u24_sdwa v89, v16, s87 dst_sel:DWORD dst_unused:UNUSED_PAD src0_sel:WORD_1 src1_sel:DWORD
	v_mul_u32_u24_sdwa v90, v17, s87 dst_sel:DWORD dst_unused:UNUSED_PAD src0_sel:WORD_0 src1_sel:DWORD
	v_mul_u32_u24_sdwa v91, v17, s87 dst_sel:DWORD dst_unused:UNUSED_PAD src0_sel:WORD_1 src1_sel:DWORD
	v_mul_u32_u24_sdwa v92, v18, s87 dst_sel:DWORD dst_unused:UNUSED_PAD src0_sel:WORD_0 src1_sel:DWORD
	v_mul_u32_u24_sdwa v93, v18, s87 dst_sel:DWORD dst_unused:UNUSED_PAD src0_sel:WORD_1 src1_sel:DWORD
	v_pk_fma_f16 v18, v8, v73, v64
	v_pk_fma_f16 v63, v10, v80, v14
	;; [unrolled: 1-line block ×3, first 2 shown]
	ds_read_b128 v[14:17], v57 offset:832
	v_mul_u32_u24_sdwa v81, v12, s87 dst_sel:DWORD dst_unused:UNUSED_PAD src0_sel:WORD_1 src1_sel:DWORD
	v_mul_u32_u24_sdwa v82, v13, s87 dst_sel:DWORD dst_unused:UNUSED_PAD src0_sel:WORD_0 src1_sel:DWORD
	v_mul_u32_u24_sdwa v83, v13, s87 dst_sel:DWORD dst_unused:UNUSED_PAD src0_sel:WORD_1 src1_sel:DWORD
	v_mul_u32_u24_sdwa v94, v19, s87 dst_sel:DWORD dst_unused:UNUSED_PAD src0_sel:WORD_0 src1_sel:DWORD
	;; [unrolled: 2-line block ×5, first 2 shown]
	v_mul_u32_u24_sdwa v12, v23, s87 dst_sel:DWORD dst_unused:UNUSED_PAD src0_sel:WORD_1 src1_sel:DWORD
	v_pk_fma_f16 v19, v9, v73, v46
	v_pk_fma_f16 v20, v8, v74, v65
	;; [unrolled: 1-line block ×21, first 2 shown]
	ds_read_b128 v[18:21], v57 offset:848
	v_pk_fma_f16 v25, v10, v85, v25
	v_pk_fma_f16 v46, v11, v85, v46
	s_waitcnt lgkmcnt(1)
	v_mul_u32_u24_sdwa v69, v14, s87 dst_sel:DWORD dst_unused:UNUSED_PAD src0_sel:WORD_0 src1_sel:DWORD
	v_pk_fma_f16 v26, v10, v86, v26
	v_pk_fma_f16 v47, v11, v86, v47
	v_mul_u32_u24_sdwa v70, v14, s87 dst_sel:DWORD dst_unused:UNUSED_PAD src0_sel:WORD_1 src1_sel:DWORD
	v_pk_fma_f16 v14, v10, v87, v8
	v_pk_fma_f16 v71, v11, v87, v9
	ds_read2_b64 v[8:11], v59 offset0:64 offset1:96
	v_mul_u32_u24_sdwa v72, v15, s87 dst_sel:DWORD dst_unused:UNUSED_PAD src0_sel:WORD_0 src1_sel:DWORD
	v_mul_u32_u24_sdwa v73, v15, s87 dst_sel:DWORD dst_unused:UNUSED_PAD src0_sel:WORD_1 src1_sel:DWORD
	v_mul_u32_u24_sdwa v74, v16, s87 dst_sel:DWORD dst_unused:UNUSED_PAD src0_sel:WORD_0 src1_sel:DWORD
	v_mul_u32_u24_sdwa v75, v16, s87 dst_sel:DWORD dst_unused:UNUSED_PAD src0_sel:WORD_1 src1_sel:DWORD
	s_waitcnt lgkmcnt(0)
	v_pk_fma_f16 v15, v8, v88, v63
	v_pk_fma_f16 v16, v9, v88, v64
	v_mul_u32_u24_sdwa v76, v17, s87 dst_sel:DWORD dst_unused:UNUSED_PAD src0_sel:WORD_0 src1_sel:DWORD
	v_mul_u32_u24_sdwa v77, v17, s87 dst_sel:DWORD dst_unused:UNUSED_PAD src0_sel:WORD_1 src1_sel:DWORD
	v_mul_u32_u24_sdwa v78, v18, s87 dst_sel:DWORD dst_unused:UNUSED_PAD src0_sel:WORD_0 src1_sel:DWORD
	v_mul_u32_u24_sdwa v79, v18, s87 dst_sel:DWORD dst_unused:UNUSED_PAD src0_sel:WORD_1 src1_sel:DWORD
	;; [unrolled: 2-line block ×3, first 2 shown]
	v_pk_fma_f16 v18, v8, v89, v65
	v_pk_fma_f16 v20, v8, v90, v66
	;; [unrolled: 1-line block ×9, first 2 shown]
	ds_read_b128 v[14:17], v57 offset:864
	v_mul_u32_u24_sdwa v100, v22, s87 dst_sel:DWORD dst_unused:UNUSED_PAD src0_sel:WORD_0 src1_sel:DWORD
	v_mul_u32_u24_sdwa v22, v22, s87 dst_sel:DWORD dst_unused:UNUSED_PAD src0_sel:WORD_1 src1_sel:DWORD
	v_mul_u32_u24_sdwa v80, v19, s87 dst_sel:DWORD dst_unused:UNUSED_PAD src0_sel:WORD_0 src1_sel:DWORD
	v_mul_u32_u24_sdwa v81, v19, s87 dst_sel:DWORD dst_unused:UNUSED_PAD src0_sel:WORD_1 src1_sel:DWORD
	;; [unrolled: 2-line block ×3, first 2 shown]
	v_pk_fma_f16 v19, v9, v89, v67
	v_pk_fma_f16 v21, v9, v90, v68
	;; [unrolled: 1-line block ×15, first 2 shown]
	ds_read_b128 v[18:21], v57 offset:880
	v_pk_fma_f16 v25, v10, v22, v25
	v_pk_fma_f16 v22, v11, v22, v46
	s_waitcnt lgkmcnt(1)
	v_mul_u32_u24_sdwa v46, v14, s87 dst_sel:DWORD dst_unused:UNUSED_PAD src0_sel:WORD_0 src1_sel:DWORD
	v_pk_fma_f16 v26, v10, v13, v26
	v_pk_fma_f16 v13, v11, v13, v47
	v_mul_u32_u24_sdwa v47, v14, s87 dst_sel:DWORD dst_unused:UNUSED_PAD src0_sel:WORD_1 src1_sel:DWORD
	v_pk_fma_f16 v14, v10, v12, v8
	v_pk_fma_f16 v12, v11, v12, v9
	ds_read2_b64 v[8:11], v59 offset0:128 offset1:160
	v_mul_u32_u24_sdwa v71, v15, s87 dst_sel:DWORD dst_unused:UNUSED_PAD src0_sel:WORD_0 src1_sel:DWORD
	v_mul_u32_u24_sdwa v86, v15, s87 dst_sel:DWORD dst_unused:UNUSED_PAD src0_sel:WORD_1 src1_sel:DWORD
	v_mul_u32_u24_sdwa v87, v16, s87 dst_sel:DWORD dst_unused:UNUSED_PAD src0_sel:WORD_0 src1_sel:DWORD
	v_mul_u32_u24_sdwa v88, v16, s87 dst_sel:DWORD dst_unused:UNUSED_PAD src0_sel:WORD_1 src1_sel:DWORD
	s_waitcnt lgkmcnt(0)
	v_pk_fma_f16 v15, v8, v69, v63
	v_mul_u32_u24_sdwa v89, v17, s87 dst_sel:DWORD dst_unused:UNUSED_PAD src0_sel:WORD_0 src1_sel:DWORD
	v_mul_u32_u24_sdwa v90, v17, s87 dst_sel:DWORD dst_unused:UNUSED_PAD src0_sel:WORD_1 src1_sel:DWORD
	v_mul_u32_u24_sdwa v91, v18, s87 dst_sel:DWORD dst_unused:UNUSED_PAD src0_sel:WORD_0 src1_sel:DWORD
	v_mul_u32_u24_sdwa v92, v18, s87 dst_sel:DWORD dst_unused:UNUSED_PAD src0_sel:WORD_1 src1_sel:DWORD
	;; [unrolled: 2-line block ×3, first 2 shown]
	v_pk_fma_f16 v16, v9, v69, v64
	v_pk_fma_f16 v17, v8, v70, v65
	;; [unrolled: 1-line block ×16, first 2 shown]
	ds_read_b128 v[12:15], v57 offset:896
	v_pk_fma_f16 v66, v11, v78, v16
	v_pk_fma_f16 v67, v10, v79, v17
	;; [unrolled: 1-line block ×9, first 2 shown]
	ds_read_b128 v[16:19], v57 offset:912
	v_pk_fma_f16 v25, v10, v83, v25
	v_pk_fma_f16 v22, v11, v83, v22
	s_waitcnt lgkmcnt(1)
	v_mul_u32_u24_sdwa v70, v12, s87 dst_sel:DWORD dst_unused:UNUSED_PAD src0_sel:WORD_0 src1_sel:DWORD
	v_pk_fma_f16 v26, v10, v84, v26
	v_pk_fma_f16 v64, v11, v84, v64
	v_mul_u32_u24_sdwa v72, v12, s87 dst_sel:DWORD dst_unused:UNUSED_PAD src0_sel:WORD_1 src1_sel:DWORD
	v_pk_fma_f16 v12, v10, v85, v8
	v_pk_fma_f16 v73, v11, v85, v9
	ds_read2_b64 v[8:11], v59 offset0:192 offset1:224
	v_mul_u32_u24_sdwa v74, v13, s87 dst_sel:DWORD dst_unused:UNUSED_PAD src0_sel:WORD_0 src1_sel:DWORD
	v_mul_u32_u24_sdwa v75, v13, s87 dst_sel:DWORD dst_unused:UNUSED_PAD src0_sel:WORD_1 src1_sel:DWORD
	v_mul_u32_u24_sdwa v76, v14, s87 dst_sel:DWORD dst_unused:UNUSED_PAD src0_sel:WORD_0 src1_sel:DWORD
	v_mul_u32_u24_sdwa v77, v14, s87 dst_sel:DWORD dst_unused:UNUSED_PAD src0_sel:WORD_1 src1_sel:DWORD
	s_waitcnt lgkmcnt(0)
	v_pk_fma_f16 v13, v8, v46, v65
	v_pk_fma_f16 v14, v9, v46, v66
	v_mul_u32_u24_sdwa v78, v15, s87 dst_sel:DWORD dst_unused:UNUSED_PAD src0_sel:WORD_0 src1_sel:DWORD
	v_mul_u32_u24_sdwa v79, v15, s87 dst_sel:DWORD dst_unused:UNUSED_PAD src0_sel:WORD_1 src1_sel:DWORD
	v_mul_u32_u24_sdwa v80, v16, s87 dst_sel:DWORD dst_unused:UNUSED_PAD src0_sel:WORD_0 src1_sel:DWORD
	v_mul_u32_u24_sdwa v81, v16, s87 dst_sel:DWORD dst_unused:UNUSED_PAD src0_sel:WORD_1 src1_sel:DWORD
	;; [unrolled: 2-line block ×5, first 2 shown]
	v_pk_fma_f16 v16, v8, v47, v67
	v_pk_fma_f16 v17, v9, v47, v69
	;; [unrolled: 1-line block ×11, first 2 shown]
	ds_read_b128 v[12:15], v57 offset:928
	v_mul_u32_u24_sdwa v95, v20, s87 dst_sel:DWORD dst_unused:UNUSED_PAD src0_sel:WORD_0 src1_sel:DWORD
	v_mul_u32_u24_sdwa v20, v20, s87 dst_sel:DWORD dst_unused:UNUSED_PAD src0_sel:WORD_1 src1_sel:DWORD
	v_mul_u32_u24_sdwa v96, v21, s87 dst_sel:DWORD dst_unused:UNUSED_PAD src0_sel:WORD_0 src1_sel:DWORD
	v_mul_u32_u24_sdwa v21, v21, s87 dst_sel:DWORD dst_unused:UNUSED_PAD src0_sel:WORD_1 src1_sel:DWORD
	v_pk_fma_f16 v27, v9, v86, v27
	v_pk_fma_f16 v45, v9, v87, v45
	;; [unrolled: 1-line block ×13, first 2 shown]
	ds_read_b128 v[16:19], v57 offset:944
	v_pk_fma_f16 v25, v10, v20, v25
	v_pk_fma_f16 v20, v11, v20, v22
	s_waitcnt lgkmcnt(1)
	v_mul_u32_u24_sdwa v22, v12, s87 dst_sel:DWORD dst_unused:UNUSED_PAD src0_sel:WORD_0 src1_sel:DWORD
	v_pk_fma_f16 v26, v10, v96, v26
	v_pk_fma_f16 v46, v11, v96, v46
	v_mul_u32_u24_sdwa v68, v12, s87 dst_sel:DWORD dst_unused:UNUSED_PAD src0_sel:WORD_1 src1_sel:DWORD
	v_pk_fma_f16 v12, v10, v21, v8
	v_pk_fma_f16 v21, v11, v21, v9
	ds_read2_b64 v[8:11], v62 offset1:32
	v_mul_u32_u24_sdwa v69, v13, s87 dst_sel:DWORD dst_unused:UNUSED_PAD src0_sel:WORD_0 src1_sel:DWORD
	v_mul_u32_u24_sdwa v71, v13, s87 dst_sel:DWORD dst_unused:UNUSED_PAD src0_sel:WORD_1 src1_sel:DWORD
	v_mul_u32_u24_sdwa v73, v14, s87 dst_sel:DWORD dst_unused:UNUSED_PAD src0_sel:WORD_0 src1_sel:DWORD
	v_mul_u32_u24_sdwa v86, v14, s87 dst_sel:DWORD dst_unused:UNUSED_PAD src0_sel:WORD_1 src1_sel:DWORD
	s_waitcnt lgkmcnt(0)
	v_pk_fma_f16 v13, v8, v70, v47
	v_pk_fma_f16 v14, v9, v70, v63
	v_mul_u32_u24_sdwa v87, v15, s87 dst_sel:DWORD dst_unused:UNUSED_PAD src0_sel:WORD_0 src1_sel:DWORD
	v_mul_u32_u24_sdwa v88, v15, s87 dst_sel:DWORD dst_unused:UNUSED_PAD src0_sel:WORD_1 src1_sel:DWORD
	v_mul_u32_u24_sdwa v89, v16, s87 dst_sel:DWORD dst_unused:UNUSED_PAD src0_sel:WORD_0 src1_sel:DWORD
	v_mul_u32_u24_sdwa v90, v16, s87 dst_sel:DWORD dst_unused:UNUSED_PAD src0_sel:WORD_1 src1_sel:DWORD
	;; [unrolled: 2-line block ×5, first 2 shown]
	v_pk_fma_f16 v16, v8, v72, v64
	v_pk_fma_f16 v17, v9, v72, v66
	;; [unrolled: 1-line block ×16, first 2 shown]
	ds_read_b128 v[12:15], v57 offset:960
	v_pk_fma_f16 v63, v10, v81, v16
	v_pk_fma_f16 v64, v10, v82, v18
	;; [unrolled: 1-line block ×8, first 2 shown]
	ds_read_b128 v[16:19], v57 offset:976
	v_pk_fma_f16 v25, v10, v85, v25
	v_pk_fma_f16 v20, v11, v85, v20
	s_waitcnt lgkmcnt(1)
	v_mul_u32_u24_sdwa v67, v12, s87 dst_sel:DWORD dst_unused:UNUSED_PAD src0_sel:WORD_0 src1_sel:DWORD
	v_pk_fma_f16 v26, v10, v97, v26
	v_pk_fma_f16 v46, v11, v97, v46
	v_mul_u32_u24_sdwa v70, v12, s87 dst_sel:DWORD dst_unused:UNUSED_PAD src0_sel:WORD_1 src1_sel:DWORD
	v_pk_fma_f16 v12, v10, v98, v8
	v_pk_fma_f16 v72, v11, v98, v9
	ds_read2_b64 v[8:11], v62 offset0:64 offset1:96
	v_mul_u32_u24_sdwa v74, v13, s87 dst_sel:DWORD dst_unused:UNUSED_PAD src0_sel:WORD_0 src1_sel:DWORD
	v_mul_u32_u24_sdwa v75, v13, s87 dst_sel:DWORD dst_unused:UNUSED_PAD src0_sel:WORD_1 src1_sel:DWORD
	v_mul_u32_u24_sdwa v76, v14, s87 dst_sel:DWORD dst_unused:UNUSED_PAD src0_sel:WORD_0 src1_sel:DWORD
	v_mul_u32_u24_sdwa v77, v14, s87 dst_sel:DWORD dst_unused:UNUSED_PAD src0_sel:WORD_1 src1_sel:DWORD
	s_waitcnt lgkmcnt(0)
	v_pk_fma_f16 v13, v8, v22, v21
	v_pk_fma_f16 v14, v9, v22, v47
	v_mul_u32_u24_sdwa v78, v15, s87 dst_sel:DWORD dst_unused:UNUSED_PAD src0_sel:WORD_0 src1_sel:DWORD
	v_mul_u32_u24_sdwa v79, v15, s87 dst_sel:DWORD dst_unused:UNUSED_PAD src0_sel:WORD_1 src1_sel:DWORD
	v_mul_u32_u24_sdwa v80, v16, s87 dst_sel:DWORD dst_unused:UNUSED_PAD src0_sel:WORD_0 src1_sel:DWORD
	v_mul_u32_u24_sdwa v81, v16, s87 dst_sel:DWORD dst_unused:UNUSED_PAD src0_sel:WORD_1 src1_sel:DWORD
	;; [unrolled: 2-line block ×3, first 2 shown]
	v_pk_fma_f16 v16, v8, v68, v63
	v_pk_fma_f16 v18, v8, v69, v64
	;; [unrolled: 1-line block ×12, first 2 shown]
	ds_read_b128 v[12:15], v57 offset:992
	v_mul_u32_u24_sdwa v82, v17, s87 dst_sel:DWORD dst_unused:UNUSED_PAD src0_sel:WORD_0 src1_sel:DWORD
	v_mul_u32_u24_sdwa v83, v17, s87 dst_sel:DWORD dst_unused:UNUSED_PAD src0_sel:WORD_1 src1_sel:DWORD
	v_mul_u32_u24_sdwa v97, v19, s87 dst_sel:DWORD dst_unused:UNUSED_PAD src0_sel:WORD_0 src1_sel:DWORD
	v_mul_u32_u24_sdwa v98, v19, s87 dst_sel:DWORD dst_unused:UNUSED_PAD src0_sel:WORD_1 src1_sel:DWORD
	v_pk_fma_f16 v17, v9, v68, v65
	v_pk_fma_f16 v19, v9, v69, v66
	;; [unrolled: 1-line block ×12, first 2 shown]
	ds_read_b128 v[16:19], v57 offset:1008
	v_pk_fma_f16 v25, v10, v94, v25
	v_pk_fma_f16 v20, v11, v94, v20
	s_waitcnt lgkmcnt(1)
	v_mul_u32_u24_sdwa v66, v12, s87 dst_sel:DWORD dst_unused:UNUSED_PAD src0_sel:WORD_0 src1_sel:DWORD
	v_pk_fma_f16 v26, v10, v95, v26
	v_pk_fma_f16 v27, v11, v95, v27
	v_mul_u32_u24_sdwa v68, v12, s87 dst_sel:DWORD dst_unused:UNUSED_PAD src0_sel:WORD_1 src1_sel:DWORD
	v_pk_fma_f16 v12, v10, v96, v8
	v_pk_fma_f16 v69, v11, v96, v9
	ds_read2_b64 v[8:11], v62 offset0:128 offset1:160
	v_mul_u32_u24_sdwa v71, v13, s87 dst_sel:DWORD dst_unused:UNUSED_PAD src0_sel:WORD_0 src1_sel:DWORD
	v_mul_u32_u24_sdwa v72, v13, s87 dst_sel:DWORD dst_unused:UNUSED_PAD src0_sel:WORD_1 src1_sel:DWORD
	v_mul_u32_u24_sdwa v73, v14, s87 dst_sel:DWORD dst_unused:UNUSED_PAD src0_sel:WORD_0 src1_sel:DWORD
	v_mul_u32_u24_sdwa v86, v14, s87 dst_sel:DWORD dst_unused:UNUSED_PAD src0_sel:WORD_1 src1_sel:DWORD
	s_waitcnt lgkmcnt(0)
	v_pk_fma_f16 v13, v8, v67, v45
	v_pk_fma_f16 v14, v9, v67, v46
	v_mul_u32_u24_sdwa v87, v15, s87 dst_sel:DWORD dst_unused:UNUSED_PAD src0_sel:WORD_0 src1_sel:DWORD
	v_mul_u32_u24_sdwa v88, v15, s87 dst_sel:DWORD dst_unused:UNUSED_PAD src0_sel:WORD_1 src1_sel:DWORD
	v_pk_fma_f16 v45, v8, v70, v47
	v_pk_fma_f16 v46, v9, v70, v64
	;; [unrolled: 1-line block ×11, first 2 shown]
	ds_read2_b64 v[12:15], v62 offset0:192 offset1:224
	s_waitcnt lgkmcnt(0)
	s_barrier
	s_load_dword s4, s[70:71], 0x4
	v_pk_fma_f16 v22, v9, v75, v22
	v_pk_fma_f16 v24, v9, v76, v24
	;; [unrolled: 1-line block ×5, first 2 shown]
	s_waitcnt lgkmcnt(0)
	s_lshl_b32 s4, s4, 6
	v_pk_fma_f16 v45, v10, v81, v45
	v_pk_fma_f16 v47, v10, v82, v47
	;; [unrolled: 1-line block ×14, first 2 shown]
	v_mul_u32_u24_sdwa v89, v16, s87 dst_sel:DWORD dst_unused:UNUSED_PAD src0_sel:WORD_0 src1_sel:DWORD
	v_mul_u32_u24_sdwa v16, v16, s87 dst_sel:DWORD dst_unused:UNUSED_PAD src0_sel:WORD_1 src1_sel:DWORD
	v_mul_u32_u24_sdwa v90, v17, s87 dst_sel:DWORD dst_unused:UNUSED_PAD src0_sel:WORD_0 src1_sel:DWORD
	v_mul_u32_u24_sdwa v17, v17, s87 dst_sel:DWORD dst_unused:UNUSED_PAD src0_sel:WORD_1 src1_sel:DWORD
	;; [unrolled: 2-line block ×4, first 2 shown]
	s_add_i32 s2, s4, s2
	v_pk_fma_f16 v11, v12, v66, v64
	v_pk_fma_f16 v45, v12, v68, v45
	;; [unrolled: 1-line block ×16, first 2 shown]
	s_cmp_ge_i32 s2, s82
	v_pk_fma_f16 v76, v14, v89, v11
	v_pk_fma_f16 v74, v14, v16, v45
	;; [unrolled: 1-line block ×16, first 2 shown]
	s_cbranch_scc0 .LBB0_9
.LBB0_10:
	v_cmp_lt_i32_e32 vcc, v53, v44
	s_cmp_lg_u64 s[68:69], 0
	s_cselect_b64 s[4:5], -1, 0
	v_cndmask_b32_e32 v8, v41, v53, vcc
	v_lshlrev_b32_e32 v17, 2, v8
	ds_bpermute_b32 v12, v17, v34
	ds_bpermute_b32 v13, v17, v35
	v_cmp_lt_i32_e32 vcc, v54, v44
	ds_bpermute_b32 v8, v17, v36
	ds_bpermute_b32 v9, v17, v37
	v_cndmask_b32_e32 v10, v41, v54, vcc
	v_cmp_lt_i32_e32 vcc, v52, v44
	v_lshlrev_b32_e32 v23, 2, v10
	s_waitcnt lgkmcnt(2)
	v_pk_add_f32 v[12:13], v[34:35], v[12:13]
	v_cndmask_b32_e32 v10, v41, v52, vcc
	v_cmp_lt_i32_e32 vcc, v51, v44
	ds_bpermute_b32 v15, v23, v13
	v_lshlrev_b32_e32 v24, 2, v10
	v_cndmask_b32_e32 v14, v41, v51, vcc
	v_lshlrev_b32_e32 v25, 2, v14
	ds_bpermute_b32 v14, v23, v12
	ds_bpermute_b32 v18, v17, v30
	;; [unrolled: 1-line block ×3, first 2 shown]
	s_waitcnt lgkmcnt(4)
	v_pk_add_f32 v[8:9], v[36:37], v[8:9]
	v_cmp_lt_i32_e32 vcc, v50, v44
	s_waitcnt lgkmcnt(2)
	v_pk_add_f32 v[12:13], v[12:13], v[14:15]
	ds_bpermute_b32 v14, v24, v12
	ds_bpermute_b32 v15, v24, v13
	s_waitcnt lgkmcnt(2)
	v_pk_add_f32 v[18:19], v[30:31], v[18:19]
	ds_bpermute_b32 v10, v23, v8
	ds_bpermute_b32 v11, v23, v9
	v_cndmask_b32_e32 v16, v41, v50, vcc
	s_waitcnt lgkmcnt(2)
	v_pk_add_f32 v[12:13], v[12:13], v[14:15]
	ds_bpermute_b32 v14, v17, v32
	ds_bpermute_b32 v15, v17, v33
	;; [unrolled: 1-line block ×3, first 2 shown]
	v_lshlrev_b32_e32 v27, 2, v16
	ds_bpermute_b32 v16, v25, v12
	ds_bpermute_b32 v17, v25, v13
	s_waitcnt lgkmcnt(3)
	v_pk_add_f32 v[14:15], v[32:33], v[14:15]
	ds_bpermute_b32 v20, v23, v14
	ds_bpermute_b32 v21, v23, v15
	;; [unrolled: 1-line block ×3, first 2 shown]
	v_pk_add_f32 v[8:9], v[8:9], v[10:11]
	ds_bpermute_b32 v10, v24, v8
	ds_bpermute_b32 v11, v24, v9
	s_waitcnt lgkmcnt(3)
	v_pk_add_f32 v[14:15], v[14:15], v[20:21]
	s_waitcnt lgkmcnt(2)
	v_pk_add_f32 v[18:19], v[18:19], v[22:23]
	v_pk_add_f32 v[12:13], v[12:13], v[16:17]
	ds_bpermute_b32 v16, v24, v14
	ds_bpermute_b32 v17, v24, v15
	ds_bpermute_b32 v20, v24, v18
	ds_bpermute_b32 v21, v24, v19
	s_waitcnt lgkmcnt(4)
	v_pk_add_f32 v[8:9], v[8:9], v[10:11]
	ds_bpermute_b32 v10, v25, v8
	s_waitcnt lgkmcnt(3)
	v_pk_add_f32 v[14:15], v[14:15], v[16:17]
	ds_bpermute_b32 v11, v25, v9
	;; [unrolled: 3-line block ×3, first 2 shown]
	ds_bpermute_b32 v17, v25, v15
	ds_bpermute_b32 v20, v25, v18
	;; [unrolled: 1-line block ×3, first 2 shown]
	s_waitcnt lgkmcnt(4)
	v_pk_add_f32 v[8:9], v[8:9], v[10:11]
	ds_bpermute_b32 v10, v27, v8
	s_waitcnt lgkmcnt(3)
	v_pk_add_f32 v[14:15], v[14:15], v[16:17]
	ds_bpermute_b32 v11, v27, v9
	;; [unrolled: 3-line block ×3, first 2 shown]
	ds_bpermute_b32 v23, v27, v13
	ds_bpermute_b32 v16, v27, v14
	;; [unrolled: 1-line block ×5, first 2 shown]
	s_cmp_eq_u32 s3, 0
	s_cselect_b64 s[6:7], -1, 0
	s_and_b64 s[4:5], s[6:7], s[4:5]
	s_waitcnt lgkmcnt(6)
	v_pk_add_f32 v[24:25], v[8:9], v[10:11]
	s_waitcnt lgkmcnt(4)
	v_pk_add_f32 v[22:23], v[12:13], v[22:23]
	;; [unrolled: 2-line block ×4, first 2 shown]
	s_and_b64 vcc, exec, s[4:5]
	s_cbranch_vccz .LBB0_12
; %bb.11:
	s_ashr_i32 s81, s80, 31
	s_lshl_b64 s[4:5], s[80:81], 2
	s_add_u32 s4, s68, s4
	s_addc_u32 s5, s69, s5
	v_mov_b32_e32 v8, 0
	global_load_dwordx4 v[30:33], v8, s[4:5]
	global_load_dwordx4 v[14:17], v8, s[4:5] offset:16
	v_max_f32_e32 v8, v0, v0
	v_max_f32_e32 v9, v1, v1
	s_mov_b32 s5, 0x3fb8aa3b
	s_mov_b32 s2, 0xc2ce8ed0
	v_max_f32_e32 v10, v2, v2
	s_mov_b32 s4, 0x42b17218
	v_mov_b32_e32 v34, 0x7f800000
	s_waitcnt vmcnt(1)
	v_max_f32_e32 v11, v30, v30
	v_max_f32_e32 v8, v8, v11
	;; [unrolled: 1-line block ×3, first 2 shown]
	v_sub_f32_e32 v0, v0, v8
	v_max_f32_e32 v9, v9, v12
	v_sub_f32_e32 v11, v30, v8
	v_mul_f32_e32 v26, 0x3fb8aa3b, v0
	v_sub_f32_e32 v1, v1, v9
	v_mul_f32_e32 v27, 0x3fb8aa3b, v11
	v_fma_f32 v36, v0, s5, -v26
	v_rndne_f32_e32 v37, v26
	v_sub_f32_e32 v12, v31, v9
	v_mul_f32_e32 v30, 0x3fb8aa3b, v1
	v_fma_f32 v38, v11, s5, -v27
	v_rndne_f32_e32 v39, v27
	v_fmac_f32_e32 v36, 0x32a5705f, v0
	v_sub_f32_e32 v26, v26, v37
	v_mul_f32_e32 v31, 0x3fb8aa3b, v12
	v_fma_f32 v40, v1, s5, -v30
	v_rndne_f32_e32 v41, v30
	v_fmac_f32_e32 v38, 0x32a5705f, v11
	v_sub_f32_e32 v27, v27, v39
	v_add_f32_e32 v26, v26, v36
	v_fma_f32 v42, v12, s5, -v31
	v_rndne_f32_e32 v43, v31
	v_cvt_i32_f32_e32 v37, v37
	v_fmac_f32_e32 v40, 0x32a5705f, v1
	v_sub_f32_e32 v30, v30, v41
	v_add_f32_e32 v27, v27, v38
	v_exp_f32_e32 v26, v26
	v_cvt_i32_f32_e32 v39, v39
	v_fmac_f32_e32 v42, 0x32a5705f, v12
	v_sub_f32_e32 v31, v31, v43
	v_add_f32_e32 v30, v30, v40
	v_exp_f32_e32 v27, v27
	v_cvt_i32_f32_e32 v41, v41
	v_add_f32_e32 v31, v31, v42
	v_exp_f32_e32 v30, v30
	v_max_f32_e32 v13, v32, v32
	v_cvt_i32_f32_e32 v43, v43
	v_exp_f32_e32 v31, v31
	v_max_f32_e32 v10, v10, v13
	v_ldexp_f32 v26, v26, v37
	v_cmp_ngt_f32_e32 vcc, s2, v0
	v_sub_f32_e32 v2, v2, v10
	v_ldexp_f32 v27, v27, v39
	v_cndmask_b32_e32 v26, 0, v26, vcc
	v_cmp_ngt_f32_e32 vcc, s2, v11
	v_sub_f32_e32 v13, v32, v10
	v_mul_f32_e32 v32, 0x3fb8aa3b, v2
	v_ldexp_f32 v30, v30, v41
	v_cndmask_b32_e32 v27, 0, v27, vcc
	v_cmp_ngt_f32_e32 vcc, s2, v1
	v_fma_f32 v44, v2, s5, -v32
	v_rndne_f32_e32 v46, v32
	v_ldexp_f32 v31, v31, v43
	v_cndmask_b32_e32 v30, 0, v30, vcc
	v_cmp_ngt_f32_e32 vcc, s2, v12
	v_mul_f32_e32 v35, 0x3fb8aa3b, v13
	v_fmac_f32_e32 v44, 0x32a5705f, v2
	v_sub_f32_e32 v32, v32, v46
	v_cndmask_b32_e32 v31, 0, v31, vcc
	v_cmp_nlt_f32_e32 vcc, s4, v0
	v_fma_f32 v47, v13, s5, -v35
	v_rndne_f32_e32 v49, v35
	v_add_f32_e32 v32, v32, v44
	v_cndmask_b32_e32 v0, v34, v26, vcc
	v_cvt_i32_f32_e32 v46, v46
	v_fmac_f32_e32 v47, 0x32a5705f, v13
	v_sub_f32_e32 v35, v35, v49
	v_exp_f32_e32 v32, v32
	v_cmp_nlt_f32_e32 vcc, s4, v11
	v_cvt_f16_f32_e32 v11, v0
	v_add_f32_e32 v35, v35, v47
	v_cvt_i32_f32_e32 v49, v49
	v_exp_f32_e32 v35, v35
	v_cndmask_b32_e32 v26, v34, v27, vcc
	v_cmp_nlt_f32_e32 vcc, s4, v1
	v_ldexp_f32 v32, v32, v46
	v_mul_u32_u24_e32 v11, 0x10001, v11
	v_cndmask_b32_e32 v1, v34, v30, vcc
	v_cmp_nlt_f32_e32 vcc, s4, v12
	v_cvt_f16_f32_e32 v30, v1
	v_pk_mul_f16 v76, v76, v11
	v_cndmask_b32_e32 v27, v34, v31, vcc
	v_cmp_ngt_f32_e32 vcc, s2, v2
	v_pk_mul_f16 v77, v77, v11
	v_mul_u32_u24_e32 v12, 0x10001, v30
	v_cndmask_b32_e32 v11, 0, v32, vcc
	v_cmp_nlt_f32_e32 vcc, s4, v2
	v_pk_mul_f16 v74, v74, v12
	v_pk_mul_f16 v75, v75, v12
	v_cndmask_b32_e32 v2, v34, v11, vcc
	v_ldexp_f32 v11, v35, v49
	v_cmp_ngt_f32_e32 vcc, s2, v13
	v_cvt_f16_f32_e32 v12, v2
	v_pk_fma_f32 v[24:25], v[24:25], v[0:1], v[26:27]
	v_cndmask_b32_e32 v11, 0, v11, vcc
	v_cmp_nlt_f32_e32 vcc, s4, v13
	v_max_f32_e32 v13, v3, v3
	v_mul_u32_u24_e32 v12, 0x10001, v12
	v_cndmask_b32_e32 v30, v34, v11, vcc
	v_max_f32_e32 v11, v33, v33
	v_max_f32_e32 v11, v13, v11
	v_sub_f32_e32 v3, v3, v11
	v_mul_f32_e32 v13, 0x3fb8aa3b, v3
	v_fma_f32 v31, v3, s5, -v13
	v_rndne_f32_e32 v32, v13
	v_fmac_f32_e32 v31, 0x32a5705f, v3
	v_sub_f32_e32 v13, v13, v32
	v_add_f32_e32 v13, v13, v31
	v_exp_f32_e32 v13, v13
	v_cvt_i32_f32_e32 v31, v32
	v_pk_mul_f16 v72, v72, v12
	v_pk_mul_f16 v73, v73, v12
	v_cmp_ngt_f32_e32 vcc, s2, v3
	v_ldexp_f32 v12, v13, v31
	v_sub_f32_e32 v13, v33, v11
	v_mul_f32_e32 v31, 0x3fb8aa3b, v13
	v_fma_f32 v32, v13, s5, -v31
	v_rndne_f32_e32 v33, v31
	v_fmac_f32_e32 v32, 0x32a5705f, v13
	v_sub_f32_e32 v31, v31, v33
	v_add_f32_e32 v31, v31, v32
	v_exp_f32_e32 v31, v31
	v_cvt_i32_f32_e32 v32, v33
	v_cndmask_b32_e32 v12, 0, v12, vcc
	v_cmp_nlt_f32_e32 vcc, s4, v3
	s_nop 1
	v_cndmask_b32_e32 v3, v34, v12, vcc
	v_ldexp_f32 v12, v31, v32
	v_cmp_ngt_f32_e32 vcc, s2, v13
	v_max_f32_e32 v32, v4, v4
	s_nop 0
	v_cndmask_b32_e32 v12, 0, v12, vcc
	v_cmp_nlt_f32_e32 vcc, s4, v13
	v_cvt_f16_f32_e32 v13, v3
	v_mul_u32_u24_e32 v13, 0x10001, v13
	v_cndmask_b32_e32 v31, v34, v12, vcc
	s_waitcnt vmcnt(0)
	v_max_f32_e32 v12, v14, v14
	v_max_f32_e32 v12, v32, v12
	v_sub_f32_e32 v4, v4, v12
	v_mul_f32_e32 v32, 0x3fb8aa3b, v4
	v_fma_f32 v33, v4, s5, -v32
	v_rndne_f32_e32 v35, v32
	v_fmac_f32_e32 v33, 0x32a5705f, v4
	v_sub_f32_e32 v32, v32, v35
	v_add_f32_e32 v32, v32, v33
	v_exp_f32_e32 v32, v32
	v_cvt_i32_f32_e32 v33, v35
	v_sub_f32_e32 v14, v14, v12
	v_pk_mul_f16 v70, v70, v13
	v_pk_mul_f16 v71, v71, v13
	v_ldexp_f32 v13, v32, v33
	v_mul_f32_e32 v32, 0x3fb8aa3b, v14
	v_fma_f32 v33, v14, s5, -v32
	v_rndne_f32_e32 v35, v32
	v_fmac_f32_e32 v33, 0x32a5705f, v14
	v_sub_f32_e32 v32, v32, v35
	v_add_f32_e32 v32, v32, v33
	v_exp_f32_e32 v32, v32
	v_cvt_i32_f32_e32 v33, v35
	v_cmp_ngt_f32_e32 vcc, s2, v4
	v_pk_fma_f32 v[22:23], v[22:23], v[2:3], v[30:31]
	s_nop 0
	v_cndmask_b32_e32 v13, 0, v13, vcc
	v_cmp_nlt_f32_e32 vcc, s4, v4
	s_nop 1
	v_cndmask_b32_e32 v4, v34, v13, vcc
	v_ldexp_f32 v13, v32, v33
	v_cmp_ngt_f32_e32 vcc, s2, v14
	v_max_f32_e32 v33, v5, v5
	s_nop 0
	v_cndmask_b32_e32 v13, 0, v13, vcc
	v_cmp_nlt_f32_e32 vcc, s4, v14
	v_cvt_f16_f32_e32 v14, v4
	v_mul_u32_u24_e32 v14, 0x10001, v14
	v_cndmask_b32_e32 v32, v34, v13, vcc
	v_max_f32_e32 v13, v15, v15
	v_max_f32_e32 v13, v33, v13
	v_sub_f32_e32 v5, v5, v13
	v_mul_f32_e32 v33, 0x3fb8aa3b, v5
	v_fma_f32 v35, v5, s5, -v33
	v_rndne_f32_e32 v36, v33
	v_fmac_f32_e32 v35, 0x32a5705f, v5
	v_sub_f32_e32 v33, v33, v36
	v_add_f32_e32 v33, v33, v35
	v_exp_f32_e32 v33, v33
	v_cvt_i32_f32_e32 v35, v36
	v_sub_f32_e32 v15, v15, v13
	v_pk_mul_f16 v68, v68, v14
	v_pk_mul_f16 v69, v69, v14
	v_ldexp_f32 v14, v33, v35
	v_mul_f32_e32 v33, 0x3fb8aa3b, v15
	v_fma_f32 v35, v15, s5, -v33
	v_rndne_f32_e32 v36, v33
	v_fmac_f32_e32 v35, 0x32a5705f, v15
	v_sub_f32_e32 v33, v33, v36
	v_add_f32_e32 v33, v33, v35
	v_exp_f32_e32 v33, v33
	v_cvt_i32_f32_e32 v35, v36
	v_cmp_ngt_f32_e32 vcc, s2, v5
	s_nop 1
	v_cndmask_b32_e32 v14, 0, v14, vcc
	v_cmp_nlt_f32_e32 vcc, s4, v5
	s_nop 1
	v_cndmask_b32_e32 v5, v34, v14, vcc
	v_ldexp_f32 v14, v33, v35
	v_cmp_ngt_f32_e32 vcc, s2, v15
	v_max_f32_e32 v35, v6, v6
	s_nop 0
	v_cndmask_b32_e32 v14, 0, v14, vcc
	v_cmp_nlt_f32_e32 vcc, s4, v15
	v_cvt_f16_f32_e32 v15, v5
	v_mul_u32_u24_e32 v15, 0x10001, v15
	v_cndmask_b32_e32 v33, v34, v14, vcc
	v_max_f32_e32 v14, v16, v16
	v_max_f32_e32 v14, v35, v14
	v_sub_f32_e32 v6, v6, v14
	v_mul_f32_e32 v35, 0x3fb8aa3b, v6
	v_fma_f32 v36, v6, s5, -v35
	v_rndne_f32_e32 v37, v35
	v_fmac_f32_e32 v36, 0x32a5705f, v6
	v_sub_f32_e32 v35, v35, v37
	v_add_f32_e32 v35, v35, v36
	v_exp_f32_e32 v35, v35
	v_cvt_i32_f32_e32 v36, v37
	v_sub_f32_e32 v16, v16, v14
	v_pk_mul_f16 v66, v66, v15
	v_pk_mul_f16 v67, v67, v15
	v_ldexp_f32 v15, v35, v36
	v_mul_f32_e32 v35, 0x3fb8aa3b, v16
	v_fma_f32 v36, v16, s5, -v35
	v_rndne_f32_e32 v37, v35
	v_fmac_f32_e32 v36, 0x32a5705f, v16
	v_sub_f32_e32 v35, v35, v37
	v_add_f32_e32 v35, v35, v36
	v_exp_f32_e32 v35, v35
	v_cvt_i32_f32_e32 v36, v37
	v_cmp_ngt_f32_e32 vcc, s2, v6
	v_pk_fma_f32 v[20:21], v[20:21], v[4:5], v[32:33]
	s_nop 0
	v_cndmask_b32_e32 v15, 0, v15, vcc
	v_cmp_nlt_f32_e32 vcc, s4, v6
	s_nop 1
	v_cndmask_b32_e32 v6, v34, v15, vcc
	v_ldexp_f32 v15, v35, v36
	v_cmp_ngt_f32_e32 vcc, s2, v16
	v_max_f32_e32 v36, v7, v7
	v_cvt_f16_f32_e32 v35, v6
	v_cndmask_b32_e32 v15, 0, v15, vcc
	v_cmp_nlt_f32_e32 vcc, s4, v16
	v_mul_u32_u24_e32 v35, 0x10001, v35
	s_nop 0
	v_cndmask_b32_e32 v16, v34, v15, vcc
	v_max_f32_e32 v15, v17, v17
	v_max_f32_e32 v15, v36, v15
	v_sub_f32_e32 v7, v7, v15
	v_mul_f32_e32 v36, 0x3fb8aa3b, v7
	v_fma_f32 v37, v7, s5, -v36
	v_rndne_f32_e32 v38, v36
	v_fmac_f32_e32 v37, 0x32a5705f, v7
	v_sub_f32_e32 v36, v36, v38
	v_add_f32_e32 v36, v36, v37
	v_exp_f32_e32 v36, v36
	v_cvt_i32_f32_e32 v37, v38
	v_sub_f32_e32 v17, v17, v15
	v_pk_mul_f16 v64, v64, v35
	v_pk_mul_f16 v65, v65, v35
	v_ldexp_f32 v35, v36, v37
	v_mul_f32_e32 v36, 0x3fb8aa3b, v17
	v_fma_f32 v37, v17, s5, -v36
	v_rndne_f32_e32 v38, v36
	v_fmac_f32_e32 v37, 0x32a5705f, v17
	v_sub_f32_e32 v36, v36, v38
	v_add_f32_e32 v36, v36, v37
	v_exp_f32_e32 v36, v36
	v_cvt_i32_f32_e32 v37, v38
	v_cmp_ngt_f32_e32 vcc, s2, v7
	s_nop 1
	v_cndmask_b32_e32 v35, 0, v35, vcc
	v_cmp_nlt_f32_e32 vcc, s4, v7
	s_nop 1
	v_cndmask_b32_e32 v7, v34, v35, vcc
	v_ldexp_f32 v35, v36, v37
	v_cvt_f16_f32_e32 v36, v7
	v_cmp_ngt_f32_e32 vcc, s2, v17
	s_nop 1
	v_cndmask_b32_e32 v35, 0, v35, vcc
	v_cmp_nlt_f32_e32 vcc, s4, v17
	s_nop 1
	v_cndmask_b32_e32 v17, v34, v35, vcc
	v_mul_u32_u24_e32 v34, 0x10001, v36
	v_pk_fma_f32 v[18:19], v[18:19], v[6:7], v[16:17]
	v_mov_b64_e32 v[0:1], v[8:9]
	v_pk_mul_f16 v63, v63, v34
	v_pk_mul_f16 v45, v45, v34
	v_mov_b64_e32 v[2:3], v[10:11]
	v_mov_b64_e32 v[4:5], v[12:13]
	;; [unrolled: 1-line block ×3, first 2 shown]
.LBB0_12:
	v_cmp_gt_i32_e32 vcc, s78, v48
	s_and_saveexec_b64 s[4:5], vcc
	s_cbranch_execz .LBB0_45
; %bb.13:
	s_load_dword s8, s[0:1], 0xd4
	v_mov_b32_e32 v10, 1.0
	s_waitcnt lgkmcnt(0)
	s_cmp_lg_u32 s8, 1
	s_cselect_b64 s[0:1], -1, 0
	s_cmp_eq_u32 s8, 1
	s_cselect_b64 s[6:7], -1, 0
	s_and_b64 vcc, exec, s[0:1]
	s_cbranch_vccnz .LBB0_15
; %bb.14:
	v_div_scale_f32 v8, s[4:5], v24, v24, 1.0
	v_rcp_f32_e32 v9, v8
	v_div_scale_f32 v10, vcc, 1.0, v24, 1.0
	v_fma_f32 v11, -v8, v9, 1.0
	v_fmac_f32_e32 v9, v11, v9
	v_mul_f32_e32 v11, v10, v9
	v_fma_f32 v12, -v8, v11, v10
	v_fmac_f32_e32 v11, v12, v9
	v_fma_f32 v8, -v8, v11, v10
	v_div_fmas_f32 v8, v8, v9, v11
	v_div_fixup_f32 v10, v8, v24, 1.0
.LBB0_15:
	s_mul_i32 s33, s33, s78
	v_add_u32_e32 v8, s33, v48
	v_mul_lo_u32 v8, v8, s79
	v_add_u32_e32 v8, s80, v8
	v_cvt_f32_f16_sdwa v15, v76 dst_sel:DWORD dst_unused:UNUSED_PAD src0_sel:WORD_1
	v_cvt_f32_f16_e32 v14, v76
	v_cvt_f32_f16_sdwa v17, v77 dst_sel:DWORD dst_unused:UNUSED_PAD src0_sel:WORD_1
	v_cvt_f32_f16_e32 v16, v77
	v_mul_lo_u32 v8, s8, v8
	v_add_u32_e32 v8, s3, v8
	v_cmp_eq_u32_e32 vcc, 0, v28
	v_lshl_add_u32 v12, v8, 7, v29
	v_mov_b32_e32 v13, 0
	s_and_b64 s[4:5], vcc, s[0:1]
	v_lshl_add_u64 v[26:27], v[12:13], 2, s[72:73]
	v_pk_mul_f32 v[12:13], v[10:11], v[14:15] op_sel_hi:[0,1]
	v_pk_mul_f32 v[14:15], v[10:11], v[16:17] op_sel_hi:[0,1]
	global_store_dwordx4 v[26:27], v[12:15], off
	s_and_saveexec_b64 s[0:1], s[4:5]
	s_cbranch_execz .LBB0_17
; %bb.16:
	v_ashrrev_i32_e32 v9, 31, v8
	v_lshl_add_u64 v[10:11], v[8:9], 3, s[74:75]
	v_mov_b32_e32 v12, v0
	v_mov_b32_e32 v13, v24
	global_store_dwordx2 v[10:11], v[12:13], off
.LBB0_17:
	s_or_b64 exec, exec, s[0:1]
	v_cndmask_b32_e64 v0, 0, 1, s[6:7]
	v_cmp_ne_u32_e64 s[0:1], 1, v0
	s_andn2_b64 vcc, exec, s[6:7]
	v_mov_b32_e32 v0, 1.0
	s_cbranch_vccnz .LBB0_19
; %bb.18:
	v_div_scale_f32 v0, s[2:3], v25, v25, 1.0
	v_rcp_f32_e32 v9, v0
	v_div_scale_f32 v10, vcc, 1.0, v25, 1.0
	v_fma_f32 v11, -v0, v9, 1.0
	v_fmac_f32_e32 v9, v11, v9
	v_mul_f32_e32 v11, v10, v9
	v_fma_f32 v12, -v0, v11, v10
	v_fmac_f32_e32 v11, v12, v9
	v_fma_f32 v0, -v0, v11, v10
	v_div_fmas_f32 v0, v0, v9, v11
	v_div_fixup_f32 v0, v0, v25, 1.0
.LBB0_19:
	v_cvt_f32_f16_sdwa v13, v74 dst_sel:DWORD dst_unused:UNUSED_PAD src0_sel:WORD_1
	v_cvt_f32_f16_e32 v12, v74
	v_cvt_f32_f16_sdwa v15, v75 dst_sel:DWORD dst_unused:UNUSED_PAD src0_sel:WORD_1
	v_cvt_f32_f16_e32 v14, v75
	v_add_u32_e32 v8, s8, v8
	v_lshl_add_u32 v10, v8, 7, v29
	v_mov_b32_e32 v11, 0
	v_lshl_add_u64 v[16:17], v[10:11], 2, s[72:73]
	v_pk_mul_f32 v[10:11], v[0:1], v[12:13] op_sel_hi:[0,1]
	v_pk_mul_f32 v[12:13], v[0:1], v[14:15] op_sel_hi:[0,1]
	global_store_dwordx4 v[16:17], v[10:13], off
	s_and_saveexec_b64 s[2:3], s[4:5]
	s_cbranch_execz .LBB0_21
; %bb.20:
	v_ashrrev_i32_e32 v9, 31, v8
	v_lshl_add_u64 v[10:11], v[8:9], 3, s[74:75]
	v_mov_b32_e32 v24, v1
	global_store_dwordx2 v[10:11], v[24:25], off
.LBB0_21:
	s_or_b64 exec, exec, s[2:3]
	s_and_b64 vcc, exec, s[0:1]
	v_mov_b32_e32 v10, 1.0
	s_cbranch_vccnz .LBB0_23
; %bb.22:
	v_div_scale_f32 v0, s[2:3], v22, v22, 1.0
	v_rcp_f32_e32 v1, v0
	v_div_scale_f32 v9, vcc, 1.0, v22, 1.0
	v_fma_f32 v10, -v0, v1, 1.0
	v_fmac_f32_e32 v1, v10, v1
	v_mul_f32_e32 v10, v9, v1
	v_fma_f32 v11, -v0, v10, v9
	v_fmac_f32_e32 v10, v11, v1
	v_fma_f32 v0, -v0, v10, v9
	v_div_fmas_f32 v0, v0, v1, v10
	v_div_fixup_f32 v10, v0, v22, 1.0
.LBB0_23:
	v_cvt_f32_f16_sdwa v13, v72 dst_sel:DWORD dst_unused:UNUSED_PAD src0_sel:WORD_1
	v_cvt_f32_f16_e32 v12, v72
	v_cvt_f32_f16_sdwa v15, v73 dst_sel:DWORD dst_unused:UNUSED_PAD src0_sel:WORD_1
	v_cvt_f32_f16_e32 v14, v73
	v_add_u32_e32 v0, s8, v8
	v_lshl_add_u32 v8, v0, 7, v29
	v_mov_b32_e32 v9, 0
	v_lshl_add_u64 v[16:17], v[8:9], 2, s[72:73]
	v_pk_mul_f32 v[8:9], v[10:11], v[12:13] op_sel_hi:[0,1]
	v_pk_mul_f32 v[10:11], v[10:11], v[14:15] op_sel_hi:[0,1]
	global_store_dwordx4 v[16:17], v[8:11], off
	s_and_saveexec_b64 s[2:3], s[4:5]
	s_cbranch_execz .LBB0_25
; %bb.24:
	v_ashrrev_i32_e32 v1, 31, v0
	v_lshl_add_u64 v[8:9], v[0:1], 3, s[74:75]
	v_mov_b32_e32 v10, v2
	v_mov_b32_e32 v11, v22
	global_store_dwordx2 v[8:9], v[10:11], off
.LBB0_25:
	s_or_b64 exec, exec, s[2:3]
	s_and_b64 vcc, exec, s[0:1]
	v_mov_b32_e32 v2, 1.0
	s_cbranch_vccnz .LBB0_27
; %bb.26:
	v_div_scale_f32 v1, s[2:3], v23, v23, 1.0
	v_rcp_f32_e32 v2, v1
	v_div_scale_f32 v8, vcc, 1.0, v23, 1.0
	v_fma_f32 v9, -v1, v2, 1.0
	v_fmac_f32_e32 v2, v9, v2
	v_mul_f32_e32 v9, v8, v2
	v_fma_f32 v10, -v1, v9, v8
	v_fmac_f32_e32 v9, v10, v2
	v_fma_f32 v1, -v1, v9, v8
	v_div_fmas_f32 v1, v1, v2, v9
	v_div_fixup_f32 v2, v1, v23, 1.0
.LBB0_27:
	v_cvt_f32_f16_sdwa v11, v70 dst_sel:DWORD dst_unused:UNUSED_PAD src0_sel:WORD_1
	v_cvt_f32_f16_e32 v10, v70
	v_cvt_f32_f16_sdwa v13, v71 dst_sel:DWORD dst_unused:UNUSED_PAD src0_sel:WORD_1
	v_cvt_f32_f16_e32 v12, v71
	v_add_u32_e32 v0, s8, v0
	v_lshl_add_u32 v8, v0, 7, v29
	v_mov_b32_e32 v9, 0
	v_lshl_add_u64 v[14:15], v[8:9], 2, s[72:73]
	v_pk_mul_f32 v[8:9], v[2:3], v[10:11] op_sel_hi:[0,1]
	v_pk_mul_f32 v[10:11], v[2:3], v[12:13] op_sel_hi:[0,1]
	global_store_dwordx4 v[14:15], v[8:11], off
	s_and_saveexec_b64 s[2:3], s[4:5]
	s_cbranch_execz .LBB0_29
; %bb.28:
	v_ashrrev_i32_e32 v1, 31, v0
	v_lshl_add_u64 v[8:9], v[0:1], 3, s[74:75]
	v_mov_b32_e32 v22, v3
	global_store_dwordx2 v[8:9], v[22:23], off
.LBB0_29:
	s_or_b64 exec, exec, s[2:3]
	s_and_b64 vcc, exec, s[0:1]
	v_mov_b32_e32 v2, 1.0
	s_cbranch_vccnz .LBB0_31
; %bb.30:
	v_div_scale_f32 v1, s[2:3], v20, v20, 1.0
	v_rcp_f32_e32 v2, v1
	v_div_scale_f32 v3, vcc, 1.0, v20, 1.0
	v_fma_f32 v8, -v1, v2, 1.0
	v_fmac_f32_e32 v2, v8, v2
	v_mul_f32_e32 v8, v3, v2
	v_fma_f32 v9, -v1, v8, v3
	v_fmac_f32_e32 v8, v9, v2
	v_fma_f32 v1, -v1, v8, v3
	v_div_fmas_f32 v1, v1, v2, v8
	v_div_fixup_f32 v2, v1, v20, 1.0
.LBB0_31:
	v_cvt_f32_f16_sdwa v11, v68 dst_sel:DWORD dst_unused:UNUSED_PAD src0_sel:WORD_1
	v_cvt_f32_f16_e32 v10, v68
	v_cvt_f32_f16_sdwa v13, v69 dst_sel:DWORD dst_unused:UNUSED_PAD src0_sel:WORD_1
	v_cvt_f32_f16_e32 v12, v69
	v_add_u32_e32 v0, s8, v0
	v_lshl_add_u32 v8, v0, 7, v29
	v_mov_b32_e32 v9, 0
	v_lshl_add_u64 v[14:15], v[8:9], 2, s[72:73]
	v_pk_mul_f32 v[8:9], v[2:3], v[10:11] op_sel_hi:[0,1]
	v_pk_mul_f32 v[10:11], v[2:3], v[12:13] op_sel_hi:[0,1]
	global_store_dwordx4 v[14:15], v[8:11], off
	s_and_saveexec_b64 s[2:3], s[4:5]
	s_cbranch_execz .LBB0_33
; %bb.32:
	v_ashrrev_i32_e32 v1, 31, v0
	v_lshl_add_u64 v[2:3], v[0:1], 3, s[74:75]
	v_mov_b32_e32 v8, v4
	v_mov_b32_e32 v9, v20
	global_store_dwordx2 v[2:3], v[8:9], off
.LBB0_33:
	s_or_b64 exec, exec, s[2:3]
	s_and_b64 vcc, exec, s[0:1]
	v_mov_b32_e32 v2, 1.0
	s_cbranch_vccnz .LBB0_35
; %bb.34:
	v_div_scale_f32 v1, s[2:3], v21, v21, 1.0
	v_rcp_f32_e32 v2, v1
	v_div_scale_f32 v3, vcc, 1.0, v21, 1.0
	v_fma_f32 v4, -v1, v2, 1.0
	v_fmac_f32_e32 v2, v4, v2
	v_mul_f32_e32 v4, v3, v2
	v_fma_f32 v8, -v1, v4, v3
	v_fmac_f32_e32 v4, v8, v2
	v_fma_f32 v1, -v1, v4, v3
	v_div_fmas_f32 v1, v1, v2, v4
	v_div_fixup_f32 v2, v1, v21, 1.0
.LBB0_35:
	v_cvt_f32_f16_sdwa v11, v66 dst_sel:DWORD dst_unused:UNUSED_PAD src0_sel:WORD_1
	v_cvt_f32_f16_e32 v10, v66
	v_cvt_f32_f16_sdwa v13, v67 dst_sel:DWORD dst_unused:UNUSED_PAD src0_sel:WORD_1
	v_cvt_f32_f16_e32 v12, v67
	v_add_u32_e32 v0, s8, v0
	v_lshl_add_u32 v8, v0, 7, v29
	v_mov_b32_e32 v9, 0
	v_lshl_add_u64 v[14:15], v[8:9], 2, s[72:73]
	v_pk_mul_f32 v[8:9], v[2:3], v[10:11] op_sel_hi:[0,1]
	v_pk_mul_f32 v[10:11], v[2:3], v[12:13] op_sel_hi:[0,1]
	global_store_dwordx4 v[14:15], v[8:11], off
	s_and_saveexec_b64 s[2:3], s[4:5]
	s_cbranch_execz .LBB0_37
; %bb.36:
	v_ashrrev_i32_e32 v1, 31, v0
	v_lshl_add_u64 v[2:3], v[0:1], 3, s[74:75]
	v_mov_b32_e32 v20, v5
	global_store_dwordx2 v[2:3], v[20:21], off
.LBB0_37:
	s_or_b64 exec, exec, s[2:3]
	s_and_b64 vcc, exec, s[0:1]
	v_mov_b32_e32 v2, 1.0
	s_cbranch_vccnz .LBB0_39
; %bb.38:
	v_div_scale_f32 v1, s[2:3], v18, v18, 1.0
	v_rcp_f32_e32 v2, v1
	v_div_scale_f32 v3, vcc, 1.0, v18, 1.0
	v_fma_f32 v4, -v1, v2, 1.0
	v_fmac_f32_e32 v2, v4, v2
	v_mul_f32_e32 v4, v3, v2
	v_fma_f32 v5, -v1, v4, v3
	v_fmac_f32_e32 v4, v5, v2
	v_fma_f32 v1, -v1, v4, v3
	v_div_fmas_f32 v1, v1, v2, v4
	v_div_fixup_f32 v2, v1, v18, 1.0
.LBB0_39:
	v_cvt_f32_f16_sdwa v9, v64 dst_sel:DWORD dst_unused:UNUSED_PAD src0_sel:WORD_1
	v_cvt_f32_f16_e32 v8, v64
	v_cvt_f32_f16_sdwa v11, v65 dst_sel:DWORD dst_unused:UNUSED_PAD src0_sel:WORD_1
	v_cvt_f32_f16_e32 v10, v65
	v_add_u32_e32 v0, s8, v0
	v_lshl_add_u32 v4, v0, 7, v29
	v_mov_b32_e32 v5, 0
	v_lshl_add_u64 v[4:5], v[4:5], 2, s[72:73]
	v_pk_mul_f32 v[8:9], v[2:3], v[8:9] op_sel_hi:[0,1]
	v_pk_mul_f32 v[10:11], v[2:3], v[10:11] op_sel_hi:[0,1]
	global_store_dwordx4 v[4:5], v[8:11], off
	s_and_saveexec_b64 s[2:3], s[4:5]
	s_cbranch_execz .LBB0_41
; %bb.40:
	v_ashrrev_i32_e32 v1, 31, v0
	v_lshl_add_u64 v[2:3], v[0:1], 3, s[74:75]
	v_mov_b32_e32 v4, v6
	v_mov_b32_e32 v5, v18
	global_store_dwordx2 v[2:3], v[4:5], off
.LBB0_41:
	s_or_b64 exec, exec, s[2:3]
	s_and_b64 vcc, exec, s[0:1]
	v_mov_b32_e32 v2, 1.0
	s_cbranch_vccnz .LBB0_43
; %bb.42:
	v_div_scale_f32 v1, s[0:1], v19, v19, 1.0
	v_rcp_f32_e32 v2, v1
	v_div_scale_f32 v3, vcc, 1.0, v19, 1.0
	v_fma_f32 v4, -v1, v2, 1.0
	v_fmac_f32_e32 v2, v4, v2
	v_mul_f32_e32 v4, v3, v2
	v_fma_f32 v5, -v1, v4, v3
	v_fmac_f32_e32 v4, v5, v2
	v_fma_f32 v1, -v1, v4, v3
	v_div_fmas_f32 v1, v1, v2, v4
	v_div_fixup_f32 v2, v1, v19, 1.0
.LBB0_43:
	v_cvt_f32_f16_sdwa v9, v63 dst_sel:DWORD dst_unused:UNUSED_PAD src0_sel:WORD_1
	v_cvt_f32_f16_e32 v8, v63
	v_cvt_f32_f16_sdwa v11, v45 dst_sel:DWORD dst_unused:UNUSED_PAD src0_sel:WORD_1
	v_cvt_f32_f16_e32 v10, v45
	v_add_u32_e32 v0, s8, v0
	v_lshl_add_u32 v4, v0, 7, v29
	v_mov_b32_e32 v5, 0
	v_lshl_add_u64 v[4:5], v[4:5], 2, s[72:73]
	v_pk_mul_f32 v[8:9], v[2:3], v[8:9] op_sel_hi:[0,1]
	v_pk_mul_f32 v[10:11], v[2:3], v[10:11] op_sel_hi:[0,1]
	global_store_dwordx4 v[4:5], v[8:11], off
	s_and_b64 exec, exec, s[4:5]
	s_cbranch_execz .LBB0_45
; %bb.44:
	v_ashrrev_i32_e32 v1, 31, v0
	v_lshl_add_u64 v[0:1], v[0:1], 3, s[74:75]
	v_mov_b32_e32 v18, v7
	global_store_dwordx2 v[0:1], v[18:19], off
.LBB0_45:
	s_endpgm
	.section	.rodata,"a",@progbits
	.p2align	6, 0x0
	.amdhsa_kernel _ZL15flash_attn_tileILi128ELi128ELi8ELi8ELb0EEvPKcS1_S1_S1_S1_PKiPfP15HIP_vector_typeIfLj2EEffffjfiS5_IjLj3EEiiiiiiiiiiiliiliiiiil
		.amdhsa_group_segment_fixed_size 29696
		.amdhsa_private_segment_fixed_size 0
		.amdhsa_kernarg_size 464
		.amdhsa_user_sgpr_count 2
		.amdhsa_user_sgpr_dispatch_ptr 0
		.amdhsa_user_sgpr_queue_ptr 0
		.amdhsa_user_sgpr_kernarg_segment_ptr 1
		.amdhsa_user_sgpr_dispatch_id 0
		.amdhsa_user_sgpr_kernarg_preload_length 0
		.amdhsa_user_sgpr_kernarg_preload_offset 0
		.amdhsa_user_sgpr_private_segment_size 0
		.amdhsa_uses_dynamic_stack 0
		.amdhsa_enable_private_segment 0
		.amdhsa_system_sgpr_workgroup_id_x 1
		.amdhsa_system_sgpr_workgroup_id_y 1
		.amdhsa_system_sgpr_workgroup_id_z 1
		.amdhsa_system_sgpr_workgroup_info 0
		.amdhsa_system_vgpr_workitem_id 1
		.amdhsa_next_free_vgpr 120
		.amdhsa_next_free_sgpr 96
		.amdhsa_accum_offset 120
		.amdhsa_reserve_vcc 1
		.amdhsa_float_round_mode_32 0
		.amdhsa_float_round_mode_16_64 0
		.amdhsa_float_denorm_mode_32 3
		.amdhsa_float_denorm_mode_16_64 3
		.amdhsa_dx10_clamp 1
		.amdhsa_ieee_mode 1
		.amdhsa_fp16_overflow 0
		.amdhsa_tg_split 0
		.amdhsa_exception_fp_ieee_invalid_op 0
		.amdhsa_exception_fp_denorm_src 0
		.amdhsa_exception_fp_ieee_div_zero 0
		.amdhsa_exception_fp_ieee_overflow 0
		.amdhsa_exception_fp_ieee_underflow 0
		.amdhsa_exception_fp_ieee_inexact 0
		.amdhsa_exception_int_div_zero 0
	.end_amdhsa_kernel
	.section	.text._ZL15flash_attn_tileILi128ELi128ELi8ELi8ELb0EEvPKcS1_S1_S1_S1_PKiPfP15HIP_vector_typeIfLj2EEffffjfiS5_IjLj3EEiiiiiiiiiiiliiliiiiil,"axG",@progbits,_ZL15flash_attn_tileILi128ELi128ELi8ELi8ELb0EEvPKcS1_S1_S1_S1_PKiPfP15HIP_vector_typeIfLj2EEffffjfiS5_IjLj3EEiiiiiiiiiiiliiliiiiil,comdat
.Lfunc_end0:
	.size	_ZL15flash_attn_tileILi128ELi128ELi8ELi8ELb0EEvPKcS1_S1_S1_S1_PKiPfP15HIP_vector_typeIfLj2EEffffjfiS5_IjLj3EEiiiiiiiiiiiliiliiiiil, .Lfunc_end0-_ZL15flash_attn_tileILi128ELi128ELi8ELi8ELb0EEvPKcS1_S1_S1_S1_PKiPfP15HIP_vector_typeIfLj2EEffffjfiS5_IjLj3EEiiiiiiiiiiiliiliiiiil
                                        ; -- End function
	.set _ZL15flash_attn_tileILi128ELi128ELi8ELi8ELb0EEvPKcS1_S1_S1_S1_PKiPfP15HIP_vector_typeIfLj2EEffffjfiS5_IjLj3EEiiiiiiiiiiiliiliiiiil.num_vgpr, 120
	.set _ZL15flash_attn_tileILi128ELi128ELi8ELi8ELb0EEvPKcS1_S1_S1_S1_PKiPfP15HIP_vector_typeIfLj2EEffffjfiS5_IjLj3EEiiiiiiiiiiiliiliiiiil.num_agpr, 0
	.set _ZL15flash_attn_tileILi128ELi128ELi8ELi8ELb0EEvPKcS1_S1_S1_S1_PKiPfP15HIP_vector_typeIfLj2EEffffjfiS5_IjLj3EEiiiiiiiiiiiliiliiiiil.numbered_sgpr, 90
	.set _ZL15flash_attn_tileILi128ELi128ELi8ELi8ELb0EEvPKcS1_S1_S1_S1_PKiPfP15HIP_vector_typeIfLj2EEffffjfiS5_IjLj3EEiiiiiiiiiiiliiliiiiil.num_named_barrier, 0
	.set _ZL15flash_attn_tileILi128ELi128ELi8ELi8ELb0EEvPKcS1_S1_S1_S1_PKiPfP15HIP_vector_typeIfLj2EEffffjfiS5_IjLj3EEiiiiiiiiiiiliiliiiiil.private_seg_size, 0
	.set _ZL15flash_attn_tileILi128ELi128ELi8ELi8ELb0EEvPKcS1_S1_S1_S1_PKiPfP15HIP_vector_typeIfLj2EEffffjfiS5_IjLj3EEiiiiiiiiiiiliiliiiiil.uses_vcc, 1
	.set _ZL15flash_attn_tileILi128ELi128ELi8ELi8ELb0EEvPKcS1_S1_S1_S1_PKiPfP15HIP_vector_typeIfLj2EEffffjfiS5_IjLj3EEiiiiiiiiiiiliiliiiiil.uses_flat_scratch, 0
	.set _ZL15flash_attn_tileILi128ELi128ELi8ELi8ELb0EEvPKcS1_S1_S1_S1_PKiPfP15HIP_vector_typeIfLj2EEffffjfiS5_IjLj3EEiiiiiiiiiiiliiliiiiil.has_dyn_sized_stack, 0
	.set _ZL15flash_attn_tileILi128ELi128ELi8ELi8ELb0EEvPKcS1_S1_S1_S1_PKiPfP15HIP_vector_typeIfLj2EEffffjfiS5_IjLj3EEiiiiiiiiiiiliiliiiiil.has_recursion, 0
	.set _ZL15flash_attn_tileILi128ELi128ELi8ELi8ELb0EEvPKcS1_S1_S1_S1_PKiPfP15HIP_vector_typeIfLj2EEffffjfiS5_IjLj3EEiiiiiiiiiiiliiliiiiil.has_indirect_call, 0
	.section	.AMDGPU.csdata,"",@progbits
; Kernel info:
; codeLenInByte = 45064
; TotalNumSgprs: 96
; NumVgprs: 120
; NumAgprs: 0
; TotalNumVgprs: 120
; ScratchSize: 0
; MemoryBound: 0
; FloatMode: 240
; IeeeMode: 1
; LDSByteSize: 29696 bytes/workgroup (compile time only)
; SGPRBlocks: 12
; VGPRBlocks: 14
; NumSGPRsForWavesPerEU: 102
; NumVGPRsForWavesPerEU: 120
; AccumOffset: 120
; Occupancy: 4
; WaveLimiterHint : 1
; COMPUTE_PGM_RSRC2:SCRATCH_EN: 0
; COMPUTE_PGM_RSRC2:USER_SGPR: 2
; COMPUTE_PGM_RSRC2:TRAP_HANDLER: 0
; COMPUTE_PGM_RSRC2:TGID_X_EN: 1
; COMPUTE_PGM_RSRC2:TGID_Y_EN: 1
; COMPUTE_PGM_RSRC2:TGID_Z_EN: 1
; COMPUTE_PGM_RSRC2:TIDIG_COMP_CNT: 1
; COMPUTE_PGM_RSRC3_GFX90A:ACCUM_OFFSET: 29
; COMPUTE_PGM_RSRC3_GFX90A:TG_SPLIT: 0
	.section	.text._ZL25flash_attn_mask_to_KV_maxILi8EEvPK7__half2Piiii,"axG",@progbits,_ZL25flash_attn_mask_to_KV_maxILi8EEvPK7__half2Piiii,comdat
	.globl	_ZL25flash_attn_mask_to_KV_maxILi8EEvPK7__half2Piiii ; -- Begin function _ZL25flash_attn_mask_to_KV_maxILi8EEvPK7__half2Piiii
	.p2align	8
	.type	_ZL25flash_attn_mask_to_KV_maxILi8EEvPK7__half2Piiii,@function
_ZL25flash_attn_mask_to_KV_maxILi8EEvPK7__half2Piiii: ; @_ZL25flash_attn_mask_to_KV_maxILi8EEvPK7__half2Piiii
; %bb.0:
	s_load_dwordx4 s[4:7], s[0:1], 0x0
	v_cmp_gt_u32_e32 vcc, 32, v0
	s_and_saveexec_b64 s[8:9], vcc
; %bb.1:
	v_lshlrev_b32_e32 v1, 2, v0
	v_mov_b32_e32 v2, 1
	ds_write_b32 v1, v2
; %bb.2:
	s_or_b64 exec, exec, s[8:9]
	s_load_dwordx4 s[8:11], s[0:1], 0x10
	s_load_dword s33, s[0:1], 0x20
	v_and_b32_e32 v2, 31, v0
	v_lshlrev_b32_e32 v6, 2, v2
	v_lshrrev_b32_e32 v1, 3, v0
	s_waitcnt lgkmcnt(0)
	s_mul_i32 s1, s2, s9
	s_mul_i32 s0, s10, s3
	s_lshl_b32 s1, s1, 3
	s_add_i32 s0, s0, s1
	s_ashr_i32 s1, s0, 31
	s_lshl_b64 s[0:1], s[0:1], 2
	s_add_u32 s10, s4, s0
	s_addc_u32 s11, s5, s1
	v_cmp_eq_u32_e64 s[0:1], 0, v2
	v_mbcnt_lo_u32_b32 v2, -1, 0
	s_lshl_b32 s8, s8, 8
	s_mov_b64 s[12:13], 0
	v_mov_b32_e32 v3, 0
	s_movk_i32 s42, 0x204
	v_mbcnt_hi_u32_b32 v7, -1, v2
	s_barrier
                                        ; implicit-def: $sgpr4_sgpr5
	s_branch .LBB1_5
.LBB1_3:                                ;   in Loop: Header=BB1_5 Depth=1
	s_or_b64 exec, exec, s[14:15]
	s_waitcnt lgkmcnt(0)
	s_barrier
	ds_read_b32 v10, v6
	s_waitcnt lgkmcnt(0)
	s_barrier
	ds_bpermute_b32 v2, v2, v10
	v_cmp_ne_u32_e32 vcc, 0, v10
	s_waitcnt lgkmcnt(0)
	v_cmp_ne_u32_e64 s[4:5], 0, v2
	s_and_b64 s[4:5], vcc, s[4:5]
	s_nop 0
	v_cndmask_b32_e64 v2, 0, 1, s[4:5]
	ds_bpermute_b32 v2, v4, v2
	s_waitcnt lgkmcnt(0)
	v_cmp_ne_u32_e32 vcc, 0, v2
	s_and_b64 s[4:5], vcc, s[4:5]
	v_cndmask_b32_e64 v2, 0, 1, s[4:5]
	ds_bpermute_b32 v2, v5, v2
	s_waitcnt lgkmcnt(0)
	v_cmp_ne_u32_e32 vcc, 0, v2
	s_and_b64 s[4:5], vcc, s[4:5]
	;; [unrolled: 5-line block ×3, first 2 shown]
	v_cndmask_b32_e64 v2, 0, 1, s[4:5]
	ds_bpermute_b32 v2, v9, v2
	s_xor_b64 s[4:5], s[4:5], -1
	s_waitcnt lgkmcnt(0)
	v_cmp_eq_u32_e32 vcc, 0, v2
	s_or_b64 s[4:5], vcc, s[4:5]
.LBB1_4:                                ;   in Loop: Header=BB1_5 Depth=1
	s_and_b64 s[14:15], exec, s[4:5]
	s_or_b64 s[12:13], s[14:15], s[12:13]
	v_mov_b32_e32 v2, s8
	s_mov_b32 s8, s43
	s_andn2_b64 exec, exec, s[12:13]
	s_cbranch_execz .LBB1_36
.LBB1_5:                                ; =>This Inner Loop Header: Depth=1
	s_add_i32 s43, s8, 0xffffff00
	s_or_b64 s[4:5], s[4:5], exec
	s_cmp_lt_i32 s43, 0
	s_cbranch_scc1 .LBB1_4
; %bb.6:                                ;   in Loop: Header=BB1_5 Depth=1
	s_lshr_b32 s4, s43, 1
	v_add_u32_e32 v2, s4, v0
	v_lshl_add_u64 v[4:5], v[2:3], 2, s[10:11]
	global_load_dword v4, v[4:5], off
	v_mov_b32_e32 v5, 0
	s_waitcnt vmcnt(0)
	v_cmp_class_f16_e64 s[4:5], v4, s42
	v_cmp_class_f16_sdwa s[14:15], v4, s42 src0_sel:WORD_1 src1_sel:DWORD
	s_and_b64 s[14:15], s[4:5], s[14:15]
	s_and_saveexec_b64 s[4:5], s[14:15]
	s_cbranch_execz .LBB1_34
; %bb.7:                                ;   in Loop: Header=BB1_5 Depth=1
	v_add_u32_e32 v4, s9, v2
	v_ashrrev_i32_e32 v5, 31, v4
	v_lshl_add_u64 v[8:9], v[4:5], 2, s[10:11]
	global_load_dword v2, v[8:9], off
	v_mov_b32_e32 v5, 0
	s_waitcnt vmcnt(0)
	v_cmp_class_f16_e64 s[16:17], v2, s42
	s_and_saveexec_b64 s[14:15], s[16:17]
	s_cbranch_execz .LBB1_33
; %bb.8:                                ;   in Loop: Header=BB1_5 Depth=1
	v_cmp_class_f16_sdwa s[18:19], v2, s42 src0_sel:WORD_1 src1_sel:DWORD
	v_mov_b32_e32 v5, 0
	s_and_saveexec_b64 s[16:17], s[18:19]
	s_cbranch_execz .LBB1_32
; %bb.9:                                ;   in Loop: Header=BB1_5 Depth=1
	v_add_u32_e32 v4, s9, v4
	v_ashrrev_i32_e32 v5, 31, v4
	v_lshl_add_u64 v[8:9], v[4:5], 2, s[10:11]
	global_load_dword v2, v[8:9], off
	v_mov_b32_e32 v5, 0
	s_waitcnt vmcnt(0)
	v_cmp_class_f16_e64 s[20:21], v2, s42
	s_and_saveexec_b64 s[18:19], s[20:21]
	s_cbranch_execz .LBB1_31
; %bb.10:                               ;   in Loop: Header=BB1_5 Depth=1
	v_cmp_class_f16_sdwa s[22:23], v2, s42 src0_sel:WORD_1 src1_sel:DWORD
	v_mov_b32_e32 v5, 0
	s_and_saveexec_b64 s[20:21], s[22:23]
	s_cbranch_execz .LBB1_30
; %bb.11:                               ;   in Loop: Header=BB1_5 Depth=1
	v_add_u32_e32 v4, s9, v4
	v_ashrrev_i32_e32 v5, 31, v4
	v_lshl_add_u64 v[8:9], v[4:5], 2, s[10:11]
	global_load_dword v2, v[8:9], off
	v_mov_b32_e32 v5, 0
	s_waitcnt vmcnt(0)
	v_cmp_class_f16_e64 s[24:25], v2, s42
	s_and_saveexec_b64 s[22:23], s[24:25]
	s_cbranch_execz .LBB1_29
; %bb.12:                               ;   in Loop: Header=BB1_5 Depth=1
	v_cmp_class_f16_sdwa s[26:27], v2, s42 src0_sel:WORD_1 src1_sel:DWORD
	v_mov_b32_e32 v5, 0
	s_and_saveexec_b64 s[24:25], s[26:27]
	s_cbranch_execz .LBB1_28
; %bb.13:                               ;   in Loop: Header=BB1_5 Depth=1
	;; [unrolled: 15-line block ×5, first 2 shown]
	v_add_u32_e32 v4, s9, v4
	v_ashrrev_i32_e32 v5, 31, v4
	v_lshl_add_u64 v[4:5], v[4:5], 2, s[10:11]
	global_load_dword v2, v[4:5], off
	v_mov_b32_e32 v5, 0
	s_waitcnt vmcnt(0)
	v_cmp_class_f16_e64 s[44:45], v2, s42
	s_and_saveexec_b64 s[40:41], s[44:45]
; %bb.20:                               ;   in Loop: Header=BB1_5 Depth=1
	v_cmp_class_f16_sdwa s[44:45], v2, s42 src0_sel:WORD_1 src1_sel:DWORD
	s_nop 1
	v_cndmask_b32_e64 v5, 0, 1, s[44:45]
; %bb.21:                               ;   in Loop: Header=BB1_5 Depth=1
	s_or_b64 exec, exec, s[40:41]
.LBB1_22:                               ;   in Loop: Header=BB1_5 Depth=1
	s_or_b64 exec, exec, s[38:39]
.LBB1_23:                               ;   in Loop: Header=BB1_5 Depth=1
	s_or_b64 exec, exec, s[36:37]
.LBB1_24:                               ;   in Loop: Header=BB1_5 Depth=1
	s_or_b64 exec, exec, s[34:35]
.LBB1_25:                               ;   in Loop: Header=BB1_5 Depth=1
	s_or_b64 exec, exec, s[30:31]
.LBB1_26:                               ;   in Loop: Header=BB1_5 Depth=1
	s_or_b64 exec, exec, s[28:29]
.LBB1_27:                               ;   in Loop: Header=BB1_5 Depth=1
	s_or_b64 exec, exec, s[26:27]
.LBB1_28:                               ;   in Loop: Header=BB1_5 Depth=1
	s_or_b64 exec, exec, s[24:25]
.LBB1_29:                               ;   in Loop: Header=BB1_5 Depth=1
	s_or_b64 exec, exec, s[22:23]
.LBB1_30:                               ;   in Loop: Header=BB1_5 Depth=1
	s_or_b64 exec, exec, s[20:21]
.LBB1_31:                               ;   in Loop: Header=BB1_5 Depth=1
	s_or_b64 exec, exec, s[18:19]
.LBB1_32:                               ;   in Loop: Header=BB1_5 Depth=1
	s_or_b64 exec, exec, s[16:17]
.LBB1_33:                               ;   in Loop: Header=BB1_5 Depth=1
	s_or_b64 exec, exec, s[14:15]
.LBB1_34:                               ;   in Loop: Header=BB1_5 Depth=1
	s_or_b64 exec, exec, s[4:5]
	v_and_b32_e32 v2, 0x60, v7
	v_add_u32_e32 v9, 32, v2
	v_xor_b32_e32 v2, 16, v7
	v_cmp_lt_i32_e32 vcc, v2, v9
	v_xor_b32_e32 v11, 1, v7
	s_nop 0
	v_cndmask_b32_e32 v2, v7, v2, vcc
	v_lshlrev_b32_e32 v2, 2, v2
	ds_bpermute_b32 v4, v2, v5
	v_cmp_ne_u32_e32 vcc, 0, v5
	s_waitcnt lgkmcnt(0)
	v_cmp_ne_u32_e64 s[4:5], 0, v4
	v_xor_b32_e32 v4, 8, v7
	s_and_b64 s[4:5], vcc, s[4:5]
	v_cmp_lt_i32_e32 vcc, v4, v9
	v_cndmask_b32_e64 v5, 0, 1, s[4:5]
	s_nop 0
	v_cndmask_b32_e32 v4, v7, v4, vcc
	v_lshlrev_b32_e32 v4, 2, v4
	ds_bpermute_b32 v5, v4, v5
	s_waitcnt lgkmcnt(0)
	v_cmp_ne_u32_e32 vcc, 0, v5
	v_xor_b32_e32 v5, 4, v7
	s_and_b64 s[4:5], vcc, s[4:5]
	v_cmp_lt_i32_e32 vcc, v5, v9
	v_cndmask_b32_e64 v8, 0, 1, s[4:5]
	s_nop 0
	v_cndmask_b32_e32 v5, v7, v5, vcc
	v_lshlrev_b32_e32 v5, 2, v5
	ds_bpermute_b32 v8, v5, v8
	s_waitcnt lgkmcnt(0)
	v_cmp_ne_u32_e32 vcc, 0, v8
	;; [unrolled: 10-line block ×3, first 2 shown]
	s_and_b64 s[4:5], vcc, s[4:5]
	v_cmp_lt_i32_e32 vcc, v11, v9
	v_cndmask_b32_e64 v10, 0, 1, s[4:5]
	s_nop 0
	v_cndmask_b32_e32 v9, v7, v11, vcc
	v_lshlrev_b32_e32 v9, 2, v9
	ds_bpermute_b32 v10, v9, v10
	s_and_saveexec_b64 s[14:15], s[0:1]
	s_cbranch_execz .LBB1_3
; %bb.35:                               ;   in Loop: Header=BB1_5 Depth=1
	s_waitcnt lgkmcnt(0)
	v_cmp_ne_u32_e32 vcc, 0, v10
	s_and_b64 s[4:5], vcc, s[4:5]
	v_cndmask_b32_e64 v10, 0, 1, s[4:5]
	ds_write_b32 v1, v10
	s_branch .LBB1_3
.LBB1_36:
	s_or_b64 exec, exec, s[12:13]
	v_cmp_eq_u32_e32 vcc, 0, v0
	s_and_saveexec_b64 s[0:1], vcc
	s_cbranch_execz .LBB1_38
; %bb.37:
	s_mul_i32 s0, s33, s3
	s_add_i32 s0, s0, s2
	s_ashr_i32 s1, s0, 31
	s_lshl_b64 s[0:1], s[0:1], 2
	s_add_u32 s0, s6, s0
	s_addc_u32 s1, s7, s1
	v_mov_b32_e32 v0, 0
	global_store_dword v0, v2, s[0:1]
.LBB1_38:
	s_endpgm
	.section	.rodata,"a",@progbits
	.p2align	6, 0x0
	.amdhsa_kernel _ZL25flash_attn_mask_to_KV_maxILi8EEvPK7__half2Piiii
		.amdhsa_group_segment_fixed_size 128
		.amdhsa_private_segment_fixed_size 0
		.amdhsa_kernarg_size 288
		.amdhsa_user_sgpr_count 2
		.amdhsa_user_sgpr_dispatch_ptr 0
		.amdhsa_user_sgpr_queue_ptr 0
		.amdhsa_user_sgpr_kernarg_segment_ptr 1
		.amdhsa_user_sgpr_dispatch_id 0
		.amdhsa_user_sgpr_kernarg_preload_length 0
		.amdhsa_user_sgpr_kernarg_preload_offset 0
		.amdhsa_user_sgpr_private_segment_size 0
		.amdhsa_uses_dynamic_stack 0
		.amdhsa_enable_private_segment 0
		.amdhsa_system_sgpr_workgroup_id_x 1
		.amdhsa_system_sgpr_workgroup_id_y 1
		.amdhsa_system_sgpr_workgroup_id_z 0
		.amdhsa_system_sgpr_workgroup_info 0
		.amdhsa_system_vgpr_workitem_id 0
		.amdhsa_next_free_vgpr 12
		.amdhsa_next_free_sgpr 46
		.amdhsa_accum_offset 12
		.amdhsa_reserve_vcc 1
		.amdhsa_float_round_mode_32 0
		.amdhsa_float_round_mode_16_64 0
		.amdhsa_float_denorm_mode_32 3
		.amdhsa_float_denorm_mode_16_64 3
		.amdhsa_dx10_clamp 1
		.amdhsa_ieee_mode 1
		.amdhsa_fp16_overflow 0
		.amdhsa_tg_split 0
		.amdhsa_exception_fp_ieee_invalid_op 0
		.amdhsa_exception_fp_denorm_src 0
		.amdhsa_exception_fp_ieee_div_zero 0
		.amdhsa_exception_fp_ieee_overflow 0
		.amdhsa_exception_fp_ieee_underflow 0
		.amdhsa_exception_fp_ieee_inexact 0
		.amdhsa_exception_int_div_zero 0
	.end_amdhsa_kernel
	.section	.text._ZL25flash_attn_mask_to_KV_maxILi8EEvPK7__half2Piiii,"axG",@progbits,_ZL25flash_attn_mask_to_KV_maxILi8EEvPK7__half2Piiii,comdat
.Lfunc_end1:
	.size	_ZL25flash_attn_mask_to_KV_maxILi8EEvPK7__half2Piiii, .Lfunc_end1-_ZL25flash_attn_mask_to_KV_maxILi8EEvPK7__half2Piiii
                                        ; -- End function
	.set _ZL25flash_attn_mask_to_KV_maxILi8EEvPK7__half2Piiii.num_vgpr, 12
	.set _ZL25flash_attn_mask_to_KV_maxILi8EEvPK7__half2Piiii.num_agpr, 0
	.set _ZL25flash_attn_mask_to_KV_maxILi8EEvPK7__half2Piiii.numbered_sgpr, 46
	.set _ZL25flash_attn_mask_to_KV_maxILi8EEvPK7__half2Piiii.num_named_barrier, 0
	.set _ZL25flash_attn_mask_to_KV_maxILi8EEvPK7__half2Piiii.private_seg_size, 0
	.set _ZL25flash_attn_mask_to_KV_maxILi8EEvPK7__half2Piiii.uses_vcc, 1
	.set _ZL25flash_attn_mask_to_KV_maxILi8EEvPK7__half2Piiii.uses_flat_scratch, 0
	.set _ZL25flash_attn_mask_to_KV_maxILi8EEvPK7__half2Piiii.has_dyn_sized_stack, 0
	.set _ZL25flash_attn_mask_to_KV_maxILi8EEvPK7__half2Piiii.has_recursion, 0
	.set _ZL25flash_attn_mask_to_KV_maxILi8EEvPK7__half2Piiii.has_indirect_call, 0
	.section	.AMDGPU.csdata,"",@progbits
; Kernel info:
; codeLenInByte = 1292
; TotalNumSgprs: 52
; NumVgprs: 12
; NumAgprs: 0
; TotalNumVgprs: 12
; ScratchSize: 0
; MemoryBound: 0
; FloatMode: 240
; IeeeMode: 1
; LDSByteSize: 128 bytes/workgroup (compile time only)
; SGPRBlocks: 6
; VGPRBlocks: 1
; NumSGPRsForWavesPerEU: 52
; NumVGPRsForWavesPerEU: 12
; AccumOffset: 12
; Occupancy: 8
; WaveLimiterHint : 0
; COMPUTE_PGM_RSRC2:SCRATCH_EN: 0
; COMPUTE_PGM_RSRC2:USER_SGPR: 2
; COMPUTE_PGM_RSRC2:TRAP_HANDLER: 0
; COMPUTE_PGM_RSRC2:TGID_X_EN: 1
; COMPUTE_PGM_RSRC2:TGID_Y_EN: 1
; COMPUTE_PGM_RSRC2:TGID_Z_EN: 0
; COMPUTE_PGM_RSRC2:TIDIG_COMP_CNT: 0
; COMPUTE_PGM_RSRC3_GFX90A:ACCUM_OFFSET: 2
; COMPUTE_PGM_RSRC3_GFX90A:TG_SPLIT: 0
	.section	.text._ZL33flash_attn_stream_k_fixup_uniformILi128ELi8ELi8EEvPfPK15HIP_vector_typeIfLj2EEiiiiiiS1_IjLj3EES5_S5_,"axG",@progbits,_ZL33flash_attn_stream_k_fixup_uniformILi128ELi8ELi8EEvPfPK15HIP_vector_typeIfLj2EEiiiiiiS1_IjLj3EES5_S5_,comdat
	.globl	_ZL33flash_attn_stream_k_fixup_uniformILi128ELi8ELi8EEvPfPK15HIP_vector_typeIfLj2EEiiiiiiS1_IjLj3EES5_S5_ ; -- Begin function _ZL33flash_attn_stream_k_fixup_uniformILi128ELi8ELi8EEvPfPK15HIP_vector_typeIfLj2EEiiiiiiS1_IjLj3EES5_S5_
	.p2align	8
	.type	_ZL33flash_attn_stream_k_fixup_uniformILi128ELi8ELi8EEvPfPK15HIP_vector_typeIfLj2EEiiiiiiS1_IjLj3EES5_S5_,@function
_ZL33flash_attn_stream_k_fixup_uniformILi128ELi8ELi8EEvPfPK15HIP_vector_typeIfLj2EEiiiiiiS1_IjLj3EES5_S5_: ; @_ZL33flash_attn_stream_k_fixup_uniformILi128ELi8ELi8EEvPfPK15HIP_vector_typeIfLj2EEiiiiiiS1_IjLj3EES5_S5_
; %bb.0:
	s_load_dwordx8 s[8:15], s[0:1], 0x1c
	s_load_dwordx2 s[6:7], s[0:1], 0x10
	s_load_dwordx4 s[20:23], s[0:1], 0x3c
	s_waitcnt lgkmcnt(0)
	s_mul_hi_u32 s5, s11, s2
	s_add_i32 s5, s2, s5
	s_lshr_b32 s5, s5, s12
	s_mul_i32 s11, s5, s13
	s_sub_i32 s11, s2, s11
	s_mul_hi_u32 s12, s11, s14
	s_add_i32 s12, s11, s12
	s_lshr_b32 s16, s12, s15
	s_mul_i32 s12, s16, s20
	s_sub_i32 s11, s11, s12
	;; [unrolled: 5-line block ×3, first 2 shown]
	s_lshl_b32 s11, s12, 3
	s_lshl_b32 s12, s17, 3
	s_add_i32 s12, s12, s3
	s_cmp_lt_i32 s12, s6
	s_cselect_b64 s[12:13], -1, 0
	s_add_i32 s14, s11, s4
	s_cmp_lt_i32 s14, s9
	s_cselect_b64 s[14:15], -1, 0
	s_and_b64 s[12:13], s[12:13], s[14:15]
	s_andn2_b64 vcc, exec, s[12:13]
	s_cbranch_vccnz .LBB2_6
; %bb.1:
	s_load_dwordx4 s[12:15], s[0:1], 0x0
	s_mul_i32 s0, s5, s6
	s_add_i32 s0, s0, s3
	s_mul_i32 s0, s0, s7
	s_mul_i32 s16, s16, s9
	s_add_i32 s0, s0, s4
	s_add_i32 s0, s0, s16
	s_mul_i32 s1, s7, s17
	s_add_i32 s0, s0, s11
	s_lshl_b32 s1, s1, 10
	s_lshl_b32 s0, s0, 7
	s_add_i32 s1, s1, s0
	v_or_b32_e32 v4, s1, v0
	s_waitcnt lgkmcnt(0)
	v_mov_b32_e32 v2, s12
	v_mov_b32_e32 v3, s13
	v_ashrrev_i32_e32 v5, 31, v4
	v_lshl_add_u64 v[2:3], v[4:5], 2, v[2:3]
	global_load_dword v5, v[2:3], off
	s_mul_i32 s5, s10, s2
	s_lshl_b32 s11, s3, 3
	s_add_i32 s9, s5, s10
	s_add_i32 s0, s11, s4
	s_lshl_b32 s1, s9, 6
	s_add_i32 s0, s0, s1
	s_sub_i32 s0, s0, 64
	s_ashr_i32 s1, s0, 31
	s_lshl_b64 s[0:1], s[0:1], 3
	s_add_u32 s0, s14, s0
	s_addc_u32 s1, s15, s1
	s_load_dword s12, s[0:1], 0x4
	s_add_i32 s6, s9, -2
	s_cmp_lt_i32 s6, s5
	s_cbranch_scc1 .LBB2_4
; %bb.2:
	s_lshl_b32 s6, s8, 8
	s_ashr_i32 s7, s6, 31
	s_lshl_b64 s[6:7], s[6:7], 2
	s_add_u32 s6, s14, s6
	s_addc_u32 s7, s15, s7
	s_add_i32 s2, s2, 1
	s_load_dword s0, s[0:1], 0x0
	s_mul_i32 s1, s10, s2
	s_lshl_b32 s3, s3, 10
	s_lshl_b32 s10, s4, 7
	;; [unrolled: 1-line block ×3, first 2 shown]
	s_add_i32 s3, s10, s3
	s_lshl_b32 s1, s1, 6
	s_add_i32 s3, s3, s2
	s_add_i32 s1, s4, s1
	s_lshl_b32 s2, s8, 6
	s_add_i32 s1, s1, s2
	v_or_b32_e32 v0, s3, v0
	s_add_i32 s1, s1, s11
	s_add_i32 s9, s9, -1
	v_add_u32_e32 v0, 0xffffc000, v0
	s_add_i32 s2, s1, 0xffffff80
	s_waitcnt lgkmcnt(0)
	v_mov_b32_e32 v7, s0
	v_mov_b32_e32 v4, s12
	s_mov_b32 s4, 0x3fb8aa3b
	s_mov_b32 s8, 0xc2ce8ed0
	;; [unrolled: 1-line block ×3, first 2 shown]
	v_mov_b32_e32 v6, 0x7f800000
	s_mov_b32 s11, 0xc1a00000
.LBB2_3:                                ; =>This Inner Loop Header: Depth=1
	v_ashrrev_i32_e32 v1, 31, v0
	v_lshl_add_u64 v[8:9], v[0:1], 2, s[6:7]
	global_load_dword v9, v[8:9], off
	s_ashr_i32 s3, s2, 31
	s_lshl_b64 s[0:1], s[2:3], 3
	s_add_u32 s0, s14, s0
	s_addc_u32 s1, s15, s1
	s_load_dwordx2 s[0:1], s[0:1], 0x0
	v_max_f32_e32 v1, v7, v7
	s_add_i32 s9, s9, -1
	s_sub_i32 s2, s2, 64
	v_add_u32_e32 v0, 0xffffe000, v0
	s_waitcnt lgkmcnt(0)
	v_max_f32_e64 v10, s0, s0
	v_max_f32_e32 v1, v1, v10
	v_sub_f32_e32 v11, s0, v1
	v_sub_f32_e32 v10, v7, v1
	v_mul_f32_e32 v12, 0x3fb8aa3b, v11
	v_mov_b32_e32 v7, v1
	v_mul_f32_e32 v1, 0x3fb8aa3b, v10
	v_fma_f32 v15, v11, s4, -v12
	v_rndne_f32_e32 v16, v12
	v_fma_f32 v13, v10, s4, -v1
	v_rndne_f32_e32 v14, v1
	v_fmac_f32_e32 v15, 0x32a5705f, v11
	v_sub_f32_e32 v12, v12, v16
	v_fmac_f32_e32 v13, 0x32a5705f, v10
	v_sub_f32_e32 v1, v1, v14
	v_add_f32_e32 v12, v12, v15
	v_cvt_i32_f32_e32 v16, v16
	v_add_f32_e32 v1, v1, v13
	v_exp_f32_e32 v12, v12
	v_cvt_i32_f32_e32 v14, v14
	v_exp_f32_e32 v1, v1
	v_cmp_ngt_f32_e32 vcc, s8, v11
	v_ldexp_f32 v12, v12, v16
	v_mov_b32_e32 v8, s1
	v_ldexp_f32 v1, v1, v14
	v_cmp_ngt_f32_e64 s[0:1], s8, v10
	v_cndmask_b32_e32 v12, 0, v12, vcc
	v_cmp_nlt_f32_e32 vcc, s10, v11
	v_cndmask_b32_e64 v1, 0, v1, s[0:1]
	v_cmp_nlt_f32_e64 s[0:1], s10, v10
	v_cndmask_b32_e32 v12, v6, v12, vcc
	v_cmp_le_f32_e32 vcc, s11, v11
	v_cndmask_b32_e64 v1, v6, v1, s[0:1]
	v_cmp_le_f32_e64 s[0:1], s11, v10
	v_cndmask_b32_e32 v12, 0, v12, vcc
	s_cmp_le_i32 s9, s5
	v_cndmask_b32_e64 v10, 0, v1, s[0:1]
	s_waitcnt vmcnt(0)
	v_pk_mul_f32 v[8:9], v[8:9], v[12:13] op_sel_hi:[1,0]
	s_nop 0
	v_pk_fma_f32 v[4:5], v[4:5], v[10:11], v[8:9] op_sel_hi:[1,0,1]
	s_cbranch_scc0 .LBB2_3
	s_branch .LBB2_5
.LBB2_4:
	s_waitcnt lgkmcnt(0)
	v_mov_b32_e32 v4, s12
.LBB2_5:
	s_waitcnt vmcnt(0)
	v_div_scale_f32 v0, s[0:1], v4, v4, v5
	v_rcp_f32_e32 v1, v0
	v_div_scale_f32 v6, vcc, v5, v4, v5
	v_fma_f32 v7, -v0, v1, 1.0
	v_fmac_f32_e32 v1, v7, v1
	v_mul_f32_e32 v7, v6, v1
	v_fma_f32 v8, -v0, v7, v6
	v_fmac_f32_e32 v7, v8, v1
	v_fma_f32 v0, -v0, v7, v6
	v_div_fmas_f32 v0, v0, v1, v7
	v_div_fixup_f32 v0, v0, v4, v5
	global_store_dword v[2:3], v0, off
.LBB2_6:
	s_endpgm
	.section	.rodata,"a",@progbits
	.p2align	6, 0x0
	.amdhsa_kernel _ZL33flash_attn_stream_k_fixup_uniformILi128ELi8ELi8EEvPfPK15HIP_vector_typeIfLj2EEiiiiiiS1_IjLj3EES5_S5_
		.amdhsa_group_segment_fixed_size 0
		.amdhsa_private_segment_fixed_size 0
		.amdhsa_kernarg_size 76
		.amdhsa_user_sgpr_count 2
		.amdhsa_user_sgpr_dispatch_ptr 0
		.amdhsa_user_sgpr_queue_ptr 0
		.amdhsa_user_sgpr_kernarg_segment_ptr 1
		.amdhsa_user_sgpr_dispatch_id 0
		.amdhsa_user_sgpr_kernarg_preload_length 0
		.amdhsa_user_sgpr_kernarg_preload_offset 0
		.amdhsa_user_sgpr_private_segment_size 0
		.amdhsa_uses_dynamic_stack 0
		.amdhsa_enable_private_segment 0
		.amdhsa_system_sgpr_workgroup_id_x 1
		.amdhsa_system_sgpr_workgroup_id_y 1
		.amdhsa_system_sgpr_workgroup_id_z 1
		.amdhsa_system_sgpr_workgroup_info 0
		.amdhsa_system_vgpr_workitem_id 0
		.amdhsa_next_free_vgpr 17
		.amdhsa_next_free_sgpr 24
		.amdhsa_accum_offset 20
		.amdhsa_reserve_vcc 1
		.amdhsa_float_round_mode_32 0
		.amdhsa_float_round_mode_16_64 0
		.amdhsa_float_denorm_mode_32 3
		.amdhsa_float_denorm_mode_16_64 3
		.amdhsa_dx10_clamp 1
		.amdhsa_ieee_mode 1
		.amdhsa_fp16_overflow 0
		.amdhsa_tg_split 0
		.amdhsa_exception_fp_ieee_invalid_op 0
		.amdhsa_exception_fp_denorm_src 0
		.amdhsa_exception_fp_ieee_div_zero 0
		.amdhsa_exception_fp_ieee_overflow 0
		.amdhsa_exception_fp_ieee_underflow 0
		.amdhsa_exception_fp_ieee_inexact 0
		.amdhsa_exception_int_div_zero 0
	.end_amdhsa_kernel
	.section	.text._ZL33flash_attn_stream_k_fixup_uniformILi128ELi8ELi8EEvPfPK15HIP_vector_typeIfLj2EEiiiiiiS1_IjLj3EES5_S5_,"axG",@progbits,_ZL33flash_attn_stream_k_fixup_uniformILi128ELi8ELi8EEvPfPK15HIP_vector_typeIfLj2EEiiiiiiS1_IjLj3EES5_S5_,comdat
.Lfunc_end2:
	.size	_ZL33flash_attn_stream_k_fixup_uniformILi128ELi8ELi8EEvPfPK15HIP_vector_typeIfLj2EEiiiiiiS1_IjLj3EES5_S5_, .Lfunc_end2-_ZL33flash_attn_stream_k_fixup_uniformILi128ELi8ELi8EEvPfPK15HIP_vector_typeIfLj2EEiiiiiiS1_IjLj3EES5_S5_
                                        ; -- End function
	.set _ZL33flash_attn_stream_k_fixup_uniformILi128ELi8ELi8EEvPfPK15HIP_vector_typeIfLj2EEiiiiiiS1_IjLj3EES5_S5_.num_vgpr, 17
	.set _ZL33flash_attn_stream_k_fixup_uniformILi128ELi8ELi8EEvPfPK15HIP_vector_typeIfLj2EEiiiiiiS1_IjLj3EES5_S5_.num_agpr, 0
	.set _ZL33flash_attn_stream_k_fixup_uniformILi128ELi8ELi8EEvPfPK15HIP_vector_typeIfLj2EEiiiiiiS1_IjLj3EES5_S5_.numbered_sgpr, 24
	.set _ZL33flash_attn_stream_k_fixup_uniformILi128ELi8ELi8EEvPfPK15HIP_vector_typeIfLj2EEiiiiiiS1_IjLj3EES5_S5_.num_named_barrier, 0
	.set _ZL33flash_attn_stream_k_fixup_uniformILi128ELi8ELi8EEvPfPK15HIP_vector_typeIfLj2EEiiiiiiS1_IjLj3EES5_S5_.private_seg_size, 0
	.set _ZL33flash_attn_stream_k_fixup_uniformILi128ELi8ELi8EEvPfPK15HIP_vector_typeIfLj2EEiiiiiiS1_IjLj3EES5_S5_.uses_vcc, 1
	.set _ZL33flash_attn_stream_k_fixup_uniformILi128ELi8ELi8EEvPfPK15HIP_vector_typeIfLj2EEiiiiiiS1_IjLj3EES5_S5_.uses_flat_scratch, 0
	.set _ZL33flash_attn_stream_k_fixup_uniformILi128ELi8ELi8EEvPfPK15HIP_vector_typeIfLj2EEiiiiiiS1_IjLj3EES5_S5_.has_dyn_sized_stack, 0
	.set _ZL33flash_attn_stream_k_fixup_uniformILi128ELi8ELi8EEvPfPK15HIP_vector_typeIfLj2EEiiiiiiS1_IjLj3EES5_S5_.has_recursion, 0
	.set _ZL33flash_attn_stream_k_fixup_uniformILi128ELi8ELi8EEvPfPK15HIP_vector_typeIfLj2EEiiiiiiS1_IjLj3EES5_S5_.has_indirect_call, 0
	.section	.AMDGPU.csdata,"",@progbits
; Kernel info:
; codeLenInByte = 840
; TotalNumSgprs: 30
; NumVgprs: 17
; NumAgprs: 0
; TotalNumVgprs: 17
; ScratchSize: 0
; MemoryBound: 0
; FloatMode: 240
; IeeeMode: 1
; LDSByteSize: 0 bytes/workgroup (compile time only)
; SGPRBlocks: 3
; VGPRBlocks: 2
; NumSGPRsForWavesPerEU: 30
; NumVGPRsForWavesPerEU: 17
; AccumOffset: 20
; Occupancy: 8
; WaveLimiterHint : 0
; COMPUTE_PGM_RSRC2:SCRATCH_EN: 0
; COMPUTE_PGM_RSRC2:USER_SGPR: 2
; COMPUTE_PGM_RSRC2:TRAP_HANDLER: 0
; COMPUTE_PGM_RSRC2:TGID_X_EN: 1
; COMPUTE_PGM_RSRC2:TGID_Y_EN: 1
; COMPUTE_PGM_RSRC2:TGID_Z_EN: 1
; COMPUTE_PGM_RSRC2:TIDIG_COMP_CNT: 0
; COMPUTE_PGM_RSRC3_GFX90A:ACCUM_OFFSET: 4
; COMPUTE_PGM_RSRC3_GFX90A:TG_SPLIT: 0
	.section	.text._ZL33flash_attn_stream_k_fixup_generalILi128ELi8ELi8EEvPfPK15HIP_vector_typeIfLj2EEiiiiS1_IjLj3EES5_S5_S5_,"axG",@progbits,_ZL33flash_attn_stream_k_fixup_generalILi128ELi8ELi8EEvPfPK15HIP_vector_typeIfLj2EEiiiiS1_IjLj3EES5_S5_S5_,comdat
	.globl	_ZL33flash_attn_stream_k_fixup_generalILi128ELi8ELi8EEvPfPK15HIP_vector_typeIfLj2EEiiiiS1_IjLj3EES5_S5_S5_ ; -- Begin function _ZL33flash_attn_stream_k_fixup_generalILi128ELi8ELi8EEvPfPK15HIP_vector_typeIfLj2EEiiiiS1_IjLj3EES5_S5_S5_
	.p2align	8
	.type	_ZL33flash_attn_stream_k_fixup_generalILi128ELi8ELi8EEvPfPK15HIP_vector_typeIfLj2EEiiiiS1_IjLj3EES5_S5_S5_,@function
_ZL33flash_attn_stream_k_fixup_generalILi128ELi8ELi8EEvPfPK15HIP_vector_typeIfLj2EEiiiiS1_IjLj3EES5_S5_S5_: ; @_ZL33flash_attn_stream_k_fixup_generalILi128ELi8ELi8EEvPfPK15HIP_vector_typeIfLj2EEiiiiS1_IjLj3EES5_S5_S5_
; %bb.0:
	s_load_dwordx4 s[8:11], s[0:1], 0x10
	s_load_dword s22, s[0:1], 0x50
	s_mov_b32 s12, 0
	s_waitcnt lgkmcnt(0)
	s_mul_hi_i32 s13, s11, s2
	s_cmp_lg_u64 s[12:13], 0
	s_mul_i32 s5, s11, s2
	s_cbranch_scc0 .LBB3_20
; %bb.1:
	s_add_u32 s6, s22, 0
	s_addc_u32 s7, 0, 0
	s_xor_b64 s[6:7], s[6:7], 0
	v_cvt_f32_u32_e32 v1, s6
	v_cvt_f32_u32_e32 v2, s7
	s_sub_u32 s12, 0, s6
	s_subb_u32 s18, 0, s7
	v_fmamk_f32 v1, v2, 0x4f800000, v1
	v_rcp_f32_e32 v1, v1
	s_nop 0
	v_mul_f32_e32 v1, 0x5f7ffffc, v1
	v_mul_f32_e32 v2, 0x2f800000, v1
	v_trunc_f32_e32 v2, v2
	v_fmamk_f32 v1, v2, 0xcf800000, v1
	v_cvt_u32_f32_e32 v2, v2
	v_cvt_u32_f32_e32 v1, v1
	v_readfirstlane_b32 s19, v2
	v_readfirstlane_b32 s14, v1
	s_mul_i32 s15, s12, s19
	s_mul_hi_u32 s21, s12, s14
	s_mul_i32 s20, s18, s14
	s_add_i32 s15, s21, s15
	s_add_i32 s15, s15, s20
	s_mul_i32 s23, s12, s14
	s_mul_i32 s21, s14, s15
	s_mul_hi_u32 s24, s14, s23
	s_mul_hi_u32 s20, s14, s15
	s_add_u32 s21, s24, s21
	s_addc_u32 s20, 0, s20
	s_mul_hi_u32 s25, s19, s23
	s_mul_i32 s23, s19, s23
	s_add_u32 s21, s21, s23
	s_mul_hi_u32 s24, s19, s15
	s_addc_u32 s20, s20, s25
	s_addc_u32 s21, s24, 0
	s_mul_i32 s15, s19, s15
	s_add_u32 s15, s20, s15
	s_addc_u32 s20, 0, s21
	s_add_u32 s21, s14, s15
	s_cselect_b64 s[14:15], -1, 0
	s_cmp_lg_u64 s[14:15], 0
	s_addc_u32 s19, s19, s20
	s_mul_i32 s14, s12, s19
	s_mul_hi_u32 s15, s12, s21
	s_add_i32 s14, s15, s14
	s_mul_i32 s18, s18, s21
	s_add_i32 s14, s14, s18
	s_mul_i32 s12, s12, s21
	s_mul_hi_u32 s18, s19, s12
	s_mul_i32 s20, s19, s12
	s_mul_i32 s24, s21, s14
	s_mul_hi_u32 s12, s21, s12
	s_mul_hi_u32 s23, s21, s14
	s_add_u32 s12, s12, s24
	s_addc_u32 s23, 0, s23
	s_add_u32 s12, s12, s20
	s_mul_hi_u32 s15, s19, s14
	s_addc_u32 s12, s23, s18
	s_addc_u32 s15, s15, 0
	s_mul_i32 s14, s19, s14
	s_add_u32 s12, s12, s14
	s_addc_u32 s18, 0, s15
	s_add_u32 s20, s21, s12
	s_cselect_b64 s[14:15], -1, 0
	s_cmp_lg_u64 s[14:15], 0
	s_addc_u32 s18, s19, s18
	s_ashr_i32 s14, s13, 31
	s_add_u32 s12, s5, s14
	s_mov_b32 s15, s14
	s_addc_u32 s13, s13, s14
	s_xor_b64 s[12:13], s[12:13], s[14:15]
	s_mul_i32 s21, s12, s18
	s_mul_hi_u32 s23, s12, s20
	s_mul_hi_u32 s19, s12, s18
	s_add_u32 s21, s23, s21
	s_addc_u32 s19, 0, s19
	s_mul_hi_u32 s24, s13, s20
	s_mul_i32 s20, s13, s20
	s_add_u32 s20, s21, s20
	s_mul_hi_u32 s23, s13, s18
	s_addc_u32 s19, s19, s24
	s_addc_u32 s20, s23, 0
	s_mul_i32 s18, s13, s18
	s_add_u32 s23, s19, s18
	s_addc_u32 s24, 0, s20
	s_mul_i32 s18, s6, s24
	s_mul_hi_u32 s19, s6, s23
	s_add_i32 s18, s19, s18
	s_mul_i32 s19, s7, s23
	s_add_i32 s25, s18, s19
	s_sub_i32 s20, s13, s25
	s_mul_i32 s18, s6, s23
	s_sub_u32 s12, s12, s18
	s_cselect_b64 s[18:19], -1, 0
	s_cmp_lg_u64 s[18:19], 0
	s_subb_u32 s26, s20, s7
	s_sub_u32 s27, s12, s6
	s_cselect_b64 s[20:21], -1, 0
	s_cmp_lg_u64 s[20:21], 0
	s_subb_u32 s20, s26, 0
	s_cmp_ge_u32 s20, s7
	s_cselect_b32 s21, -1, 0
	s_cmp_ge_u32 s27, s6
	s_cselect_b32 s26, -1, 0
	s_cmp_eq_u32 s20, s7
	s_cselect_b32 s20, s26, s21
	s_add_u32 s21, s23, 1
	s_addc_u32 s26, s24, 0
	s_add_u32 s27, s23, 2
	s_addc_u32 s28, s24, 0
	s_cmp_lg_u32 s20, 0
	s_cselect_b32 s20, s27, s21
	s_cselect_b32 s21, s28, s26
	s_cmp_lg_u64 s[18:19], 0
	s_subb_u32 s13, s13, s25
	s_cmp_ge_u32 s13, s7
	s_cselect_b32 s18, -1, 0
	s_cmp_ge_u32 s12, s6
	s_cselect_b32 s6, -1, 0
	s_cmp_eq_u32 s13, s7
	s_cselect_b32 s6, s6, s18
	s_cmp_lg_u32 s6, 0
	s_cselect_b32 s7, s21, s24
	s_cselect_b32 s6, s20, s23
	s_xor_b64 s[12:13], s[14:15], 0
	s_xor_b64 s[6:7], s[6:7], s[12:13]
	s_sub_u32 s6, s6, s12
	s_load_dwordx4 s[12:15], s[0:1], 0x44
	s_cbranch_execnz .LBB3_3
.LBB3_2:
	v_cvt_f32_u32_e32 v1, s22
	s_sub_i32 s6, 0, s22
	v_rcp_iflag_f32_e32 v1, v1
	s_nop 0
	v_mul_f32_e32 v1, 0x4f7ffffe, v1
	v_cvt_u32_f32_e32 v1, v1
	s_nop 0
	v_readfirstlane_b32 s7, v1
	s_mul_i32 s6, s6, s7
	s_mul_hi_u32 s6, s7, s6
	s_add_i32 s7, s7, s6
	s_mul_hi_u32 s6, s5, s7
	s_waitcnt lgkmcnt(0)
	s_mul_i32 s15, s6, s22
	s_sub_i32 s5, s5, s15
	s_add_i32 s7, s6, 1
	s_sub_i32 s15, s5, s22
	s_cmp_ge_u32 s5, s22
	s_cselect_b32 s6, s7, s6
	s_cselect_b32 s5, s15, s5
	s_add_i32 s7, s6, 1
	s_cmp_ge_u32 s5, s22
	s_cselect_b32 s6, s7, s6
.LBB3_3:
	s_add_i32 s5, s2, 1
	s_mul_hi_i32 s21, s11, s5
	s_mov_b32 s20, 0
	s_cmp_lg_u64 s[20:21], 0
	s_mul_i32 s5, s11, s5
	s_cbranch_scc0 .LBB3_21
; %bb.4:
	s_add_u32 s16, s22, 0
	s_addc_u32 s17, 0, 0
	s_xor_b64 s[18:19], s[16:17], 0
	v_cvt_f32_u32_e32 v1, s18
	v_cvt_f32_u32_e32 v2, s19
	s_sub_u32 s7, 0, s18
	s_waitcnt lgkmcnt(0)
	s_subb_u32 s15, 0, s19
	v_fmamk_f32 v1, v2, 0x4f800000, v1
	v_rcp_f32_e32 v1, v1
	s_nop 0
	v_mul_f32_e32 v1, 0x5f7ffffc, v1
	v_mul_f32_e32 v2, 0x2f800000, v1
	v_trunc_f32_e32 v2, v2
	v_fmamk_f32 v1, v2, 0xcf800000, v1
	v_cvt_u32_f32_e32 v2, v2
	v_cvt_u32_f32_e32 v1, v1
	v_readfirstlane_b32 s20, v2
	v_readfirstlane_b32 s23, v1
	s_mul_i32 s24, s7, s20
	s_mul_hi_u32 s26, s7, s23
	s_mul_i32 s25, s15, s23
	s_add_i32 s24, s26, s24
	s_add_i32 s24, s24, s25
	s_mul_i32 s27, s7, s23
	s_mul_i32 s26, s23, s24
	s_mul_hi_u32 s28, s23, s27
	s_mul_hi_u32 s25, s23, s24
	s_add_u32 s26, s28, s26
	s_addc_u32 s25, 0, s25
	s_mul_hi_u32 s29, s20, s27
	s_mul_i32 s27, s20, s27
	s_add_u32 s26, s26, s27
	s_mul_hi_u32 s28, s20, s24
	s_addc_u32 s25, s25, s29
	s_addc_u32 s26, s28, 0
	s_mul_i32 s24, s20, s24
	s_add_u32 s24, s25, s24
	s_addc_u32 s26, 0, s26
	s_add_u32 s23, s23, s24
	s_cselect_b64 s[24:25], -1, 0
	s_cmp_lg_u64 s[24:25], 0
	s_addc_u32 s20, s20, s26
	s_mul_i32 s24, s7, s20
	s_mul_hi_u32 s25, s7, s23
	s_add_i32 s24, s25, s24
	s_mul_i32 s15, s15, s23
	s_add_i32 s24, s24, s15
	s_mul_i32 s7, s7, s23
	s_mul_hi_u32 s25, s20, s7
	s_mul_i32 s26, s20, s7
	s_mul_i32 s28, s23, s24
	s_mul_hi_u32 s7, s23, s7
	s_mul_hi_u32 s27, s23, s24
	s_add_u32 s7, s7, s28
	s_addc_u32 s27, 0, s27
	s_add_u32 s7, s7, s26
	s_mul_hi_u32 s15, s20, s24
	s_addc_u32 s7, s27, s25
	s_addc_u32 s15, s15, 0
	s_mul_i32 s24, s20, s24
	s_add_u32 s7, s7, s24
	s_addc_u32 s15, 0, s15
	s_add_u32 s7, s23, s7
	s_cselect_b64 s[24:25], -1, 0
	s_cmp_lg_u64 s[24:25], 0
	s_addc_u32 s15, s20, s15
	s_ashr_i32 s24, s21, 31
	s_add_u32 s20, s5, s24
	s_mov_b32 s25, s24
	s_addc_u32 s21, s21, s24
	s_xor_b64 s[20:21], s[20:21], s[24:25]
	s_mul_i32 s26, s20, s15
	s_mul_hi_u32 s27, s20, s7
	s_mul_hi_u32 s23, s20, s15
	s_add_u32 s26, s27, s26
	s_addc_u32 s23, 0, s23
	s_mul_hi_u32 s28, s21, s7
	s_mul_i32 s7, s21, s7
	s_add_u32 s7, s26, s7
	s_mul_hi_u32 s27, s21, s15
	s_addc_u32 s7, s23, s28
	s_addc_u32 s23, s27, 0
	s_mul_i32 s15, s21, s15
	s_add_u32 s7, s7, s15
	s_addc_u32 s15, 0, s23
	s_mul_i32 s23, s18, s15
	s_mul_hi_u32 s26, s18, s7
	s_add_i32 s23, s26, s23
	s_mul_i32 s26, s19, s7
	s_add_i32 s23, s23, s26
	s_sub_i32 s28, s21, s23
	s_mul_i32 s26, s18, s7
	s_sub_u32 s20, s20, s26
	s_cselect_b64 s[26:27], -1, 0
	s_cmp_lg_u64 s[26:27], 0
	s_subb_u32 s30, s28, s19
	s_sub_u32 s31, s20, s18
	s_cselect_b64 s[28:29], -1, 0
	s_cmp_lg_u64 s[28:29], 0
	s_subb_u32 s28, s30, 0
	s_cmp_ge_u32 s28, s19
	s_cselect_b32 s29, -1, 0
	s_cmp_ge_u32 s31, s18
	s_cselect_b32 s30, -1, 0
	s_cmp_eq_u32 s28, s19
	s_cselect_b32 s28, s30, s29
	s_add_u32 s29, s7, 1
	s_addc_u32 s30, s15, 0
	s_add_u32 s31, s7, 2
	s_addc_u32 s33, s15, 0
	s_cmp_lg_u32 s28, 0
	s_cselect_b32 s28, s31, s29
	s_cselect_b32 s29, s33, s30
	s_cmp_lg_u64 s[26:27], 0
	s_subb_u32 s21, s21, s23
	s_cmp_ge_u32 s21, s19
	s_cselect_b32 s23, -1, 0
	s_cmp_ge_u32 s20, s18
	s_cselect_b32 s18, -1, 0
	s_cmp_eq_u32 s21, s19
	s_cselect_b32 s18, s18, s23
	s_cmp_lg_u32 s18, 0
	s_cselect_b32 s19, s29, s15
	s_cselect_b32 s18, s28, s7
	s_xor_b64 s[20:21], s[24:25], 0
	s_xor_b64 s[18:19], s[18:19], s[20:21]
	s_sub_u32 s18, s18, s20
	s_cbranch_execnz .LBB3_6
.LBB3_5:
	v_cvt_f32_u32_e32 v1, s22
	s_sub_i32 s7, 0, s22
	v_rcp_iflag_f32_e32 v1, v1
	s_nop 0
	v_mul_f32_e32 v1, 0x4f7ffffe, v1
	v_cvt_u32_f32_e32 v1, v1
	s_waitcnt lgkmcnt(0)
	v_readfirstlane_b32 s15, v1
	s_mul_i32 s7, s7, s15
	s_mul_hi_u32 s7, s15, s7
	s_add_i32 s15, s15, s7
	s_mul_hi_u32 s7, s5, s15
	s_mul_i32 s16, s7, s22
	s_sub_i32 s5, s5, s16
	s_add_i32 s15, s7, 1
	s_sub_i32 s16, s5, s22
	s_cmp_ge_u32 s5, s22
	s_cselect_b32 s7, s15, s7
	s_cselect_b32 s5, s16, s5
	s_add_i32 s15, s7, 1
	s_cmp_ge_u32 s5, s22
	s_cselect_b32 s18, s15, s7
.LBB3_6:
	s_cmp_eq_u32 s6, s18
	s_waitcnt lgkmcnt(0)
	s_mul_hi_u32 s5, s6, s12
	s_cselect_b64 s[16:17], -1, 0
	s_add_i32 s5, s5, s6
	s_lshr_b32 s7, s5, s13
	s_mul_i32 s5, s7, s14
	s_cmp_eq_u32 s5, s6
	s_mul_hi_u32 s5, s18, s12
	s_cselect_b64 s[20:21], -1, 0
	s_add_i32 s5, s5, s18
	s_lshr_b32 s5, s5, s13
	s_cmp_eq_u32 s7, s5
	s_mul_i32 s5, s5, s14
	s_cselect_b64 s[24:25], -1, 0
	s_cmp_lg_u32 s5, s18
	s_cselect_b64 s[18:19], -1, 0
	s_and_b64 s[18:19], s[24:25], s[18:19]
	s_or_b64 s[16:17], s[16:17], s[20:21]
	s_or_b64 s[16:17], s[16:17], s[18:19]
	s_and_b64 vcc, exec, s[16:17]
	s_cbranch_vccnz .LBB3_23
; %bb.7:
	s_load_dwordx8 s[24:31], s[0:1], 0x20
	s_load_dword s15, s[0:1], 0x40
	s_waitcnt lgkmcnt(0)
	s_mul_hi_u32 s5, s6, s24
	s_add_i32 s5, s5, s6
	s_lshr_b32 s5, s5, s25
	s_mul_i32 s16, s5, s26
	s_sub_i32 s16, s6, s16
	s_mul_hi_u32 s17, s16, s27
	s_add_i32 s17, s16, s17
	s_lshr_b32 s20, s17, s28
	s_mul_i32 s17, s20, s29
	s_sub_i32 s16, s16, s17
	;; [unrolled: 5-line block ×3, first 2 shown]
	s_mul_hi_u32 s16, s15, s12
	s_add_i32 s15, s15, s16
	s_lshr_b32 s23, s15, s13
	s_lshl_b32 s15, s23, 3
	s_lshl_b32 s21, s17, 3
	s_add_i32 s15, s15, s3
	s_cmp_lt_i32 s15, s8
	s_cselect_b64 s[16:17], -1, 0
	s_add_i32 s15, s21, s4
	s_cmp_lt_i32 s15, s10
	s_cselect_b64 s[18:19], -1, 0
	s_and_b64 s[16:17], s[16:17], s[18:19]
	s_andn2_b64 vcc, exec, s[16:17]
	s_cbranch_vccnz .LBB3_23
; %bb.8:
	s_load_dwordx4 s[16:19], s[0:1], 0x0
	s_mov_b32 s0, 0
	s_lshl_b32 s15, s3, 3
	s_lshl_b32 s24, s22, 8
	s_mov_b32 s25, s0
	s_add_i32 s15, s15, s4
	s_waitcnt lgkmcnt(0)
	v_mov_b32_e32 v2, s16
	v_mov_b32_e32 v3, s17
	s_lshl_b64 s[16:17], s[24:25], 2
	s_add_u32 s16, s18, s16
	s_mul_i32 s1, s5, s8
	s_addc_u32 s17, s19, s17
	s_add_i32 s1, s1, s3
	s_mul_i32 s1, s1, s9
	s_mul_i32 s20, s20, s10
	s_add_i32 s1, s1, s4
	s_add_i32 s1, s1, s20
	s_mul_i32 s5, s9, s23
	s_add_i32 s1, s1, s21
	s_lshl_b32 s5, s5, 10
	s_lshl_b32 s1, s1, 7
	s_add_i32 s5, s5, s1
	v_or_b32_e32 v4, s5, v0
	v_ashrrev_i32_e32 v5, 31, v4
	v_lshl_add_u64 v[2:3], v[4:5], 2, v[2:3]
	global_load_dword v1, v[2:3], off
	v_cvt_f32_u32_e32 v4, s22
	s_lshl_b32 s1, s2, 6
	s_add_i32 s4, s15, s1
	s_ashr_i32 s5, s4, 31
	s_lshl_b64 s[4:5], s[4:5], 3
	v_rcp_iflag_f32_e32 v4, v4
	s_add_u32 s4, s18, s4
	s_addc_u32 s5, s19, s5
	s_load_dwordx2 s[4:5], s[4:5], 0x0
	v_mul_f32_e32 v4, 0x4f7ffffe, v4
	v_cvt_u32_f32_e32 v7, v4
	s_add_i32 s24, s2, -1
	v_lshl_or_b32 v6, s15, 7, v0
	s_waitcnt lgkmcnt(0)
	v_mov_b32_e32 v0, s5
	v_mov_b32_e32 v9, s4
	s_mov_b32 s10, 0x3fb8aa3b
	s_mov_b32 s20, 0xc2ce8ed0
	;; [unrolled: 1-line block ×4, first 2 shown]
	v_mov_b32_e32 v8, 0x7f800000
	s_mul_hi_i32 s1, s24, s11
	s_cmp_lg_u64 s[0:1], 0
	s_mul_i32 s8, s24, s11
	s_cbranch_scc0 .LBB3_19
.LBB3_9:
	s_add_u32 s2, s22, 0
	s_addc_u32 s3, 0, 0
	s_xor_b64 s[2:3], s[2:3], 0
	v_cvt_f32_u32_e32 v4, s2
	v_cvt_f32_u32_e32 v5, s3
	s_sub_u32 s9, 0, s2
	s_subb_u32 s25, 0, s3
	v_fmac_f32_e32 v4, 0x4f800000, v5
	v_rcp_f32_e32 v4, v4
	s_nop 0
	v_mul_f32_e32 v4, 0x5f7ffffc, v4
	v_mul_f32_e32 v5, 0x2f800000, v4
	v_trunc_f32_e32 v5, v5
	v_fmac_f32_e32 v4, 0xcf800000, v5
	v_cvt_u32_f32_e32 v5, v5
	v_cvt_u32_f32_e32 v4, v4
	v_readfirstlane_b32 s26, v5
	v_readfirstlane_b32 s4, v4
	s_mul_i32 s5, s9, s26
	s_mul_hi_u32 s28, s9, s4
	s_mul_i32 s27, s25, s4
	s_add_i32 s5, s28, s5
	s_mul_i32 s29, s9, s4
	s_add_i32 s5, s5, s27
	s_mul_i32 s28, s4, s5
	s_mul_hi_u32 s30, s4, s29
	s_mul_hi_u32 s27, s4, s5
	s_add_u32 s28, s30, s28
	s_addc_u32 s27, 0, s27
	s_mul_hi_u32 s31, s26, s29
	s_mul_i32 s29, s26, s29
	s_add_u32 s28, s28, s29
	s_mul_hi_u32 s30, s26, s5
	s_addc_u32 s27, s27, s31
	s_addc_u32 s28, s30, 0
	s_mul_i32 s5, s26, s5
	s_add_u32 s5, s27, s5
	s_addc_u32 s27, 0, s28
	s_add_u32 s28, s4, s5
	s_cselect_b64 s[4:5], -1, 0
	s_cmp_lg_u64 s[4:5], 0
	s_addc_u32 s26, s26, s27
	s_mul_i32 s4, s9, s26
	s_mul_hi_u32 s5, s9, s28
	s_add_i32 s4, s5, s4
	s_mul_i32 s25, s25, s28
	s_add_i32 s4, s4, s25
	s_mul_i32 s9, s9, s28
	s_mul_hi_u32 s25, s26, s9
	s_mul_i32 s27, s26, s9
	s_mul_i32 s30, s28, s4
	s_mul_hi_u32 s9, s28, s9
	s_mul_hi_u32 s29, s28, s4
	s_add_u32 s9, s9, s30
	s_addc_u32 s29, 0, s29
	s_add_u32 s9, s9, s27
	s_mul_hi_u32 s5, s26, s4
	s_addc_u32 s9, s29, s25
	s_addc_u32 s5, s5, 0
	s_mul_i32 s4, s26, s4
	s_add_u32 s4, s9, s4
	s_addc_u32 s9, 0, s5
	s_add_u32 s25, s28, s4
	s_cselect_b64 s[4:5], -1, 0
	s_cmp_lg_u64 s[4:5], 0
	s_addc_u32 s9, s26, s9
	s_ashr_i32 s4, s1, 31
	s_add_u32 s26, s8, s4
	s_mov_b32 s5, s4
	s_addc_u32 s27, s1, s4
	s_xor_b64 s[26:27], s[26:27], s[4:5]
	s_mul_i32 s28, s26, s9
	s_mul_hi_u32 s29, s26, s25
	s_mul_hi_u32 s1, s26, s9
	s_add_u32 s28, s29, s28
	s_addc_u32 s1, 0, s1
	s_mul_hi_u32 s30, s27, s25
	s_mul_i32 s25, s27, s25
	s_add_u32 s25, s28, s25
	s_mul_hi_u32 s29, s27, s9
	s_addc_u32 s1, s1, s30
	s_addc_u32 s25, s29, 0
	s_mul_i32 s9, s27, s9
	s_add_u32 s1, s1, s9
	s_addc_u32 s9, 0, s25
	s_mul_i32 s25, s2, s9
	s_mul_hi_u32 s28, s2, s1
	s_add_i32 s25, s28, s25
	s_mul_i32 s28, s3, s1
	s_add_i32 s25, s25, s28
	s_sub_i32 s30, s27, s25
	s_mul_i32 s28, s2, s1
	s_sub_u32 s26, s26, s28
	s_cselect_b64 s[28:29], -1, 0
	s_cmp_lg_u64 s[28:29], 0
	s_subb_u32 s33, s30, s3
	s_sub_u32 s34, s26, s2
	s_cselect_b64 s[30:31], -1, 0
	s_cmp_lg_u64 s[30:31], 0
	s_subb_u32 s30, s33, 0
	s_cmp_ge_u32 s30, s3
	s_cselect_b32 s31, -1, 0
	s_cmp_ge_u32 s34, s2
	s_cselect_b32 s33, -1, 0
	s_cmp_eq_u32 s30, s3
	s_cselect_b32 s30, s33, s31
	s_add_u32 s31, s1, 1
	s_addc_u32 s33, s9, 0
	s_add_u32 s34, s1, 2
	s_addc_u32 s35, s9, 0
	s_cmp_lg_u32 s30, 0
	s_cselect_b32 s30, s34, s31
	s_cselect_b32 s31, s35, s33
	s_cmp_lg_u64 s[28:29], 0
	s_subb_u32 s25, s27, s25
	s_cmp_ge_u32 s25, s3
	s_cselect_b32 s27, -1, 0
	s_cmp_ge_u32 s26, s2
	s_cselect_b32 s2, -1, 0
	s_cmp_eq_u32 s25, s3
	s_cselect_b32 s2, s2, s27
	s_cmp_lg_u32 s2, 0
	s_cselect_b32 s3, s31, s9
	s_cselect_b32 s2, s30, s1
	s_xor_b64 s[4:5], s[4:5], 0
	s_xor_b64 s[2:3], s[2:3], s[4:5]
	s_sub_u32 s4, s2, s4
	s_cbranch_execnz .LBB3_11
.LBB3_10:
	s_sub_i32 s1, 0, s22
	v_readfirstlane_b32 s2, v7
	s_mul_i32 s1, s1, s2
	s_mul_hi_u32 s1, s2, s1
	s_add_i32 s2, s2, s1
	s_mul_hi_u32 s1, s8, s2
	s_mul_i32 s3, s1, s22
	s_sub_i32 s3, s8, s3
	s_add_i32 s2, s1, 1
	s_sub_i32 s4, s3, s22
	s_cmp_ge_u32 s3, s22
	s_cselect_b32 s1, s2, s1
	s_cselect_b32 s3, s4, s3
	s_add_i32 s2, s1, 1
	s_cmp_ge_u32 s3, s22
	s_cselect_b32 s4, s2, s1
.LBB3_11:
	s_cmp_lg_u32 s6, s4
	s_cbranch_scc0 .LBB3_15
; %bb.12:
	s_add_i32 s1, s24, s22
	s_lshl_b32 s1, s1, 6
	s_add_i32 s2, s1, s15
	s_mov_b32 s3, s0
	s_lshl_b64 s[2:3], s[2:3], 3
	s_add_u32 s8, s18, s2
	s_mul_hi_u32 s1, s4, s12
	s_addc_u32 s9, s19, s3
	s_add_i32 s1, s1, s4
	s_lshr_b32 s1, s1, s13
	s_mul_i32 s2, s1, s14
	s_cmp_eq_u32 s2, s4
	s_cselect_b64 s[2:3], -1, 0
	s_cmp_lt_u32 s1, s7
	s_cselect_b64 s[26:27], -1, 0
	s_or_b64 s[26:27], s[26:27], s[2:3]
	s_mov_b64 s[2:3], -1
	s_and_b64 vcc, exec, s[26:27]
	s_mov_b32 s1, s24
	s_mov_b32 s25, s6
	s_cbranch_vccnz .LBB3_14
; %bb.13:
	s_add_i32 s1, s24, -1
	s_mov_b64 s[2:3], 0
	s_mov_b32 s25, s4
.LBB3_14:
	v_lshl_add_u32 v4, s24, 13, v6
	v_ashrrev_i32_e32 v5, 31, v4
	v_lshl_add_u64 v[4:5], v[4:5], 2, s[16:17]
	global_load_dword v5, v[4:5], off
	s_load_dwordx2 s[4:5], s[8:9], 0x0
	v_max_f32_e32 v4, v9, v9
	s_waitcnt lgkmcnt(0)
	v_max_f32_e64 v10, s4, s4
	v_max_f32_e32 v10, v4, v10
	v_sub_f32_e32 v11, v9, v10
	v_sub_f32_e32 v13, s4, v10
	v_mul_f32_e32 v4, 0x3fb8aa3b, v11
	v_mul_f32_e32 v12, 0x3fb8aa3b, v13
	v_fma_f32 v14, v11, s10, -v4
	v_rndne_f32_e32 v15, v4
	v_fma_f32 v16, v13, s10, -v12
	v_rndne_f32_e32 v17, v12
	v_fmac_f32_e32 v14, 0x32a5705f, v11
	v_sub_f32_e32 v4, v4, v15
	v_fmac_f32_e32 v16, 0x32a5705f, v13
	v_sub_f32_e32 v12, v12, v17
	v_add_f32_e32 v4, v4, v14
	v_cvt_i32_f32_e32 v15, v15
	v_add_f32_e32 v12, v12, v16
	v_exp_f32_e32 v14, v4
	v_cvt_i32_f32_e32 v17, v17
	v_exp_f32_e32 v12, v12
	v_cmp_ngt_f32_e32 vcc, s20, v11
	v_ldexp_f32 v14, v14, v15
	v_mov_b32_e32 v4, s5
	v_ldexp_f32 v12, v12, v17
	v_cndmask_b32_e32 v14, 0, v14, vcc
	v_cmp_ngt_f32_e32 vcc, s20, v13
	s_nop 1
	v_cndmask_b32_e32 v12, 0, v12, vcc
	v_cmp_nlt_f32_e32 vcc, s21, v11
	s_nop 1
	v_cndmask_b32_e32 v14, v8, v14, vcc
	v_cmp_nlt_f32_e32 vcc, s21, v13
	s_nop 1
	v_cndmask_b32_e32 v15, v8, v12, vcc
	v_cmp_le_f32_e32 vcc, s23, v11
	s_nop 1
	v_cndmask_b32_e32 v12, 0, v14, vcc
	v_cmp_le_f32_e32 vcc, s23, v13
	s_nop 1
	v_cndmask_b32_e32 v14, 0, v15, vcc
	s_waitcnt vmcnt(0)
	v_pk_mul_f32 v[4:5], v[4:5], v[14:15] op_sel_hi:[1,0]
	s_nop 0
	v_pk_fma_f32 v[4:5], v[0:1], v[12:13], v[4:5] op_sel_hi:[1,0,1]
	s_cbranch_execz .LBB3_16
	s_branch .LBB3_17
.LBB3_15:
                                        ; implicit-def: $vgpr4_vgpr5
                                        ; implicit-def: $sgpr2_sgpr3
                                        ; implicit-def: $vgpr10
                                        ; implicit-def: $sgpr1
                                        ; implicit-def: $sgpr25
.LBB3_16:
	s_add_i32 s1, s24, -1
	s_mov_b64 s[2:3], 0
	s_mov_b32 s25, s6
	v_mov_b32_e32 v10, v9
	s_waitcnt vmcnt(0)
	v_mov_b64_e32 v[4:5], v[0:1]
.LBB3_17:
	s_andn2_b64 vcc, exec, s[2:3]
	s_cbranch_vccz .LBB3_22
; %bb.18:
	s_mov_b32 s6, s25
	s_mov_b32 s24, s1
	v_mov_b32_e32 v9, v10
	s_waitcnt vmcnt(0)
	v_mov_b64_e32 v[0:1], v[4:5]
	s_mul_hi_i32 s1, s24, s11
	s_cmp_lg_u64 s[0:1], 0
	s_mul_i32 s8, s24, s11
	s_cbranch_scc1 .LBB3_9
.LBB3_19:
                                        ; implicit-def: $sgpr4_sgpr5
	s_branch .LBB3_10
.LBB3_20:
                                        ; implicit-def: $sgpr6_sgpr7
	s_load_dwordx4 s[12:15], s[0:1], 0x44
	s_branch .LBB3_2
.LBB3_21:
                                        ; implicit-def: $sgpr18_sgpr19
	s_branch .LBB3_5
.LBB3_22:
	v_div_scale_f32 v0, s[0:1], v4, v4, v5
	s_waitcnt vmcnt(0)
	v_rcp_f32_e32 v1, v0
	v_div_scale_f32 v6, vcc, v5, v4, v5
	v_fma_f32 v7, -v0, v1, 1.0
	v_fmac_f32_e32 v1, v7, v1
	v_mul_f32_e32 v7, v6, v1
	v_fma_f32 v8, -v0, v7, v6
	v_fmac_f32_e32 v7, v8, v1
	v_fma_f32 v0, -v0, v7, v6
	v_div_fmas_f32 v0, v0, v1, v7
	v_div_fixup_f32 v0, v0, v4, v5
	global_store_dword v[2:3], v0, off
.LBB3_23:
	s_endpgm
	.section	.rodata,"a",@progbits
	.p2align	6, 0x0
	.amdhsa_kernel _ZL33flash_attn_stream_k_fixup_generalILi128ELi8ELi8EEvPfPK15HIP_vector_typeIfLj2EEiiiiS1_IjLj3EES5_S5_S5_
		.amdhsa_group_segment_fixed_size 0
		.amdhsa_private_segment_fixed_size 0
		.amdhsa_kernarg_size 336
		.amdhsa_user_sgpr_count 2
		.amdhsa_user_sgpr_dispatch_ptr 0
		.amdhsa_user_sgpr_queue_ptr 0
		.amdhsa_user_sgpr_kernarg_segment_ptr 1
		.amdhsa_user_sgpr_dispatch_id 0
		.amdhsa_user_sgpr_kernarg_preload_length 0
		.amdhsa_user_sgpr_kernarg_preload_offset 0
		.amdhsa_user_sgpr_private_segment_size 0
		.amdhsa_uses_dynamic_stack 0
		.amdhsa_enable_private_segment 0
		.amdhsa_system_sgpr_workgroup_id_x 1
		.amdhsa_system_sgpr_workgroup_id_y 1
		.amdhsa_system_sgpr_workgroup_id_z 1
		.amdhsa_system_sgpr_workgroup_info 0
		.amdhsa_system_vgpr_workitem_id 0
		.amdhsa_next_free_vgpr 18
		.amdhsa_next_free_sgpr 36
		.amdhsa_accum_offset 20
		.amdhsa_reserve_vcc 1
		.amdhsa_float_round_mode_32 0
		.amdhsa_float_round_mode_16_64 0
		.amdhsa_float_denorm_mode_32 3
		.amdhsa_float_denorm_mode_16_64 3
		.amdhsa_dx10_clamp 1
		.amdhsa_ieee_mode 1
		.amdhsa_fp16_overflow 0
		.amdhsa_tg_split 0
		.amdhsa_exception_fp_ieee_invalid_op 0
		.amdhsa_exception_fp_denorm_src 0
		.amdhsa_exception_fp_ieee_div_zero 0
		.amdhsa_exception_fp_ieee_overflow 0
		.amdhsa_exception_fp_ieee_underflow 0
		.amdhsa_exception_fp_ieee_inexact 0
		.amdhsa_exception_int_div_zero 0
	.end_amdhsa_kernel
	.section	.text._ZL33flash_attn_stream_k_fixup_generalILi128ELi8ELi8EEvPfPK15HIP_vector_typeIfLj2EEiiiiS1_IjLj3EES5_S5_S5_,"axG",@progbits,_ZL33flash_attn_stream_k_fixup_generalILi128ELi8ELi8EEvPfPK15HIP_vector_typeIfLj2EEiiiiS1_IjLj3EES5_S5_S5_,comdat
.Lfunc_end3:
	.size	_ZL33flash_attn_stream_k_fixup_generalILi128ELi8ELi8EEvPfPK15HIP_vector_typeIfLj2EEiiiiS1_IjLj3EES5_S5_S5_, .Lfunc_end3-_ZL33flash_attn_stream_k_fixup_generalILi128ELi8ELi8EEvPfPK15HIP_vector_typeIfLj2EEiiiiS1_IjLj3EES5_S5_S5_
                                        ; -- End function
	.set _ZL33flash_attn_stream_k_fixup_generalILi128ELi8ELi8EEvPfPK15HIP_vector_typeIfLj2EEiiiiS1_IjLj3EES5_S5_S5_.num_vgpr, 18
	.set _ZL33flash_attn_stream_k_fixup_generalILi128ELi8ELi8EEvPfPK15HIP_vector_typeIfLj2EEiiiiS1_IjLj3EES5_S5_S5_.num_agpr, 0
	.set _ZL33flash_attn_stream_k_fixup_generalILi128ELi8ELi8EEvPfPK15HIP_vector_typeIfLj2EEiiiiS1_IjLj3EES5_S5_S5_.numbered_sgpr, 36
	.set _ZL33flash_attn_stream_k_fixup_generalILi128ELi8ELi8EEvPfPK15HIP_vector_typeIfLj2EEiiiiS1_IjLj3EES5_S5_S5_.num_named_barrier, 0
	.set _ZL33flash_attn_stream_k_fixup_generalILi128ELi8ELi8EEvPfPK15HIP_vector_typeIfLj2EEiiiiS1_IjLj3EES5_S5_S5_.private_seg_size, 0
	.set _ZL33flash_attn_stream_k_fixup_generalILi128ELi8ELi8EEvPfPK15HIP_vector_typeIfLj2EEiiiiS1_IjLj3EES5_S5_S5_.uses_vcc, 1
	.set _ZL33flash_attn_stream_k_fixup_generalILi128ELi8ELi8EEvPfPK15HIP_vector_typeIfLj2EEiiiiS1_IjLj3EES5_S5_S5_.uses_flat_scratch, 0
	.set _ZL33flash_attn_stream_k_fixup_generalILi128ELi8ELi8EEvPfPK15HIP_vector_typeIfLj2EEiiiiS1_IjLj3EES5_S5_S5_.has_dyn_sized_stack, 0
	.set _ZL33flash_attn_stream_k_fixup_generalILi128ELi8ELi8EEvPfPK15HIP_vector_typeIfLj2EEiiiiS1_IjLj3EES5_S5_S5_.has_recursion, 0
	.set _ZL33flash_attn_stream_k_fixup_generalILi128ELi8ELi8EEvPfPK15HIP_vector_typeIfLj2EEiiiiS1_IjLj3EES5_S5_S5_.has_indirect_call, 0
	.section	.AMDGPU.csdata,"",@progbits
; Kernel info:
; codeLenInByte = 2940
; TotalNumSgprs: 42
; NumVgprs: 18
; NumAgprs: 0
; TotalNumVgprs: 18
; ScratchSize: 0
; MemoryBound: 0
; FloatMode: 240
; IeeeMode: 1
; LDSByteSize: 0 bytes/workgroup (compile time only)
; SGPRBlocks: 5
; VGPRBlocks: 2
; NumSGPRsForWavesPerEU: 42
; NumVGPRsForWavesPerEU: 18
; AccumOffset: 20
; Occupancy: 8
; WaveLimiterHint : 0
; COMPUTE_PGM_RSRC2:SCRATCH_EN: 0
; COMPUTE_PGM_RSRC2:USER_SGPR: 2
; COMPUTE_PGM_RSRC2:TRAP_HANDLER: 0
; COMPUTE_PGM_RSRC2:TGID_X_EN: 1
; COMPUTE_PGM_RSRC2:TGID_Y_EN: 1
; COMPUTE_PGM_RSRC2:TGID_Z_EN: 1
; COMPUTE_PGM_RSRC2:TIDIG_COMP_CNT: 0
; COMPUTE_PGM_RSRC3_GFX90A:ACCUM_OFFSET: 4
; COMPUTE_PGM_RSRC3_GFX90A:TG_SPLIT: 0
	.section	.text._ZL26flash_attn_combine_resultsILi128EEvPKfPK15HIP_vector_typeIfLj2EEPfi,"axG",@progbits,_ZL26flash_attn_combine_resultsILi128EEvPKfPK15HIP_vector_typeIfLj2EEPfi,comdat
	.globl	_ZL26flash_attn_combine_resultsILi128EEvPKfPK15HIP_vector_typeIfLj2EEPfi ; -- Begin function _ZL26flash_attn_combine_resultsILi128EEvPKfPK15HIP_vector_typeIfLj2EEPfi
	.p2align	8
	.type	_ZL26flash_attn_combine_resultsILi128EEvPKfPK15HIP_vector_typeIfLj2EEPfi,@function
_ZL26flash_attn_combine_resultsILi128EEvPKfPK15HIP_vector_typeIfLj2EEPfi: ; @_ZL26flash_attn_combine_resultsILi128EEvPKfPK15HIP_vector_typeIfLj2EEPfi
; %bb.0:
	s_load_dwordx2 s[6:7], s[0:1], 0x20
	s_load_dword s19, s[0:1], 0x18
	s_load_dwordx4 s[8:11], s[0:1], 0x0
	s_load_dwordx2 s[14:15], s[0:1], 0x10
	s_waitcnt lgkmcnt(0)
	s_mul_i32 s0, s6, s4
	s_add_i32 s0, s0, s2
	s_mul_i32 s18, s0, s7
	s_add_i32 s18, s18, s3
	s_lshl_b32 s20, s19, 1
	s_mul_i32 s2, s18, s19
	v_cmp_gt_i32_e32 vcc, s20, v0
	s_and_saveexec_b64 s[0:1], vcc
	s_cbranch_execz .LBB4_13
; %bb.1:
	v_xad_u32 v1, v0, -1, s20
	s_movk_i32 s4, 0x7f
	s_ashr_i32 s3, s2, 31
	v_cmp_lt_u32_e32 vcc, s4, v1
	s_mov_b64 s[6:7], -1
	v_mov_b32_e32 v2, v0
	s_and_saveexec_b64 s[4:5], vcc
	s_cbranch_execz .LBB4_10
; %bb.2:
	v_lshrrev_b32_e32 v6, 7, v1
	s_lshl_b64 s[6:7], s[2:3], 3
	v_add_u32_e32 v2, -1, v6
	s_add_u32 s6, s10, s6
	v_or_b32_e32 v1, 0x80, v0
	v_lshrrev_b32_e32 v3, 1, v2
	s_addc_u32 s7, s11, s7
	s_mov_b32 s21, 0
	v_add_u32_e32 v7, 1, v3
	v_cmp_lt_u32_e32 vcc, 13, v2
	v_mov_b32_e32 v4, 0
	v_mov_b64_e32 v[2:3], v[0:1]
	s_and_saveexec_b64 s[12:13], vcc
	s_cbranch_execz .LBB4_6
; %bb.3:
	v_and_b32_e32 v8, -8, v7
	v_lshl_add_u32 v9, v0, 2, 0
	s_mov_b64 s[16:17], 0
	v_mov_b32_e32 v5, 0
	v_mov_b64_e32 v[2:3], v[0:1]
.LBB4_4:                                ; =>This Inner Loop Header: Depth=1
	v_mov_b32_e32 v4, v2
	v_lshl_add_u64 v[24:25], v[4:5], 2, s[6:7]
	v_mov_b32_e32 v4, v3
	v_add_u32_e32 v10, 0x100, v3
	v_mov_b32_e32 v11, v5
	v_lshl_add_u64 v[26:27], v[4:5], 2, s[6:7]
	v_add_u32_e32 v4, 0x100, v2
	v_lshl_add_u64 v[10:11], v[10:11], 2, s[6:7]
	global_load_dword v1, v[24:25], off
	v_lshl_add_u64 v[24:25], v[4:5], 2, s[6:7]
	v_add_u32_e32 v4, 0x200, v2
	global_load_dword v28, v[26:27], off
	global_load_dword v29, v[24:25], off
	global_load_dword v30, v[10:11], off
	v_lshl_add_u64 v[10:11], v[4:5], 2, s[6:7]
	v_add_u32_e32 v4, 0x300, v2
	v_add_u32_e32 v12, 0x200, v3
	v_mov_b32_e32 v13, v5
	v_add_u32_e32 v14, 0x300, v3
	v_mov_b32_e32 v15, v5
	v_lshl_add_u64 v[24:25], v[4:5], 2, s[6:7]
	v_add_u32_e32 v4, 0x400, v2
	v_lshl_add_u64 v[12:13], v[12:13], 2, s[6:7]
	v_lshl_add_u64 v[14:15], v[14:15], 2, s[6:7]
	global_load_dword v26, v[10:11], off
	global_load_dword v27, v[12:13], off
	;; [unrolled: 1-line block ×4, first 2 shown]
	v_lshl_add_u64 v[10:11], v[4:5], 2, s[6:7]
	v_add_u32_e32 v4, 0x500, v2
	v_add_u32_e32 v16, 0x400, v3
	v_mov_b32_e32 v17, v5
	v_add_u32_e32 v18, 0x500, v3
	v_mov_b32_e32 v19, v5
	v_lshl_add_u64 v[12:13], v[4:5], 2, s[6:7]
	v_add_u32_e32 v4, 0x600, v2
	v_add_u32_e32 v20, 0x600, v3
	v_mov_b32_e32 v21, v5
	v_add_u32_e32 v22, 0x700, v3
	v_mov_b32_e32 v23, v5
	v_lshl_add_u64 v[16:17], v[16:17], 2, s[6:7]
	v_lshl_add_u64 v[18:19], v[18:19], 2, s[6:7]
	global_load_dword v14, v[10:11], off
	global_load_dword v15, v[16:17], off
	;; [unrolled: 1-line block ×4, first 2 shown]
	v_lshl_add_u64 v[10:11], v[4:5], 2, s[6:7]
	v_add_u32_e32 v4, 0x700, v2
	v_lshl_add_u64 v[20:21], v[20:21], 2, s[6:7]
	v_lshl_add_u64 v[22:23], v[22:23], 2, s[6:7]
	v_lshl_add_u64 v[12:13], v[4:5], 2, s[6:7]
	global_load_dword v16, v[10:11], off
	global_load_dword v17, v[20:21], off
	;; [unrolled: 1-line block ×4, first 2 shown]
	v_add_u32_e32 v8, -8, v8
	s_add_i32 s21, s21, 16
	v_cmp_eq_u32_e32 vcc, 0, v8
	v_add_u32_e32 v3, 0x800, v3
	v_mov_b32_e32 v4, s21
	s_or_b64 s[16:17], vcc, s[16:17]
	v_add_u32_e32 v2, 0x800, v2
	s_waitcnt vmcnt(14)
	ds_write2st64_b32 v9, v1, v28 offset1:2
	s_waitcnt vmcnt(12)
	ds_write2st64_b32 v9, v29, v30 offset0:4 offset1:6
	s_waitcnt vmcnt(10)
	ds_write2st64_b32 v9, v26, v27 offset0:8 offset1:10
	;; [unrolled: 2-line block ×7, first 2 shown]
	v_add_u32_e32 v9, 0x2000, v9
	s_andn2_b64 exec, exec, s[16:17]
	s_cbranch_execnz .LBB4_4
; %bb.5:
	s_or_b64 exec, exec, s[16:17]
.LBB4_6:
	s_or_b64 exec, exec, s[12:13]
	v_and_b32_e32 v1, 7, v7
	v_cmp_ne_u32_e32 vcc, 0, v1
	s_and_saveexec_b64 s[12:13], vcc
	s_cbranch_execz .LBB4_9
; %bb.7:
	v_lshlrev_b32_e32 v5, 2, v0
	v_lshl_or_b32 v4, v4, 9, v5
	v_add_u32_e32 v7, 0, v4
	s_mov_b64 s[16:17], 0
	v_mov_b32_e32 v5, 0
.LBB4_8:                                ; =>This Inner Loop Header: Depth=1
	v_mov_b32_e32 v4, v2
	v_lshl_add_u64 v[8:9], v[4:5], 2, s[6:7]
	v_mov_b32_e32 v4, v3
	v_lshl_add_u64 v[10:11], v[4:5], 2, s[6:7]
	global_load_dword v4, v[8:9], off
	global_load_dword v12, v[10:11], off
	v_add_u32_e32 v1, -1, v1
	v_cmp_eq_u32_e32 vcc, 0, v1
	v_add_u32_e32 v2, 0x100, v2
	v_add_u32_e32 v3, 0x100, v3
	s_or_b64 s[16:17], vcc, s[16:17]
	s_waitcnt vmcnt(0)
	ds_write2st64_b32 v7, v4, v12 offset1:2
	v_add_u32_e32 v7, 0x400, v7
	s_andn2_b64 exec, exec, s[16:17]
	s_cbranch_execnz .LBB4_8
.LBB4_9:
	s_or_b64 exec, exec, s[12:13]
	v_add_u32_e32 v1, 1, v6
	v_and_b32_e32 v3, 0x3fffffe, v1
	v_cmp_ne_u32_e32 vcc, v1, v3
	v_lshl_or_b32 v2, v3, 7, v0
	s_orn2_b64 s[6:7], vcc, exec
.LBB4_10:
	s_or_b64 exec, exec, s[4:5]
	s_and_b64 exec, exec, s[6:7]
	s_cbranch_execz .LBB4_13
; %bb.11:
	s_lshl_b64 s[4:5], s[2:3], 3
	s_add_u32 s4, s10, s4
	v_mov_b32_e32 v3, 0
	s_addc_u32 s5, s11, s5
	v_lshl_add_u64 v[4:5], v[2:3], 2, s[4:5]
	v_lshl_add_u32 v1, v2, 2, 0
	s_mov_b64 s[4:5], 0
	s_mov_b64 s[6:7], 0x200
.LBB4_12:                               ; =>This Inner Loop Header: Depth=1
	global_load_dword v3, v[4:5], off
	v_add_u32_e32 v2, 0x80, v2
	v_cmp_le_i32_e32 vcc, s20, v2
	v_lshl_add_u64 v[4:5], v[4:5], 0, s[6:7]
	s_or_b64 s[4:5], vcc, s[4:5]
	s_waitcnt vmcnt(0)
	ds_write_b32 v1, v3
	v_add_u32_e32 v1, 0x200, v1
	s_andn2_b64 exec, exec, s[4:5]
	s_cbranch_execnz .LBB4_12
.LBB4_13:
	s_or_b64 exec, exec, s[0:1]
	v_mov_b32_e32 v1, 0
	s_waitcnt lgkmcnt(0)
	s_barrier
	ds_read_b32 v1, v1
	s_cmp_lt_i32 s19, 2
	s_cbranch_scc1 .LBB4_21
; %bb.14:
	s_cmp_eq_u32 s19, 2
	s_cbranch_scc1 .LBB4_18
; %bb.15:
	s_add_i32 s3, s19, -1
	s_and_b32 s4, s3, -2
	s_add_i32 s6, 0, 8
	s_mov_b32 s5, 2
	s_waitcnt lgkmcnt(0)
	v_mov_b32_e32 v4, v1
.LBB4_16:                               ; =>This Inner Loop Header: Depth=1
	v_mov_b32_e32 v2, v1
	v_mov_b32_e32 v1, s6
	;; [unrolled: 1-line block ×3, first 2 shown]
	ds_read2_b32 v[4:5], v1 offset1:2
	s_cmp_lg_u32 s4, s5
	s_cselect_b64 s[10:11], -1, 0
	v_max_f32_e32 v1, v3, v3
	v_max_f32_e32 v6, v2, v2
	s_waitcnt lgkmcnt(0)
	v_cmp_u_f32_e32 vcc, v5, v5
	v_max_f32_e32 v7, v5, v5
	v_max_f32_e32 v8, v4, v4
	v_cndmask_b32_e64 v5, 0, 1, vcc
	v_cmp_u_f32_e32 vcc, v4, v4
	v_readfirstlane_b32 s0, v5
	s_lshl_b32 s0, s0, 1
	v_cndmask_b32_e64 v9, 0, 1, vcc
	v_max_f32_e32 v4, v1, v7
	v_readfirstlane_b32 s1, v9
	s_or_b32 s0, s1, s0
	s_and_b32 s7, s0, 3
	s_cmp_lg_u32 s7, 0
	s_cselect_b64 s[0:1], -1, 0
	s_cmp_eq_u32 s7, 0
	s_cselect_b64 s[12:13], -1, 0
	s_and_b64 s[10:11], s[12:13], s[10:11]
	v_max_f32_e32 v1, v6, v8
	s_add_i32 s5, s5, 2
	s_add_i32 s6, s6, 16
	s_and_b64 vcc, exec, s[10:11]
	s_cbranch_vccnz .LBB4_16
; %bb.17:
	s_add_i32 s5, s5, -4
	s_and_b64 s[6:7], s[0:1], exec
	s_cselect_b32 s5, s5, s3
	s_or_b32 s5, s5, 1
	v_cndmask_b32_e64 v1, v1, v2, s[0:1]
	v_cndmask_b32_e64 v2, v4, v3, s[0:1]
	s_cmp_lg_u32 s3, s4
	v_max_f32_e32 v2, v2, v2
	v_max_f32_e32 v1, v1, v1
	s_cselect_b64 s[6:7], -1, 0
	v_max_f32_e32 v1, v1, v2
	s_or_b64 s[0:1], s[6:7], s[0:1]
	s_and_b64 vcc, exec, s[0:1]
	s_cbranch_vccnz .LBB4_19
	s_branch .LBB4_21
.LBB4_18:
	s_mov_b32 s5, 1
	s_cbranch_execz .LBB4_21
.LBB4_19:
	s_lshl_b32 s1, s5, 3
	s_sub_i32 s0, s19, s5
	s_add_i32 s1, s1, 0
.LBB4_20:                               ; =>This Inner Loop Header: Depth=1
	v_mov_b32_e32 v2, s1
	ds_read_b32 v2, v2
	s_waitcnt lgkmcnt(1)
	v_max_f32_e32 v1, v1, v1
	s_add_i32 s0, s0, -1
	s_add_i32 s1, s1, 8
	s_cmp_eq_u32 s0, 0
	s_waitcnt lgkmcnt(0)
	v_max_f32_e32 v2, v2, v2
	v_max_f32_e32 v1, v1, v2
	s_cbranch_scc0 .LBB4_20
.LBB4_21:
	s_cmp_lt_i32 s19, 1
	s_cbranch_scc1 .LBB4_26
; %bb.22:
	s_lshl_b32 s0, s2, 7
	s_ashr_i32 s1, s0, 31
	s_lshl_b64 s[0:1], s[0:1], 2
	s_add_u32 s16, s8, s0
	s_addc_u32 s17, s9, s1
	s_cmp_lt_u32 s19, 8
	s_cbranch_scc1 .LBB4_27
; %bb.23:
	v_mov_b32_e32 v7, 0
	s_and_b32 s20, s19, 0x7ffffff8
	v_or_b32_e32 v4, 0x380, v0
	s_mov_b32 s21, 0
	s_mov_b32 s22, 0x3fb8aa3b
	;; [unrolled: 1-line block ×4, first 2 shown]
	v_mov_b32_e32 v8, 0x7f800000
	s_mov_b32 s25, 0
	v_mov_b32_e32 v2, v7
	v_mov_b32_e32 v3, v7
.LBB4_24:                               ; =>This Inner Loop Header: Depth=1
	v_add_u32_e32 v6, 0xfffffc80, v4
	v_lshl_add_u64 v[26:27], v[6:7], 2, s[16:17]
	v_add_u32_e32 v6, 0xfffffd00, v4
	v_mov_b32_e32 v9, s21
	v_lshl_add_u64 v[30:31], v[6:7], 2, s[16:17]
	v_add_u32_e32 v6, 0xfffffd80, v4
	ds_read2_b64 v[10:13], v9 offset1:1
	ds_read2_b64 v[14:17], v9 offset0:2 offset1:3
	ds_read2_b64 v[18:21], v9 offset0:4 offset1:5
	ds_read2_b64 v[22:25], v9 offset0:6 offset1:7
	global_load_dword v33, v[26:27], off
	global_load_dword v35, v[30:31], off
	v_lshl_add_u64 v[26:27], v[6:7], 2, s[16:17]
	v_add_u32_e32 v6, 0xfffffe00, v4
	v_lshl_add_u64 v[30:31], v[6:7], 2, s[16:17]
	v_add_u32_e32 v6, 0xfffffe80, v4
	global_load_dword v37, v[26:27], off
	global_load_dword v39, v[30:31], off
	v_lshl_add_u64 v[26:27], v[6:7], 2, s[16:17]
	v_add_u32_e32 v6, 0xffffff00, v4
	s_waitcnt lgkmcnt(3)
	v_mov_b32_e32 v32, v11
	v_sub_f32_e32 v9, v12, v1
	v_mov_b32_e32 v34, v13
	global_load_dword v11, v[26:27], off
	v_lshl_add_u64 v[12:13], v[6:7], 2, s[16:17]
	s_waitcnt lgkmcnt(2)
	v_mov_b32_e32 v36, v15
	v_add_u32_e32 v6, 0xffffff80, v4
	global_load_dword v15, v[12:13], off
	v_mov_b32_e32 v5, v7
	v_lshl_add_u64 v[12:13], v[6:7], 2, s[16:17]
	v_lshl_add_u64 v[28:29], v[4:5], 2, s[16:17]
	v_sub_f32_e32 v5, v10, v1
	v_mov_b32_e32 v38, v17
	s_waitcnt lgkmcnt(1)
	v_mov_b32_e32 v10, v19
	global_load_dword v17, v[12:13], off
	global_load_dword v19, v[28:29], off
	v_sub_f32_e32 v30, v14, v1
	v_sub_f32_e32 v31, v16, v1
	;; [unrolled: 1-line block ×3, first 2 shown]
	v_mov_b32_e32 v14, v21
	s_waitcnt lgkmcnt(0)
	v_sub_f32_e32 v21, v22, v1
	v_mov_b32_e32 v16, v23
	v_sub_f32_e32 v22, v24, v1
	v_mul_f32_e32 v23, 0x3fb8aa3b, v5
	v_mov_b32_e32 v18, v25
	v_mul_f32_e32 v24, 0x3fb8aa3b, v9
	v_mul_f32_e32 v25, 0x3fb8aa3b, v30
	;; [unrolled: 1-line block ×5, first 2 shown]
	v_fma_f32 v43, v5, s22, -v23
	v_rndne_f32_e32 v44, v23
	v_sub_f32_e32 v20, v20, v1
	v_fma_f32 v45, v9, s22, -v24
	v_rndne_f32_e32 v46, v24
	v_fma_f32 v47, v30, s22, -v25
	v_rndne_f32_e32 v48, v25
	;; [unrolled: 2-line block ×5, first 2 shown]
	v_fmac_f32_e32 v43, 0x32a5705f, v5
	v_sub_f32_e32 v12, v23, v44
	v_mul_f32_e32 v26, 0x3fb8aa3b, v31
	v_mul_f32_e32 v41, 0x3fb8aa3b, v20
	v_fmac_f32_e32 v45, 0x32a5705f, v9
	v_sub_f32_e32 v23, v24, v46
	v_fmac_f32_e32 v47, 0x32a5705f, v30
	v_sub_f32_e32 v25, v25, v48
	;; [unrolled: 2-line block ×5, first 2 shown]
	v_add_f32_e32 v12, v12, v43
	v_fma_f32 v49, v31, s22, -v26
	v_rndne_f32_e32 v50, v26
	v_fma_f32 v53, v20, s22, -v41
	v_rndne_f32_e32 v54, v41
	v_cvt_i32_f32_e32 v13, v44
	v_add_f32_e32 v23, v23, v45
	v_add_f32_e32 v25, v25, v47
	;; [unrolled: 1-line block ×5, first 2 shown]
	v_exp_f32_e32 v12, v12
	v_cvt_i32_f32_e32 v24, v46
	v_cvt_i32_f32_e32 v28, v48
	v_fmac_f32_e32 v49, 0x32a5705f, v31
	v_sub_f32_e32 v26, v26, v50
	v_cvt_i32_f32_e32 v29, v50
	v_cvt_i32_f32_e32 v44, v52
	v_fmac_f32_e32 v53, 0x32a5705f, v20
	v_sub_f32_e32 v41, v41, v54
	v_cvt_i32_f32_e32 v48, v56
	v_cvt_i32_f32_e32 v50, v58
	v_exp_f32_e32 v23, v23
	v_exp_f32_e32 v25, v25
	;; [unrolled: 1-line block ×5, first 2 shown]
	v_add_f32_e32 v26, v26, v49
	v_add_f32_e32 v41, v41, v53
	v_cvt_i32_f32_e32 v46, v54
	v_exp_f32_e32 v26, v26
	v_exp_f32_e32 v41, v41
	v_ldexp_f32 v12, v12, v13
	v_cmp_ngt_f32_e64 s[12:13], s23, v5
	v_ldexp_f32 v13, v23, v24
	v_cmp_ngt_f32_e32 vcc, s23, v9
	v_ldexp_f32 v23, v25, v28
	v_ldexp_f32 v25, v27, v44
	;; [unrolled: 1-line block ×3, first 2 shown]
	v_cmp_ngt_f32_e64 s[8:9], s23, v21
	v_ldexp_f32 v6, v6, v50
	v_cmp_ngt_f32_e64 s[10:11], s23, v22
	v_cndmask_b32_e64 v12, 0, v12, s[12:13]
	v_cmp_nlt_f32_e64 s[12:13], s24, v5
	v_cmp_ngt_f32_e64 s[0:1], s23, v30
	v_cndmask_b32_e32 v13, 0, v13, vcc
	v_cmp_nlt_f32_e32 vcc, s24, v9
	v_cndmask_b32_e64 v27, 0, v27, s[8:9]
	v_cmp_nlt_f32_e64 s[8:9], s24, v21
	v_cndmask_b32_e64 v21, 0, v6, s[10:11]
	v_cndmask_b32_e64 v6, v8, v12, s[12:13]
	v_ldexp_f32 v24, v26, v29
	v_cmp_ngt_f32_e64 s[2:3], s23, v31
	v_cmp_ngt_f32_e64 s[4:5], s23, v40
	v_ldexp_f32 v26, v41, v46
	v_cmp_ngt_f32_e64 s[6:7], s23, v20
	v_cndmask_b32_e64 v9, 0, v23, s[0:1]
	v_cmp_nlt_f32_e64 s[0:1], s24, v30
	v_cndmask_b32_e32 v12, v8, v13, vcc
	s_waitcnt vmcnt(7)
	v_pk_fma_f32 v[2:3], v[6:7], v[32:33], v[2:3] op_sel_hi:[0,1,1]
	v_cndmask_b32_e64 v23, 0, v24, s[2:3]
	v_cmp_nlt_f32_e64 s[2:3], s24, v31
	v_cndmask_b32_e64 v24, 0, v25, s[4:5]
	v_cndmask_b32_e64 v25, 0, v26, s[6:7]
	v_cmp_nlt_f32_e64 s[6:7], s24, v20
	v_cndmask_b32_e64 v20, v8, v9, s[0:1]
	s_waitcnt vmcnt(6)
	v_pk_fma_f32 v[2:3], v[12:13], v[34:35], v[2:3] op_sel_hi:[0,1,1]
	v_cmp_nlt_f32_e64 s[4:5], s24, v40
	v_cmp_nlt_f32_e64 s[10:11], s24, v22
	v_cndmask_b32_e64 v22, v8, v23, s[2:3]
	s_waitcnt vmcnt(5)
	v_pk_fma_f32 v[2:3], v[20:21], v[36:37], v[2:3] op_sel_hi:[0,1,1]
	v_cndmask_b32_e64 v24, v8, v24, s[4:5]
	s_waitcnt vmcnt(4)
	v_pk_fma_f32 v[2:3], v[22:23], v[38:39], v[2:3] op_sel_hi:[0,1,1]
	;; [unrolled: 3-line block ×4, first 2 shown]
	s_add_i32 s25, s25, 8
	s_add_i32 s21, s21, 64
	v_cndmask_b32_e64 v30, v8, v21, s[10:11]
	s_waitcnt vmcnt(1)
	v_pk_fma_f32 v[2:3], v[28:29], v[16:17], v[2:3] op_sel_hi:[0,1,1]
	s_cmp_eq_u32 s20, s25
	v_add_u32_e32 v4, 0x400, v4
	s_waitcnt vmcnt(0)
	v_pk_fma_f32 v[2:3], v[30:31], v[18:19], v[2:3] op_sel_hi:[0,1,1]
	s_cbranch_scc0 .LBB4_24
; %bb.25:
	s_and_b32 s0, s19, 7
	s_cmp_eq_u32 s0, 0
	s_cbranch_scc0 .LBB4_28
	s_branch .LBB4_30
.LBB4_26:
	s_waitcnt lgkmcnt(0)
	v_mov_b32_e32 v1, 0x7fc00000
	s_branch .LBB4_31
.LBB4_27:
	v_mov_b32_e32 v2, 0
	s_mov_b32 s20, 0
	v_mov_b32_e32 v3, v2
	s_and_b32 s0, s19, 7
	s_cmp_eq_u32 s0, 0
	s_cbranch_scc1 .LBB4_30
.LBB4_28:
	s_lshl_b32 s1, s20, 3
	v_lshl_or_b32 v4, s20, 7, v0
	s_add_i32 s1, s1, 0
	s_mov_b32 s2, 0x3fb8aa3b
	s_mov_b32 s3, 0xc2ce8ed0
	;; [unrolled: 1-line block ×3, first 2 shown]
	v_mov_b32_e32 v6, 0x7f800000
	v_mov_b32_e32 v5, 0
.LBB4_29:                               ; =>This Inner Loop Header: Depth=1
	v_lshl_add_u64 v[8:9], v[4:5], 2, s[16:17]
	global_load_dword v9, v[8:9], off
	v_mov_b32_e32 v7, s1
	ds_read_b64 v[10:11], v7
	s_add_i32 s1, s1, 8
	s_add_i32 s0, s0, -1
	v_add_u32_e32 v4, 0x80, v4
	s_cmp_lg_u32 s0, 0
	s_waitcnt lgkmcnt(0)
	v_sub_f32_e32 v7, v10, v1
	v_mul_f32_e32 v8, 0x3fb8aa3b, v7
	v_fma_f32 v10, v7, s2, -v8
	v_rndne_f32_e32 v12, v8
	v_fmac_f32_e32 v10, 0x32a5705f, v7
	v_sub_f32_e32 v8, v8, v12
	v_add_f32_e32 v8, v8, v10
	v_cvt_i32_f32_e32 v12, v12
	v_exp_f32_e32 v10, v8
	v_cmp_ngt_f32_e32 vcc, s3, v7
	v_mov_b32_e32 v8, v11
	v_ldexp_f32 v10, v10, v12
	v_cndmask_b32_e32 v10, 0, v10, vcc
	v_cmp_nlt_f32_e32 vcc, s4, v7
	s_nop 1
	v_cndmask_b32_e32 v10, v6, v10, vcc
	s_waitcnt vmcnt(0)
	v_pk_fma_f32 v[2:3], v[10:11], v[8:9], v[2:3] op_sel_hi:[0,1,1]
	s_cbranch_scc1 .LBB4_29
.LBB4_30:
	s_waitcnt lgkmcnt(0)
	v_div_scale_f32 v1, s[0:1], v2, v2, v3
	v_rcp_f32_e32 v4, v1
	v_div_scale_f32 v5, vcc, v3, v2, v3
	v_fma_f32 v6, -v1, v4, 1.0
	v_fmac_f32_e32 v4, v6, v4
	v_mul_f32_e32 v6, v5, v4
	v_fma_f32 v7, -v1, v6, v5
	v_fmac_f32_e32 v6, v7, v4
	v_fma_f32 v1, -v1, v6, v5
	v_div_fmas_f32 v1, v1, v4, v6
	v_div_fixup_f32 v1, v1, v2, v3
.LBB4_31:
	s_lshl_b32 s0, s18, 7
	s_ashr_i32 s1, s0, 31
	s_lshl_b64 s[0:1], s[0:1], 2
	s_add_u32 s0, s14, s0
	s_addc_u32 s1, s15, s1
	v_lshlrev_b32_e32 v0, 2, v0
	global_store_dword v0, v1, s[0:1]
	s_endpgm
	.section	.rodata,"a",@progbits
	.p2align	6, 0x0
	.amdhsa_kernel _ZL26flash_attn_combine_resultsILi128EEvPKfPK15HIP_vector_typeIfLj2EEPfi
		.amdhsa_group_segment_fixed_size 0
		.amdhsa_private_segment_fixed_size 0
		.amdhsa_kernarg_size 288
		.amdhsa_user_sgpr_count 2
		.amdhsa_user_sgpr_dispatch_ptr 0
		.amdhsa_user_sgpr_queue_ptr 0
		.amdhsa_user_sgpr_kernarg_segment_ptr 1
		.amdhsa_user_sgpr_dispatch_id 0
		.amdhsa_user_sgpr_kernarg_preload_length 0
		.amdhsa_user_sgpr_kernarg_preload_offset 0
		.amdhsa_user_sgpr_private_segment_size 0
		.amdhsa_uses_dynamic_stack 0
		.amdhsa_enable_private_segment 0
		.amdhsa_system_sgpr_workgroup_id_x 1
		.amdhsa_system_sgpr_workgroup_id_y 1
		.amdhsa_system_sgpr_workgroup_id_z 1
		.amdhsa_system_sgpr_workgroup_info 0
		.amdhsa_system_vgpr_workitem_id 0
		.amdhsa_next_free_vgpr 59
		.amdhsa_next_free_sgpr 26
		.amdhsa_accum_offset 60
		.amdhsa_reserve_vcc 1
		.amdhsa_float_round_mode_32 0
		.amdhsa_float_round_mode_16_64 0
		.amdhsa_float_denorm_mode_32 3
		.amdhsa_float_denorm_mode_16_64 3
		.amdhsa_dx10_clamp 1
		.amdhsa_ieee_mode 1
		.amdhsa_fp16_overflow 0
		.amdhsa_tg_split 0
		.amdhsa_exception_fp_ieee_invalid_op 0
		.amdhsa_exception_fp_denorm_src 0
		.amdhsa_exception_fp_ieee_div_zero 0
		.amdhsa_exception_fp_ieee_overflow 0
		.amdhsa_exception_fp_ieee_underflow 0
		.amdhsa_exception_fp_ieee_inexact 0
		.amdhsa_exception_int_div_zero 0
	.end_amdhsa_kernel
	.section	.text._ZL26flash_attn_combine_resultsILi128EEvPKfPK15HIP_vector_typeIfLj2EEPfi,"axG",@progbits,_ZL26flash_attn_combine_resultsILi128EEvPKfPK15HIP_vector_typeIfLj2EEPfi,comdat
.Lfunc_end4:
	.size	_ZL26flash_attn_combine_resultsILi128EEvPKfPK15HIP_vector_typeIfLj2EEPfi, .Lfunc_end4-_ZL26flash_attn_combine_resultsILi128EEvPKfPK15HIP_vector_typeIfLj2EEPfi
                                        ; -- End function
	.set _ZL26flash_attn_combine_resultsILi128EEvPKfPK15HIP_vector_typeIfLj2EEPfi.num_vgpr, 59
	.set _ZL26flash_attn_combine_resultsILi128EEvPKfPK15HIP_vector_typeIfLj2EEPfi.num_agpr, 0
	.set _ZL26flash_attn_combine_resultsILi128EEvPKfPK15HIP_vector_typeIfLj2EEPfi.numbered_sgpr, 26
	.set _ZL26flash_attn_combine_resultsILi128EEvPKfPK15HIP_vector_typeIfLj2EEPfi.num_named_barrier, 0
	.set _ZL26flash_attn_combine_resultsILi128EEvPKfPK15HIP_vector_typeIfLj2EEPfi.private_seg_size, 0
	.set _ZL26flash_attn_combine_resultsILi128EEvPKfPK15HIP_vector_typeIfLj2EEPfi.uses_vcc, 1
	.set _ZL26flash_attn_combine_resultsILi128EEvPKfPK15HIP_vector_typeIfLj2EEPfi.uses_flat_scratch, 0
	.set _ZL26flash_attn_combine_resultsILi128EEvPKfPK15HIP_vector_typeIfLj2EEPfi.has_dyn_sized_stack, 0
	.set _ZL26flash_attn_combine_resultsILi128EEvPKfPK15HIP_vector_typeIfLj2EEPfi.has_recursion, 0
	.set _ZL26flash_attn_combine_resultsILi128EEvPKfPK15HIP_vector_typeIfLj2EEPfi.has_indirect_call, 0
	.section	.AMDGPU.csdata,"",@progbits
; Kernel info:
; codeLenInByte = 2924
; TotalNumSgprs: 32
; NumVgprs: 59
; NumAgprs: 0
; TotalNumVgprs: 59
; ScratchSize: 0
; MemoryBound: 0
; FloatMode: 240
; IeeeMode: 1
; LDSByteSize: 0 bytes/workgroup (compile time only)
; SGPRBlocks: 3
; VGPRBlocks: 7
; NumSGPRsForWavesPerEU: 32
; NumVGPRsForWavesPerEU: 59
; AccumOffset: 60
; Occupancy: 8
; WaveLimiterHint : 0
; COMPUTE_PGM_RSRC2:SCRATCH_EN: 0
; COMPUTE_PGM_RSRC2:USER_SGPR: 2
; COMPUTE_PGM_RSRC2:TRAP_HANDLER: 0
; COMPUTE_PGM_RSRC2:TGID_X_EN: 1
; COMPUTE_PGM_RSRC2:TGID_Y_EN: 1
; COMPUTE_PGM_RSRC2:TGID_Z_EN: 1
; COMPUTE_PGM_RSRC2:TIDIG_COMP_CNT: 0
; COMPUTE_PGM_RSRC3_GFX90A:ACCUM_OFFSET: 14
; COMPUTE_PGM_RSRC3_GFX90A:TG_SPLIT: 0
	.section	.text._ZL15flash_attn_tileILi128ELi128ELi4ELi8ELb0EEvPKcS1_S1_S1_S1_PKiPfP15HIP_vector_typeIfLj2EEffffjfiS5_IjLj3EEiiiiiiiiiiiliiliiiiil,"axG",@progbits,_ZL15flash_attn_tileILi128ELi128ELi4ELi8ELb0EEvPKcS1_S1_S1_S1_PKiPfP15HIP_vector_typeIfLj2EEffffjfiS5_IjLj3EEiiiiiiiiiiiliiliiiiil,comdat
	.globl	_ZL15flash_attn_tileILi128ELi128ELi4ELi8ELb0EEvPKcS1_S1_S1_S1_PKiPfP15HIP_vector_typeIfLj2EEffffjfiS5_IjLj3EEiiiiiiiiiiiliiliiiiil ; -- Begin function _ZL15flash_attn_tileILi128ELi128ELi4ELi8ELb0EEvPKcS1_S1_S1_S1_PKiPfP15HIP_vector_typeIfLj2EEffffjfiS5_IjLj3EEiiiiiiiiiiiliiliiiiil
	.p2align	8
	.type	_ZL15flash_attn_tileILi128ELi128ELi4ELi8ELb0EEvPKcS1_S1_S1_S1_PKiPfP15HIP_vector_typeIfLj2EEffffjfiS5_IjLj3EEiiiiiiiiiiiliiliiiiil,@function
_ZL15flash_attn_tileILi128ELi128ELi4ELi8ELb0EEvPKcS1_S1_S1_S1_PKiPfP15HIP_vector_typeIfLj2EEffffjfiS5_IjLj3EEiiiiiiiiiiiliiliiiiil: ; @_ZL15flash_attn_tileILi128ELi128ELi4ELi8ELb0EEvPKcS1_S1_S1_S1_PKiPfP15HIP_vector_typeIfLj2EEffffjfiS5_IjLj3EEiiiiiiiiiiiliiliiiiil
; %bb.0:
	s_load_dwordx4 s[28:31], s[0:1], 0x5c
	s_load_dwordx2 s[34:35], s[0:1], 0x80
	s_load_dwordx16 s[12:27], s[0:1], 0x0
	s_mov_b64 s[36:37], 0
	s_waitcnt lgkmcnt(0)
	s_ashr_i32 s5, s31, 31
	s_lshr_b32 s5, s5, 29
	s_add_i32 s5, s31, s5
	s_ashr_i32 s5, s5, 3
	v_cvt_f32_u32_e32 v1, s5
	s_sub_i32 s6, 0, s5
	v_rcp_iflag_f32_e32 v1, v1
	s_nop 0
	v_mul_f32_e32 v1, 0x4f7ffffe, v1
	v_cvt_u32_f32_e32 v1, v1
	s_nop 0
	v_readfirstlane_b32 s7, v1
	s_mul_i32 s6, s6, s7
	s_mul_hi_u32 s6, s7, s6
	s_add_i32 s7, s7, s6
	s_mul_hi_u32 s6, s4, s7
	s_mul_i32 s7, s6, s5
	s_sub_i32 s7, s4, s7
	s_add_i32 s8, s6, 1
	s_sub_i32 s9, s7, s5
	s_cmp_ge_u32 s7, s5
	s_cselect_b32 s6, s8, s6
	s_cselect_b32 s7, s9, s7
	s_add_i32 s8, s6, 1
	s_cmp_ge_u32 s7, s5
	s_cselect_b32 s33, s8, s6
	s_abs_i32 s5, s35
	v_cvt_f32_u32_e32 v1, s5
	s_lshl_b32 s4, s4, 3
	s_mul_i32 s8, s33, s31
	s_xor_b32 s6, s31, s35
	v_rcp_iflag_f32_e32 v1, v1
	s_sub_i32 s9, 0, s5
	s_sub_i32 s35, s4, s8
	s_abs_i32 s7, s31
	v_mul_f32_e32 v1, 0x4f7ffffe, v1
	v_cvt_u32_f32_e32 v1, v1
	s_ashr_i32 s6, s6, 31
	v_readfirstlane_b32 s4, v1
	s_mul_i32 s9, s9, s4
	s_mul_hi_u32 s8, s4, s9
	s_add_i32 s4, s4, s8
	s_mul_hi_u32 s4, s7, s4
	s_mul_i32 s8, s4, s5
	s_sub_i32 s7, s7, s8
	s_add_i32 s9, s4, 1
	s_sub_i32 s8, s7, s5
	s_cmp_ge_u32 s7, s5
	s_cselect_b32 s4, s9, s4
	s_cselect_b32 s7, s8, s7
	s_add_i32 s8, s4, 1
	s_cmp_ge_u32 s7, s5
	s_cselect_b32 s4, s8, s4
	s_xor_b32 s4, s4, s6
	s_sub_i32 s9, s4, s6
	s_abs_i32 s8, s9
	v_cvt_f32_u32_e32 v1, s8
	s_load_dwordx2 s[4:5], s[0:1], 0xb8
	s_cmp_eq_u64 s[18:19], 0
	v_rcp_iflag_f32_e32 v1, v1
	s_nop 0
	v_mul_f32_e32 v1, 0x4f7ffffe, v1
	v_cvt_u32_f32_e32 v1, v1
	s_nop 0
	v_readfirstlane_b32 s10, v1
	s_cbranch_scc1 .LBB5_2
; %bb.1:
	s_waitcnt lgkmcnt(0)
	s_abs_i32 s4, s4
	v_cvt_f32_u32_e32 v1, s4
	s_sub_i32 s37, 0, s4
	s_abs_i32 s36, s33
	s_ashr_i32 s11, s33, 31
	v_rcp_iflag_f32_e32 v1, v1
	s_load_dwordx2 s[6:7], s[0:1], 0xc8
	v_mul_f32_e32 v1, 0x4f7ffffe, v1
	v_cvt_u32_f32_e32 v1, v1
	s_nop 0
	v_readfirstlane_b32 s38, v1
	s_mul_i32 s37, s37, s38
	s_mul_hi_u32 s37, s38, s37
	s_add_i32 s38, s38, s37
	s_mul_hi_u32 s37, s36, s38
	s_mul_i32 s37, s37, s4
	s_sub_i32 s36, s36, s37
	s_sub_i32 s37, s36, s4
	s_cmp_ge_u32 s36, s4
	s_cselect_b32 s36, s37, s36
	s_sub_i32 s37, s36, s4
	s_cmp_ge_u32 s36, s4
	s_cselect_b32 s4, s37, s36
	s_xor_b32 s4, s4, s11
	s_sub_i32 s4, s4, s11
	s_ashr_i32 s11, s4, 31
	s_waitcnt lgkmcnt(0)
	s_mul_hi_u32 s36, s6, s4
	s_mul_i32 s11, s6, s11
	s_mul_i32 s7, s7, s4
	s_add_i32 s11, s36, s11
	s_add_i32 s11, s11, s7
	s_mul_i32 s4, s6, s4
	s_add_u32 s36, s18, s4
	s_addc_u32 s37, s19, s11
.LBB5_2:
	s_load_dwordx4 s[40:43], s[0:1], 0x70
	v_lshrrev_b32_e32 v3, 10, v0
	v_bfe_u32 v3, v3, 1, 9
	v_lshl_add_u32 v21, s2, 2, v3
	v_mul_hi_u32 v3, s28, v21
	s_waitcnt lgkmcnt(0)
	s_mul_i32 s4, s33, s42
	s_ashr_i32 s7, s4, 31
	s_mul_i32 s6, s35, s41
	s_add_u32 s4, s12, s4
	s_addc_u32 s7, s13, s7
	s_ashr_i32 s11, s6, 31
	v_add_u32_e32 v3, v21, v3
	s_add_u32 s12, s4, s6
	v_lshrrev_b32_e32 v3, s29, v3
	s_addc_u32 s13, s7, s11
	s_ashr_i32 s19, s41, 31
	s_mov_b32 s18, s41
	v_mul_lo_u32 v3, v3, s30
	s_ashr_i32 s41, s40, 31
	v_sub_u32_e32 v3, v21, v3
	s_lshr_b64 s[28:29], s[40:41], 2
	v_mad_u64_u32 v[4:5], s[28:29], s28, v3, 0
	v_mov_b32_e32 v6, v5
	s_lshr_b32 s4, s41, 2
	v_bfe_u32 v1, v0, 10, 10
	v_mad_u64_u32 v[6:7], s[28:29], s4, v3, v[6:7]
	v_lshlrev_b32_e32 v2, 2, v1
	v_mov_b32_e32 v5, v6
	v_and_b32_e32 v20, 0x3ff, v0
	s_lshr_b64 s[6:7], s[18:19], 2
	v_lshl_add_u64 v[4:5], v[4:5], 2, s[12:13]
	v_lshlrev_b32_e32 v6, 4, v20
	v_mov_b32_e32 v7, 0
	v_and_b32_e32 v48, 4, v2
	s_lshr_b32 s4, s19, 2
	v_lshl_add_u64 v[16:17], v[4:5], 0, v[6:7]
	v_mul_lo_u32 v0, s4, v48
	v_mad_u64_u32 v[4:5], s[12:13], s6, v48, 0
	v_or_b32_e32 v5, v5, v0
	v_bitop3_b32 v6, v2, 5, 1 bitop3:0xc8
	v_lshl_add_u64 v[12:13], v[4:5], 2, v[16:17]
	v_mad_u64_u32 v[4:5], s[12:13], s6, v6, 0
	v_mov_b32_e32 v0, v5
	v_mad_u64_u32 v[6:7], s[12:13], s4, v6, v[0:1]
	v_mov_b32_e32 v5, v6
	v_lshl_add_u64 v[14:15], v[4:5], 2, v[16:17]
	global_load_dwordx4 v[4:7], v[12:13], off
	global_load_dwordx4 v[8:11], v[14:15], off
	v_bitop3_b32 v14, v2, 6, 2 bitop3:0xc8
	v_mad_u64_u32 v[12:13], s[12:13], s6, v14, 0
	v_mov_b32_e32 v0, v13
	v_mad_u64_u32 v[14:15], s[12:13], s4, v14, v[0:1]
	v_mov_b32_e32 v13, v14
	v_lshl_add_u64 v[12:13], v[12:13], 2, v[16:17]
	v_bitop3_b32 v22, v2, 7, 3 bitop3:0xc8
	global_load_dwordx4 v[12:15], v[12:13], off
	v_mad_u64_u32 v[18:19], s[6:7], s6, v22, 0
	v_mov_b32_e32 v0, v19
	v_mad_u64_u32 v[22:23], s[6:7], s4, v22, v[0:1]
	v_mov_b32_e32 v19, v22
	v_lshl_add_u64 v[16:17], v[18:19], 2, v[16:17]
	global_load_dwordx4 v[16:19], v[16:17], off
	s_load_dword s4, s[0:1], 0x40
	v_lshlrev_b32_e32 v50, 3, v20
	v_lshlrev_b32_e32 v0, 10, v1
	v_add_u32_e32 v22, 0x2400, v50
	v_or_b32_e32 v23, 1, v2
	v_add_u32_e32 v25, v22, v0
	v_lshl_add_u32 v23, v23, 8, v22
	v_or_b32_e32 v24, 2, v2
	s_cmp_eq_u64 s[22:23], 0
	s_waitcnt vmcnt(3) lgkmcnt(0)
	v_fma_mixlo_f16 v4, s4, v4, 0
	v_fma_mixlo_f16 v5, s4, v5, 0
	;; [unrolled: 1-line block ×4, first 2 shown]
	s_waitcnt vmcnt(2)
	v_fma_mixlo_f16 v8, s4, v8, 0
	v_fma_mixlo_f16 v9, s4, v9, 0
	v_lshlrev_b32_e32 v5, 16, v5
	v_and_b32_e32 v4, 0xffff, v4
	v_fma_mixlo_f16 v10, s4, v10, 0
	v_fma_mixlo_f16 v11, s4, v11, 0
	v_lshlrev_b32_e32 v7, 16, v7
	v_and_b32_e32 v6, 0xffff, v6
	v_lshlrev_b32_e32 v9, 16, v9
	v_and_b32_e32 v8, 0xffff, v8
	v_or_b32_e32 v4, v5, v4
	v_lshlrev_b32_e32 v11, 16, v11
	v_and_b32_e32 v10, 0xffff, v10
	v_or3_b32 v5, v7, v6, 0
	v_or_b32_e32 v6, v9, v8
	v_or3_b32 v4, 0, 0, v4
	s_waitcnt vmcnt(1)
	v_fma_mixlo_f16 v12, s4, v12, 0
	v_or3_b32 v7, v11, v10, 0
	v_or3_b32 v6, 0, 0, v6
	ds_write_b64 v25, v[4:5]
	ds_write_b64 v23, v[6:7]
	v_fma_mixlo_f16 v4, s4, v13, 0
	v_lshlrev_b32_e32 v4, 16, v4
	v_and_b32_e32 v5, 0xffff, v12
	v_or_b32_e32 v4, v4, v5
	v_fma_mixlo_f16 v5, s4, v14, 0
	v_fma_mixlo_f16 v6, s4, v15, 0
	v_lshlrev_b32_e32 v6, 16, v6
	v_and_b32_e32 v5, 0xffff, v5
	v_lshl_add_u32 v7, v24, 8, v22
	v_or3_b32 v5, v6, v5, 0
	v_or3_b32 v4, 0, 0, v4
	ds_write_b64 v7, v[4:5]
	s_waitcnt vmcnt(0)
	v_fma_mixlo_f16 v5, s4, v16, 0
	v_fma_mixlo_f16 v6, s4, v17, 0
	v_lshlrev_b32_e32 v6, 16, v6
	v_and_b32_e32 v5, 0xffff, v5
	v_or_b32_e32 v4, 3, v2
	v_or_b32_e32 v6, v6, v5
	v_fma_mixlo_f16 v5, s4, v18, 0
	v_fma_mixlo_f16 v7, s4, v19, 0
	v_lshl_add_u32 v8, v4, 8, v22
	v_lshlrev_b32_e32 v4, 16, v7
	v_and_b32_e32 v5, 0xffff, v5
	v_or3_b32 v5, v4, v5, 0
	v_or3_b32 v4, 0, 0, v6
	ds_write_b64 v8, v[4:5]
	s_waitcnt lgkmcnt(0)
	s_barrier
	s_cbranch_scc1 .LBB5_4
; %bb.3:
	s_load_dword s4, s[0:1], 0xd0
	s_mov_b32 s7, 0
	s_waitcnt lgkmcnt(0)
	s_mul_i32 s4, s4, s33
	s_add_i32 s6, s4, s2
	s_lshl_b64 s[6:7], s[6:7], 2
	s_add_u32 s6, s22, s6
	s_addc_u32 s7, s23, s7
	s_load_dword s34, s[6:7], 0x0
.LBB5_4:
	s_lshl_b32 s2, s3, 6
	s_waitcnt lgkmcnt(0)
	s_cmp_lt_i32 s2, s34
	v_mbcnt_lo_u32_b32 v4, -1, 0
	s_cbranch_scc1 .LBB5_7
; %bb.5:
	v_mbcnt_hi_u32_b32 v33, -1, v4
	v_and_b32_e32 v5, 0x60, v33
	v_add_u32_e32 v51, 32, v5
	v_xor_b32_e32 v54, 16, v33
	v_xor_b32_e32 v55, 8, v33
	;; [unrolled: 1-line block ×5, first 2 shown]
	v_lshlrev_b32_e32 v49, 2, v20
	s_cbranch_execz .LBB5_8
; %bb.6:
	v_mov_b32_e32 v23, 0
	v_mov_b32_e32 v75, 0
	;; [unrolled: 1-line block ×16, first 2 shown]
	s_branch .LBB5_10
.LBB5_7:
                                        ; implicit-def: $vgpr33
                                        ; implicit-def: $vgpr51
                                        ; implicit-def: $vgpr54
                                        ; implicit-def: $vgpr55
                                        ; implicit-def: $vgpr56
                                        ; implicit-def: $vgpr53
                                        ; implicit-def: $vgpr52
	v_lshlrev_b32_e32 v49, 2, v20
.LBB5_8:
	s_load_dwordx2 s[6:7], s[0:1], 0x8c
	s_load_dwordx4 s[40:43], s[0:1], 0x98
	s_sub_i32 s4, 0, s8
	s_mul_i32 s4, s4, s10
	s_mul_hi_u32 s4, s10, s4
	s_waitcnt lgkmcnt(0)
	s_ashr_i32 s23, s6, 2
	s_ashr_i32 s6, s33, 31
	s_mul_hi_u32 s18, s40, s33
	s_mul_i32 s19, s40, s6
	s_add_i32 s18, s18, s19
	s_mul_i32 s19, s41, s33
	s_abs_i32 s12, s35
	s_add_i32 s10, s10, s4
	s_ashr_i32 s13, s35, 31
	s_ashr_i32 s9, s9, 31
	;; [unrolled: 1-line block ×4, first 2 shown]
	s_add_i32 s18, s18, s19
	s_mul_i32 s19, s40, s33
	s_mul_hi_u32 s4, s12, s10
	s_add_u32 s14, s14, s19
	s_addc_u32 s15, s15, s18
	s_xor_b32 s9, s13, s9
	s_mul_i32 s13, s4, s8
	s_sub_i32 s12, s12, s13
	s_add_i32 s13, s4, 1
	s_sub_i32 s18, s12, s8
	s_cmp_ge_u32 s12, s8
	s_cselect_b32 s4, s13, s4
	s_cselect_b32 s12, s18, s12
	s_add_i32 s13, s4, 1
	s_cmp_ge_u32 s12, s8
	s_load_dwordx2 s[10:11], s[0:1], 0xa8
	s_cselect_b32 s4, s13, s4
	s_xor_b32 s4, s4, s9
	s_sub_i32 s4, s4, s9
	s_mul_i32 s7, s4, s7
	s_ashr_i32 s8, s7, 31
	s_add_u32 s28, s14, s7
	s_waitcnt lgkmcnt(0)
	s_mul_hi_u32 s7, s10, s33
	s_mul_i32 s6, s10, s6
	s_addc_u32 s29, s15, s8
	s_add_i32 s6, s7, s6
	s_mul_i32 s7, s11, s33
	s_add_i32 s6, s6, s7
	s_mul_i32 s7, s10, s33
	s_add_u32 s7, s16, s7
	s_mul_i32 s4, s4, s43
	v_lshrrev_b32_e32 v5, 3, v20
	v_add_u32_e32 v59, 0x2400, v0
	v_mov_b32_e32 v0, 0x4400
	s_addc_u32 s6, s17, s6
	s_ashr_i32 s8, s4, 31
	v_add_u32_e32 v5, v5, v2
	v_and_b32_e32 v2, 28, v49
	v_lshl_add_u32 v61, v1, 9, v0
	v_lshrrev_b32_e32 v0, 4, v20
	s_add_u32 s38, s7, s4
	v_lshlrev_b32_e32 v6, 2, v2
	s_movk_i32 s4, 0x90
	v_lshl_add_u32 v0, v1, 1, v0
	v_mad_u32_u24 v57, v5, s4, v6
	v_mad_u64_u32 v[32:33], s[4:5], v3, s5, v[20:21]
	v_and_b32_e32 v6, 60, v49
	v_mul_lo_u32 v8, s22, v0
	s_addc_u32 s39, s6, s8
	v_mul_lo_u32 v28, s23, v5
	v_lshlrev_b32_e32 v1, 2, v6
	v_lshl_add_u32 v10, s22, 4, v8
	v_mbcnt_hi_u32_b32 v33, -1, v4
	v_mov_b32_e32 v27, 0
	v_lshl_add_u32 v30, s23, 5, v28
	v_lshl_or_b32 v62, v0, 8, v1
	v_ashrrev_i32_e32 v9, 31, v8
	v_ashrrev_i32_e32 v11, 31, v10
	s_add_u32 s18, s0, 0xd0
	v_and_b32_e32 v1, 0x60, v33
	v_ashrrev_i32_e32 v29, 31, v28
	v_add_u32_e32 v58, 0x1200, v57
	v_ashrrev_i32_e32 v31, 31, v30
	v_mul_u32_u24_e32 v60, 0x90, v20
	v_add_u32_e32 v63, 0x1000, v62
	s_addc_u32 s19, s1, 0
	v_mov_b32_e32 v0, 0xfeffffff
	v_lshlrev_b32_e32 v26, 2, v2
	v_add_u32_e32 v51, 32, v1
	v_xor_b32_e32 v54, 16, v33
	v_xor_b32_e32 v55, 8, v33
	;; [unrolled: 1-line block ×5, first 2 shown]
	s_mov_b32 s40, 0x3fb8aa3b
	s_mov_b32 s41, 0xc2ce8ed0
	;; [unrolled: 1-line block ×3, first 2 shown]
	v_mov_b32_e32 v64, 0x7f800000
	s_mov_b32 s43, 0x10001
	v_add_u32_e32 v65, v61, v50
	v_lshlrev_b64 v[34:35], 2, v[8:9]
	v_lshlrev_b32_e32 v36, 2, v6
	v_mov_b32_e32 v37, v27
	v_lshlrev_b64 v[38:39], 2, v[10:11]
	v_add_u32_e32 v66, 0x800, v50
	v_add_u32_e32 v67, 0x1000, v50
	;; [unrolled: 1-line block ×3, first 2 shown]
	v_mov_b32_e32 v69, v27
	v_mov_b32_e32 v70, v27
	;; [unrolled: 1-line block ×15, first 2 shown]
.LBB5_9:                                ; =>This Inner Loop Header: Depth=1
	v_cmp_lt_i32_e64 s[4:5], v54, v51
	s_mul_hi_i32 s7, s2, s23
	s_mul_i32 s6, s2, s23
	v_cndmask_b32_e64 v46, v33, v54, s[4:5]
	v_cmp_lt_i32_e64 s[4:5], v55, v51
	v_mov_b32_e32 v85, v1
	v_mov_b32_e32 v86, v0
	v_cndmask_b32_e64 v47, v33, v55, s[4:5]
	v_cmp_lt_i32_e64 s[4:5], v56, v51
	v_mov_b32_e32 v87, v3
	v_mov_b32_e32 v88, v2
	;; [unrolled: 4-line block ×3, first 2 shown]
	v_cndmask_b32_e64 v90, v33, v53, s[4:5]
	s_lshl_b64 s[4:5], s[6:7], 2
	s_add_u32 s4, s28, s4
	s_addc_u32 s5, s29, s5
	v_lshl_add_u64 v[0:1], v[28:29], 2, s[4:5]
	v_lshl_add_u64 v[2:3], v[30:31], 2, s[4:5]
	;; [unrolled: 1-line block ×4, first 2 shown]
	global_load_dwordx4 v[0:3], v[40:41], off
	global_load_dwordx4 v[4:7], v[42:43], off
	v_mov_b32_e32 v79, 0
	v_mov_b32_e32 v80, 0
	;; [unrolled: 1-line block ×6, first 2 shown]
	v_add_u32_e32 v44, s2, v32
	v_ashrrev_i32_e32 v45, 31, v44
	v_lshl_add_u64 v[44:45], v[44:45], 1, s[36:37]
	s_mul_hi_i32 s5, s2, s22
	s_mul_i32 s4, s2, s22
	s_lshl_b64 s[4:5], s[4:5], 2
	s_add_u32 s4, s38, s4
	s_addc_u32 s5, s39, s5
	v_cmp_lt_i32_e32 vcc, v52, v51
	v_lshlrev_b32_e32 v91, 2, v89
	v_lshlrev_b32_e32 v90, 2, v90
	s_waitcnt vmcnt(1)
	ds_write_b128 v57, v[0:3]
	s_waitcnt vmcnt(0)
	ds_write_b128 v58, v[4:7]
	s_waitcnt lgkmcnt(0)
	s_barrier
	ds_read_b128 v[0:3], v59
	ds_read_b128 v[4:7], v60
	ds_read_b128 v[8:11], v60 offset:4608
	ds_read_b128 v[12:15], v59 offset:256
	;; [unrolled: 1-line block ×4, first 2 shown]
	s_waitcnt lgkmcnt(4)
	;;#ASMSTART
	v_dot2_f32_f16 v77, v4, v0, v77
	;;#ASMEND
	s_nop 0
	;;#ASMSTART
	v_dot2_f32_f16 v77, v5, v1, v77
	;;#ASMEND
	s_nop 0
	;;#ASMSTART
	v_dot2_f32_f16 v77, v6, v2, v77
	;;#ASMEND
	s_nop 0
	;;#ASMSTART
	v_dot2_f32_f16 v77, v7, v3, v77
	;;#ASMEND
	s_waitcnt lgkmcnt(2)
	;;#ASMSTART
	v_dot2_f32_f16 v78, v4, v12, v78
	;;#ASMEND
	s_nop 0
	;;#ASMSTART
	v_dot2_f32_f16 v78, v5, v13, v78
	;;#ASMEND
	s_nop 0
	;;#ASMSTART
	v_dot2_f32_f16 v78, v6, v14, v78
	;;#ASMEND
	s_nop 0
	;;#ASMSTART
	v_dot2_f32_f16 v78, v7, v15, v78
	;;#ASMEND
	;; [unrolled: 16-line block ×4, first 2 shown]
	;;#ASMSTART
	v_dot2_f32_f16 v81, v8, v0, v81
	;;#ASMEND
	s_nop 0
	;;#ASMSTART
	v_dot2_f32_f16 v81, v9, v1, v81
	;;#ASMEND
	s_nop 0
	;;#ASMSTART
	v_dot2_f32_f16 v81, v10, v2, v81
	;;#ASMEND
	s_nop 0
	;;#ASMSTART
	v_dot2_f32_f16 v81, v11, v3, v81
	;;#ASMEND
	;;#ASMSTART
	v_dot2_f32_f16 v82, v8, v12, v82
	;;#ASMEND
	s_nop 0
	;;#ASMSTART
	v_dot2_f32_f16 v82, v9, v13, v82
	;;#ASMEND
	s_nop 0
	;;#ASMSTART
	v_dot2_f32_f16 v82, v10, v14, v82
	;;#ASMEND
	s_nop 0
	;;#ASMSTART
	v_dot2_f32_f16 v82, v11, v15, v82
	;;#ASMEND
	;; [unrolled: 15-line block ×4, first 2 shown]
	ds_read_b128 v[0:3], v59 offset:16
	ds_read_b128 v[4:7], v60 offset:16
	;; [unrolled: 1-line block ×6, first 2 shown]
	s_waitcnt lgkmcnt(4)
	;;#ASMSTART
	v_dot2_f32_f16 v77, v4, v0, v77
	;;#ASMEND
	s_nop 0
	;;#ASMSTART
	v_dot2_f32_f16 v77, v5, v1, v77
	;;#ASMEND
	s_nop 0
	;;#ASMSTART
	v_dot2_f32_f16 v77, v6, v2, v77
	;;#ASMEND
	s_nop 0
	;;#ASMSTART
	v_dot2_f32_f16 v77, v7, v3, v77
	;;#ASMEND
	s_waitcnt lgkmcnt(2)
	;;#ASMSTART
	v_dot2_f32_f16 v78, v4, v12, v78
	;;#ASMEND
	s_nop 0
	;;#ASMSTART
	v_dot2_f32_f16 v78, v5, v13, v78
	;;#ASMEND
	s_nop 0
	;;#ASMSTART
	v_dot2_f32_f16 v78, v6, v14, v78
	;;#ASMEND
	s_nop 0
	;;#ASMSTART
	v_dot2_f32_f16 v78, v7, v15, v78
	;;#ASMEND
	s_waitcnt lgkmcnt(1)
	;;#ASMSTART
	v_dot2_f32_f16 v79, v4, v16, v79
	;;#ASMEND
	s_nop 0
	;;#ASMSTART
	v_dot2_f32_f16 v79, v5, v17, v79
	;;#ASMEND
	s_nop 0
	;;#ASMSTART
	v_dot2_f32_f16 v79, v6, v18, v79
	;;#ASMEND
	s_nop 0
	;;#ASMSTART
	v_dot2_f32_f16 v79, v7, v19, v79
	;;#ASMEND
	s_waitcnt lgkmcnt(0)
	;;#ASMSTART
	v_dot2_f32_f16 v80, v4, v92, v80
	;;#ASMEND
	s_nop 0
	;;#ASMSTART
	v_dot2_f32_f16 v80, v5, v93, v80
	;;#ASMEND
	s_nop 0
	;;#ASMSTART
	v_dot2_f32_f16 v80, v6, v94, v80
	;;#ASMEND
	s_nop 0
	;;#ASMSTART
	v_dot2_f32_f16 v80, v7, v95, v80
	;;#ASMEND
	;;#ASMSTART
	v_dot2_f32_f16 v81, v8, v0, v81
	;;#ASMEND
	s_nop 0
	;;#ASMSTART
	v_dot2_f32_f16 v81, v9, v1, v81
	;;#ASMEND
	s_nop 0
	;;#ASMSTART
	v_dot2_f32_f16 v81, v10, v2, v81
	;;#ASMEND
	s_nop 0
	;;#ASMSTART
	v_dot2_f32_f16 v81, v11, v3, v81
	;;#ASMEND
	;;#ASMSTART
	v_dot2_f32_f16 v82, v8, v12, v82
	;;#ASMEND
	s_nop 0
	;;#ASMSTART
	v_dot2_f32_f16 v82, v9, v13, v82
	;;#ASMEND
	s_nop 0
	;;#ASMSTART
	v_dot2_f32_f16 v82, v10, v14, v82
	;;#ASMEND
	s_nop 0
	;;#ASMSTART
	v_dot2_f32_f16 v82, v11, v15, v82
	;;#ASMEND
	;; [unrolled: 15-line block ×4, first 2 shown]
	ds_read_b128 v[0:3], v59 offset:32
	ds_read_b128 v[4:7], v60 offset:32
	;; [unrolled: 1-line block ×6, first 2 shown]
	s_waitcnt lgkmcnt(4)
	;;#ASMSTART
	v_dot2_f32_f16 v77, v4, v0, v77
	;;#ASMEND
	s_nop 0
	;;#ASMSTART
	v_dot2_f32_f16 v77, v5, v1, v77
	;;#ASMEND
	s_nop 0
	;;#ASMSTART
	v_dot2_f32_f16 v77, v6, v2, v77
	;;#ASMEND
	s_nop 0
	;;#ASMSTART
	v_dot2_f32_f16 v77, v7, v3, v77
	;;#ASMEND
	s_waitcnt lgkmcnt(2)
	;;#ASMSTART
	v_dot2_f32_f16 v78, v4, v12, v78
	;;#ASMEND
	s_nop 0
	;;#ASMSTART
	v_dot2_f32_f16 v78, v5, v13, v78
	;;#ASMEND
	s_nop 0
	;;#ASMSTART
	v_dot2_f32_f16 v78, v6, v14, v78
	;;#ASMEND
	s_nop 0
	;;#ASMSTART
	v_dot2_f32_f16 v78, v7, v15, v78
	;;#ASMEND
	;; [unrolled: 16-line block ×4, first 2 shown]
	;;#ASMSTART
	v_dot2_f32_f16 v81, v8, v0, v81
	;;#ASMEND
	s_nop 0
	;;#ASMSTART
	v_dot2_f32_f16 v81, v9, v1, v81
	;;#ASMEND
	s_nop 0
	;;#ASMSTART
	v_dot2_f32_f16 v81, v10, v2, v81
	;;#ASMEND
	s_nop 0
	;;#ASMSTART
	v_dot2_f32_f16 v81, v11, v3, v81
	;;#ASMEND
	;;#ASMSTART
	v_dot2_f32_f16 v82, v8, v12, v82
	;;#ASMEND
	s_nop 0
	;;#ASMSTART
	v_dot2_f32_f16 v82, v9, v13, v82
	;;#ASMEND
	s_nop 0
	;;#ASMSTART
	v_dot2_f32_f16 v82, v10, v14, v82
	;;#ASMEND
	s_nop 0
	;;#ASMSTART
	v_dot2_f32_f16 v82, v11, v15, v82
	;;#ASMEND
	;; [unrolled: 15-line block ×4, first 2 shown]
	ds_read_b128 v[0:3], v59 offset:48
	ds_read_b128 v[4:7], v60 offset:48
	;; [unrolled: 1-line block ×6, first 2 shown]
	s_waitcnt lgkmcnt(4)
	;;#ASMSTART
	v_dot2_f32_f16 v77, v4, v0, v77
	;;#ASMEND
	s_nop 0
	;;#ASMSTART
	v_dot2_f32_f16 v77, v5, v1, v77
	;;#ASMEND
	s_nop 0
	;;#ASMSTART
	v_dot2_f32_f16 v77, v6, v2, v77
	;;#ASMEND
	s_nop 0
	;;#ASMSTART
	v_dot2_f32_f16 v77, v7, v3, v77
	;;#ASMEND
	s_waitcnt lgkmcnt(2)
	;;#ASMSTART
	v_dot2_f32_f16 v78, v4, v12, v78
	;;#ASMEND
	s_nop 0
	;;#ASMSTART
	v_dot2_f32_f16 v78, v5, v13, v78
	;;#ASMEND
	s_nop 0
	;;#ASMSTART
	v_dot2_f32_f16 v78, v6, v14, v78
	;;#ASMEND
	s_nop 0
	;;#ASMSTART
	v_dot2_f32_f16 v78, v7, v15, v78
	;;#ASMEND
	;; [unrolled: 16-line block ×4, first 2 shown]
	;;#ASMSTART
	v_dot2_f32_f16 v81, v8, v0, v81
	;;#ASMEND
	s_nop 0
	;;#ASMSTART
	v_dot2_f32_f16 v81, v9, v1, v81
	;;#ASMEND
	s_nop 0
	;;#ASMSTART
	v_dot2_f32_f16 v81, v10, v2, v81
	;;#ASMEND
	s_nop 0
	;;#ASMSTART
	v_dot2_f32_f16 v81, v11, v3, v81
	;;#ASMEND
	;;#ASMSTART
	v_dot2_f32_f16 v82, v8, v12, v82
	;;#ASMEND
	s_nop 0
	;;#ASMSTART
	v_dot2_f32_f16 v82, v9, v13, v82
	;;#ASMEND
	s_nop 0
	;;#ASMSTART
	v_dot2_f32_f16 v82, v10, v14, v82
	;;#ASMEND
	s_nop 0
	;;#ASMSTART
	v_dot2_f32_f16 v82, v11, v15, v82
	;;#ASMEND
	;; [unrolled: 15-line block ×4, first 2 shown]
	ds_read_b128 v[0:3], v59 offset:64
	ds_read_b128 v[4:7], v60 offset:64
	;; [unrolled: 1-line block ×6, first 2 shown]
	s_waitcnt lgkmcnt(4)
	;;#ASMSTART
	v_dot2_f32_f16 v77, v4, v0, v77
	;;#ASMEND
	s_nop 0
	;;#ASMSTART
	v_dot2_f32_f16 v77, v5, v1, v77
	;;#ASMEND
	s_nop 0
	;;#ASMSTART
	v_dot2_f32_f16 v77, v6, v2, v77
	;;#ASMEND
	s_nop 0
	;;#ASMSTART
	v_dot2_f32_f16 v77, v7, v3, v77
	;;#ASMEND
	s_waitcnt lgkmcnt(2)
	;;#ASMSTART
	v_dot2_f32_f16 v78, v4, v12, v78
	;;#ASMEND
	s_nop 0
	;;#ASMSTART
	v_dot2_f32_f16 v78, v5, v13, v78
	;;#ASMEND
	s_nop 0
	;;#ASMSTART
	v_dot2_f32_f16 v78, v6, v14, v78
	;;#ASMEND
	s_nop 0
	;;#ASMSTART
	v_dot2_f32_f16 v78, v7, v15, v78
	;;#ASMEND
	;; [unrolled: 16-line block ×4, first 2 shown]
	;;#ASMSTART
	v_dot2_f32_f16 v81, v8, v0, v81
	;;#ASMEND
	s_nop 0
	;;#ASMSTART
	v_dot2_f32_f16 v81, v9, v1, v81
	;;#ASMEND
	s_nop 0
	;;#ASMSTART
	v_dot2_f32_f16 v81, v10, v2, v81
	;;#ASMEND
	s_nop 0
	;;#ASMSTART
	v_dot2_f32_f16 v81, v11, v3, v81
	;;#ASMEND
	;;#ASMSTART
	v_dot2_f32_f16 v82, v8, v12, v82
	;;#ASMEND
	s_nop 0
	;;#ASMSTART
	v_dot2_f32_f16 v82, v9, v13, v82
	;;#ASMEND
	s_nop 0
	;;#ASMSTART
	v_dot2_f32_f16 v82, v10, v14, v82
	;;#ASMEND
	s_nop 0
	;;#ASMSTART
	v_dot2_f32_f16 v82, v11, v15, v82
	;;#ASMEND
	;; [unrolled: 15-line block ×4, first 2 shown]
	ds_read_b128 v[0:3], v59 offset:80
	ds_read_b128 v[4:7], v60 offset:80
	;; [unrolled: 1-line block ×6, first 2 shown]
	s_waitcnt lgkmcnt(4)
	;;#ASMSTART
	v_dot2_f32_f16 v77, v4, v0, v77
	;;#ASMEND
	s_nop 0
	;;#ASMSTART
	v_dot2_f32_f16 v77, v5, v1, v77
	;;#ASMEND
	s_nop 0
	;;#ASMSTART
	v_dot2_f32_f16 v77, v6, v2, v77
	;;#ASMEND
	s_nop 0
	;;#ASMSTART
	v_dot2_f32_f16 v77, v7, v3, v77
	;;#ASMEND
	s_waitcnt lgkmcnt(2)
	;;#ASMSTART
	v_dot2_f32_f16 v78, v4, v12, v78
	;;#ASMEND
	s_nop 0
	;;#ASMSTART
	v_dot2_f32_f16 v78, v5, v13, v78
	;;#ASMEND
	s_nop 0
	;;#ASMSTART
	v_dot2_f32_f16 v78, v6, v14, v78
	;;#ASMEND
	s_nop 0
	;;#ASMSTART
	v_dot2_f32_f16 v78, v7, v15, v78
	;;#ASMEND
	;; [unrolled: 16-line block ×4, first 2 shown]
	;;#ASMSTART
	v_dot2_f32_f16 v81, v8, v0, v81
	;;#ASMEND
	s_nop 0
	;;#ASMSTART
	v_dot2_f32_f16 v81, v9, v1, v81
	;;#ASMEND
	s_nop 0
	;;#ASMSTART
	v_dot2_f32_f16 v81, v10, v2, v81
	;;#ASMEND
	s_nop 0
	;;#ASMSTART
	v_dot2_f32_f16 v81, v11, v3, v81
	;;#ASMEND
	;;#ASMSTART
	v_dot2_f32_f16 v82, v8, v12, v82
	;;#ASMEND
	s_nop 0
	;;#ASMSTART
	v_dot2_f32_f16 v82, v9, v13, v82
	;;#ASMEND
	s_nop 0
	;;#ASMSTART
	v_dot2_f32_f16 v82, v10, v14, v82
	;;#ASMEND
	s_nop 0
	;;#ASMSTART
	v_dot2_f32_f16 v82, v11, v15, v82
	;;#ASMEND
	;; [unrolled: 15-line block ×4, first 2 shown]
	ds_read_b128 v[0:3], v59 offset:96
	ds_read_b128 v[4:7], v60 offset:96
	;; [unrolled: 1-line block ×6, first 2 shown]
	s_waitcnt lgkmcnt(4)
	;;#ASMSTART
	v_dot2_f32_f16 v77, v4, v0, v77
	;;#ASMEND
	s_nop 0
	;;#ASMSTART
	v_dot2_f32_f16 v77, v5, v1, v77
	;;#ASMEND
	s_nop 0
	;;#ASMSTART
	v_dot2_f32_f16 v77, v6, v2, v77
	;;#ASMEND
	s_nop 0
	;;#ASMSTART
	v_dot2_f32_f16 v77, v7, v3, v77
	;;#ASMEND
	s_waitcnt lgkmcnt(2)
	;;#ASMSTART
	v_dot2_f32_f16 v78, v4, v12, v78
	;;#ASMEND
	s_nop 0
	;;#ASMSTART
	v_dot2_f32_f16 v78, v5, v13, v78
	;;#ASMEND
	s_nop 0
	;;#ASMSTART
	v_dot2_f32_f16 v78, v6, v14, v78
	;;#ASMEND
	s_nop 0
	;;#ASMSTART
	v_dot2_f32_f16 v78, v7, v15, v78
	;;#ASMEND
	;; [unrolled: 16-line block ×4, first 2 shown]
	;;#ASMSTART
	v_dot2_f32_f16 v81, v8, v0, v81
	;;#ASMEND
	s_nop 0
	;;#ASMSTART
	v_dot2_f32_f16 v81, v9, v1, v81
	;;#ASMEND
	s_nop 0
	;;#ASMSTART
	v_dot2_f32_f16 v81, v10, v2, v81
	;;#ASMEND
	s_nop 0
	;;#ASMSTART
	v_dot2_f32_f16 v81, v11, v3, v81
	;;#ASMEND
	;;#ASMSTART
	v_dot2_f32_f16 v82, v8, v12, v82
	;;#ASMEND
	s_nop 0
	;;#ASMSTART
	v_dot2_f32_f16 v82, v9, v13, v82
	;;#ASMEND
	s_nop 0
	;;#ASMSTART
	v_dot2_f32_f16 v82, v10, v14, v82
	;;#ASMEND
	s_nop 0
	;;#ASMSTART
	v_dot2_f32_f16 v82, v11, v15, v82
	;;#ASMEND
	;; [unrolled: 15-line block ×4, first 2 shown]
	ds_read_b128 v[16:19], v59 offset:112
	ds_read_b128 v[92:95], v60 offset:112
	;; [unrolled: 1-line block ×6, first 2 shown]
	s_waitcnt lgkmcnt(4)
	;;#ASMSTART
	v_dot2_f32_f16 v77, v92, v16, v77
	;;#ASMEND
	s_nop 0
	;;#ASMSTART
	v_dot2_f32_f16 v77, v93, v17, v77
	;;#ASMEND
	s_nop 0
	;;#ASMSTART
	v_dot2_f32_f16 v77, v94, v18, v77
	;;#ASMEND
	s_nop 0
	;;#ASMSTART
	v_dot2_f32_f16 v77, v95, v19, v77
	;;#ASMEND
	s_waitcnt lgkmcnt(2)
	;;#ASMSTART
	v_dot2_f32_f16 v78, v92, v12, v78
	;;#ASMEND
	s_nop 0
	;;#ASMSTART
	v_dot2_f32_f16 v78, v93, v13, v78
	;;#ASMEND
	s_nop 0
	;;#ASMSTART
	v_dot2_f32_f16 v78, v94, v14, v78
	;;#ASMEND
	s_nop 0
	;;#ASMSTART
	v_dot2_f32_f16 v78, v95, v15, v78
	;;#ASMEND
	;; [unrolled: 16-line block ×3, first 2 shown]
	s_waitcnt lgkmcnt(0)
	;;#ASMSTART
	v_dot2_f32_f16 v80, v92, v4, v80
	;;#ASMEND
	v_lshlrev_b32_e32 v92, 2, v47
	;;#ASMSTART
	v_dot2_f32_f16 v80, v93, v5, v80
	;;#ASMEND
	v_lshlrev_b32_e32 v93, 2, v46
	;;#ASMSTART
	v_dot2_f32_f16 v80, v94, v6, v80
	;;#ASMEND
	v_lshl_add_u64 v[46:47], s[4:5], 0, v[34:35]
	;;#ASMSTART
	v_dot2_f32_f16 v80, v95, v7, v80
	;;#ASMEND
	;;#ASMSTART
	v_dot2_f32_f16 v81, v0, v16, v81
	;;#ASMEND
	v_cndmask_b32_e32 v94, v33, v52, vcc
	;;#ASMSTART
	v_dot2_f32_f16 v81, v1, v17, v81
	;;#ASMEND
	v_lshl_add_u64 v[46:47], v[46:47], 0, v[36:37]
	;;#ASMSTART
	v_dot2_f32_f16 v81, v2, v18, v81
	;;#ASMEND
	v_lshlrev_b32_e32 v89, 2, v94
	;;#ASMSTART
	v_dot2_f32_f16 v81, v3, v19, v81
	;;#ASMEND
	;;#ASMSTART
	v_dot2_f32_f16 v82, v0, v12, v82
	;;#ASMEND
	s_nop 0
	;;#ASMSTART
	v_dot2_f32_f16 v82, v1, v13, v82
	;;#ASMEND
	s_nop 0
	;;#ASMSTART
	v_dot2_f32_f16 v82, v2, v14, v82
	;;#ASMEND
	s_nop 0
	;;#ASMSTART
	v_dot2_f32_f16 v82, v3, v15, v82
	;;#ASMEND
	;;#ASMSTART
	v_dot2_f32_f16 v83, v0, v8, v83
	;;#ASMEND
	s_nop 0
	;;#ASMSTART
	v_dot2_f32_f16 v83, v1, v9, v83
	;;#ASMEND
	s_nop 0
	;;#ASMSTART
	v_dot2_f32_f16 v83, v2, v10, v83
	;;#ASMEND
	s_nop 0
	;; [unrolled: 15-line block ×3, first 2 shown]
	;;#ASMSTART
	v_dot2_f32_f16 v84, v3, v7, v84
	;;#ASMEND
	s_barrier
	global_load_dwordx4 v[0:3], v[40:41], off offset:128
	global_load_dwordx4 v[4:7], v[42:43], off offset:128
	s_waitcnt vmcnt(1)
	ds_write_b128 v57, v[0:3]
	s_waitcnt vmcnt(0)
	ds_write_b128 v58, v[4:7]
	s_waitcnt lgkmcnt(0)
	s_barrier
	ds_read_b128 v[0:3], v59 offset:128
	ds_read_b128 v[4:7], v60
	ds_read_b128 v[8:11], v60 offset:4608
	ds_read_b128 v[12:15], v59 offset:384
	;; [unrolled: 1-line block ×4, first 2 shown]
	s_waitcnt lgkmcnt(4)
	;;#ASMSTART
	v_dot2_f32_f16 v77, v4, v0, v77
	;;#ASMEND
	s_nop 0
	;;#ASMSTART
	v_dot2_f32_f16 v77, v5, v1, v77
	;;#ASMEND
	s_nop 0
	;;#ASMSTART
	v_dot2_f32_f16 v77, v6, v2, v77
	;;#ASMEND
	s_nop 0
	;;#ASMSTART
	v_dot2_f32_f16 v77, v7, v3, v77
	;;#ASMEND
	s_waitcnt lgkmcnt(2)
	;;#ASMSTART
	v_dot2_f32_f16 v78, v4, v12, v78
	;;#ASMEND
	s_nop 0
	;;#ASMSTART
	v_dot2_f32_f16 v78, v5, v13, v78
	;;#ASMEND
	s_nop 0
	;;#ASMSTART
	v_dot2_f32_f16 v78, v6, v14, v78
	;;#ASMEND
	s_nop 0
	;;#ASMSTART
	v_dot2_f32_f16 v78, v7, v15, v78
	;;#ASMEND
	;; [unrolled: 16-line block ×4, first 2 shown]
	;;#ASMSTART
	v_dot2_f32_f16 v81, v8, v0, v81
	;;#ASMEND
	s_nop 0
	;;#ASMSTART
	v_dot2_f32_f16 v81, v9, v1, v81
	;;#ASMEND
	s_nop 0
	;;#ASMSTART
	v_dot2_f32_f16 v81, v10, v2, v81
	;;#ASMEND
	s_nop 0
	;;#ASMSTART
	v_dot2_f32_f16 v81, v11, v3, v81
	;;#ASMEND
	;;#ASMSTART
	v_dot2_f32_f16 v82, v8, v12, v82
	;;#ASMEND
	s_nop 0
	;;#ASMSTART
	v_dot2_f32_f16 v82, v9, v13, v82
	;;#ASMEND
	s_nop 0
	;;#ASMSTART
	v_dot2_f32_f16 v82, v10, v14, v82
	;;#ASMEND
	s_nop 0
	;;#ASMSTART
	v_dot2_f32_f16 v82, v11, v15, v82
	;;#ASMEND
	;; [unrolled: 15-line block ×4, first 2 shown]
	ds_read_b128 v[0:3], v59 offset:144
	ds_read_b128 v[4:7], v60 offset:16
	;; [unrolled: 1-line block ×6, first 2 shown]
	s_waitcnt lgkmcnt(4)
	;;#ASMSTART
	v_dot2_f32_f16 v77, v4, v0, v77
	;;#ASMEND
	s_nop 0
	;;#ASMSTART
	v_dot2_f32_f16 v77, v5, v1, v77
	;;#ASMEND
	s_nop 0
	;;#ASMSTART
	v_dot2_f32_f16 v77, v6, v2, v77
	;;#ASMEND
	s_nop 0
	;;#ASMSTART
	v_dot2_f32_f16 v77, v7, v3, v77
	;;#ASMEND
	s_waitcnt lgkmcnt(2)
	;;#ASMSTART
	v_dot2_f32_f16 v78, v4, v12, v78
	;;#ASMEND
	s_nop 0
	;;#ASMSTART
	v_dot2_f32_f16 v78, v5, v13, v78
	;;#ASMEND
	s_nop 0
	;;#ASMSTART
	v_dot2_f32_f16 v78, v6, v14, v78
	;;#ASMEND
	s_nop 0
	;;#ASMSTART
	v_dot2_f32_f16 v78, v7, v15, v78
	;;#ASMEND
	;; [unrolled: 16-line block ×4, first 2 shown]
	;;#ASMSTART
	v_dot2_f32_f16 v81, v8, v0, v81
	;;#ASMEND
	s_nop 0
	;;#ASMSTART
	v_dot2_f32_f16 v81, v9, v1, v81
	;;#ASMEND
	s_nop 0
	;;#ASMSTART
	v_dot2_f32_f16 v81, v10, v2, v81
	;;#ASMEND
	s_nop 0
	;;#ASMSTART
	v_dot2_f32_f16 v81, v11, v3, v81
	;;#ASMEND
	;;#ASMSTART
	v_dot2_f32_f16 v82, v8, v12, v82
	;;#ASMEND
	s_nop 0
	;;#ASMSTART
	v_dot2_f32_f16 v82, v9, v13, v82
	;;#ASMEND
	s_nop 0
	;;#ASMSTART
	v_dot2_f32_f16 v82, v10, v14, v82
	;;#ASMEND
	s_nop 0
	;;#ASMSTART
	v_dot2_f32_f16 v82, v11, v15, v82
	;;#ASMEND
	;; [unrolled: 15-line block ×4, first 2 shown]
	ds_read_b128 v[0:3], v59 offset:160
	ds_read_b128 v[4:7], v60 offset:32
	;; [unrolled: 1-line block ×6, first 2 shown]
	s_waitcnt lgkmcnt(4)
	;;#ASMSTART
	v_dot2_f32_f16 v77, v4, v0, v77
	;;#ASMEND
	s_nop 0
	;;#ASMSTART
	v_dot2_f32_f16 v77, v5, v1, v77
	;;#ASMEND
	s_nop 0
	;;#ASMSTART
	v_dot2_f32_f16 v77, v6, v2, v77
	;;#ASMEND
	s_nop 0
	;;#ASMSTART
	v_dot2_f32_f16 v77, v7, v3, v77
	;;#ASMEND
	s_waitcnt lgkmcnt(2)
	;;#ASMSTART
	v_dot2_f32_f16 v78, v4, v12, v78
	;;#ASMEND
	s_nop 0
	;;#ASMSTART
	v_dot2_f32_f16 v78, v5, v13, v78
	;;#ASMEND
	s_nop 0
	;;#ASMSTART
	v_dot2_f32_f16 v78, v6, v14, v78
	;;#ASMEND
	s_nop 0
	;;#ASMSTART
	v_dot2_f32_f16 v78, v7, v15, v78
	;;#ASMEND
	;; [unrolled: 16-line block ×4, first 2 shown]
	;;#ASMSTART
	v_dot2_f32_f16 v81, v8, v0, v81
	;;#ASMEND
	s_nop 0
	;;#ASMSTART
	v_dot2_f32_f16 v81, v9, v1, v81
	;;#ASMEND
	s_nop 0
	;;#ASMSTART
	v_dot2_f32_f16 v81, v10, v2, v81
	;;#ASMEND
	s_nop 0
	;;#ASMSTART
	v_dot2_f32_f16 v81, v11, v3, v81
	;;#ASMEND
	;;#ASMSTART
	v_dot2_f32_f16 v82, v8, v12, v82
	;;#ASMEND
	s_nop 0
	;;#ASMSTART
	v_dot2_f32_f16 v82, v9, v13, v82
	;;#ASMEND
	s_nop 0
	;;#ASMSTART
	v_dot2_f32_f16 v82, v10, v14, v82
	;;#ASMEND
	s_nop 0
	;;#ASMSTART
	v_dot2_f32_f16 v82, v11, v15, v82
	;;#ASMEND
	;; [unrolled: 15-line block ×4, first 2 shown]
	ds_read_b128 v[0:3], v59 offset:176
	ds_read_b128 v[4:7], v60 offset:48
	;; [unrolled: 1-line block ×6, first 2 shown]
	s_waitcnt lgkmcnt(4)
	;;#ASMSTART
	v_dot2_f32_f16 v77, v4, v0, v77
	;;#ASMEND
	s_nop 0
	;;#ASMSTART
	v_dot2_f32_f16 v77, v5, v1, v77
	;;#ASMEND
	s_nop 0
	;;#ASMSTART
	v_dot2_f32_f16 v77, v6, v2, v77
	;;#ASMEND
	s_nop 0
	;;#ASMSTART
	v_dot2_f32_f16 v77, v7, v3, v77
	;;#ASMEND
	s_waitcnt lgkmcnt(2)
	;;#ASMSTART
	v_dot2_f32_f16 v78, v4, v12, v78
	;;#ASMEND
	s_nop 0
	;;#ASMSTART
	v_dot2_f32_f16 v78, v5, v13, v78
	;;#ASMEND
	s_nop 0
	;;#ASMSTART
	v_dot2_f32_f16 v78, v6, v14, v78
	;;#ASMEND
	s_nop 0
	;;#ASMSTART
	v_dot2_f32_f16 v78, v7, v15, v78
	;;#ASMEND
	;; [unrolled: 16-line block ×4, first 2 shown]
	;;#ASMSTART
	v_dot2_f32_f16 v81, v8, v0, v81
	;;#ASMEND
	s_nop 0
	;;#ASMSTART
	v_dot2_f32_f16 v81, v9, v1, v81
	;;#ASMEND
	s_nop 0
	;;#ASMSTART
	v_dot2_f32_f16 v81, v10, v2, v81
	;;#ASMEND
	s_nop 0
	;;#ASMSTART
	v_dot2_f32_f16 v81, v11, v3, v81
	;;#ASMEND
	;;#ASMSTART
	v_dot2_f32_f16 v82, v8, v12, v82
	;;#ASMEND
	s_nop 0
	;;#ASMSTART
	v_dot2_f32_f16 v82, v9, v13, v82
	;;#ASMEND
	s_nop 0
	;;#ASMSTART
	v_dot2_f32_f16 v82, v10, v14, v82
	;;#ASMEND
	s_nop 0
	;;#ASMSTART
	v_dot2_f32_f16 v82, v11, v15, v82
	;;#ASMEND
	;; [unrolled: 15-line block ×4, first 2 shown]
	ds_read_b128 v[0:3], v59 offset:192
	ds_read_b128 v[4:7], v60 offset:64
	;; [unrolled: 1-line block ×6, first 2 shown]
	s_waitcnt lgkmcnt(4)
	;;#ASMSTART
	v_dot2_f32_f16 v77, v4, v0, v77
	;;#ASMEND
	s_nop 0
	;;#ASMSTART
	v_dot2_f32_f16 v77, v5, v1, v77
	;;#ASMEND
	s_nop 0
	;;#ASMSTART
	v_dot2_f32_f16 v77, v6, v2, v77
	;;#ASMEND
	s_nop 0
	;;#ASMSTART
	v_dot2_f32_f16 v77, v7, v3, v77
	;;#ASMEND
	s_waitcnt lgkmcnt(2)
	;;#ASMSTART
	v_dot2_f32_f16 v78, v4, v12, v78
	;;#ASMEND
	s_nop 0
	;;#ASMSTART
	v_dot2_f32_f16 v78, v5, v13, v78
	;;#ASMEND
	s_nop 0
	;;#ASMSTART
	v_dot2_f32_f16 v78, v6, v14, v78
	;;#ASMEND
	s_nop 0
	;;#ASMSTART
	v_dot2_f32_f16 v78, v7, v15, v78
	;;#ASMEND
	;; [unrolled: 16-line block ×4, first 2 shown]
	;;#ASMSTART
	v_dot2_f32_f16 v81, v8, v0, v81
	;;#ASMEND
	s_nop 0
	;;#ASMSTART
	v_dot2_f32_f16 v81, v9, v1, v81
	;;#ASMEND
	s_nop 0
	;;#ASMSTART
	v_dot2_f32_f16 v81, v10, v2, v81
	;;#ASMEND
	s_nop 0
	;;#ASMSTART
	v_dot2_f32_f16 v81, v11, v3, v81
	;;#ASMEND
	;;#ASMSTART
	v_dot2_f32_f16 v82, v8, v12, v82
	;;#ASMEND
	s_nop 0
	;;#ASMSTART
	v_dot2_f32_f16 v82, v9, v13, v82
	;;#ASMEND
	s_nop 0
	;;#ASMSTART
	v_dot2_f32_f16 v82, v10, v14, v82
	;;#ASMEND
	s_nop 0
	;;#ASMSTART
	v_dot2_f32_f16 v82, v11, v15, v82
	;;#ASMEND
	;; [unrolled: 15-line block ×4, first 2 shown]
	ds_read_b128 v[0:3], v59 offset:208
	ds_read_b128 v[4:7], v60 offset:80
	;; [unrolled: 1-line block ×6, first 2 shown]
	s_waitcnt lgkmcnt(4)
	;;#ASMSTART
	v_dot2_f32_f16 v77, v4, v0, v77
	;;#ASMEND
	s_nop 0
	;;#ASMSTART
	v_dot2_f32_f16 v77, v5, v1, v77
	;;#ASMEND
	s_nop 0
	;;#ASMSTART
	v_dot2_f32_f16 v77, v6, v2, v77
	;;#ASMEND
	s_nop 0
	;;#ASMSTART
	v_dot2_f32_f16 v77, v7, v3, v77
	;;#ASMEND
	s_waitcnt lgkmcnt(2)
	;;#ASMSTART
	v_dot2_f32_f16 v78, v4, v12, v78
	;;#ASMEND
	s_nop 0
	;;#ASMSTART
	v_dot2_f32_f16 v78, v5, v13, v78
	;;#ASMEND
	s_nop 0
	;;#ASMSTART
	v_dot2_f32_f16 v78, v6, v14, v78
	;;#ASMEND
	s_nop 0
	;;#ASMSTART
	v_dot2_f32_f16 v78, v7, v15, v78
	;;#ASMEND
	;; [unrolled: 16-line block ×4, first 2 shown]
	;;#ASMSTART
	v_dot2_f32_f16 v81, v8, v0, v81
	;;#ASMEND
	s_nop 0
	;;#ASMSTART
	v_dot2_f32_f16 v81, v9, v1, v81
	;;#ASMEND
	s_nop 0
	;;#ASMSTART
	v_dot2_f32_f16 v81, v10, v2, v81
	;;#ASMEND
	s_nop 0
	;;#ASMSTART
	v_dot2_f32_f16 v81, v11, v3, v81
	;;#ASMEND
	;;#ASMSTART
	v_dot2_f32_f16 v82, v8, v12, v82
	;;#ASMEND
	s_nop 0
	;;#ASMSTART
	v_dot2_f32_f16 v82, v9, v13, v82
	;;#ASMEND
	s_nop 0
	;;#ASMSTART
	v_dot2_f32_f16 v82, v10, v14, v82
	;;#ASMEND
	s_nop 0
	;;#ASMSTART
	v_dot2_f32_f16 v82, v11, v15, v82
	;;#ASMEND
	;; [unrolled: 15-line block ×4, first 2 shown]
	ds_read_b128 v[0:3], v59 offset:224
	ds_read_b128 v[4:7], v60 offset:96
	;; [unrolled: 1-line block ×6, first 2 shown]
	s_waitcnt lgkmcnt(4)
	;;#ASMSTART
	v_dot2_f32_f16 v77, v4, v0, v77
	;;#ASMEND
	s_nop 0
	;;#ASMSTART
	v_dot2_f32_f16 v77, v5, v1, v77
	;;#ASMEND
	s_nop 0
	;;#ASMSTART
	v_dot2_f32_f16 v77, v6, v2, v77
	;;#ASMEND
	s_nop 0
	;;#ASMSTART
	v_dot2_f32_f16 v77, v7, v3, v77
	;;#ASMEND
	s_waitcnt lgkmcnt(2)
	;;#ASMSTART
	v_dot2_f32_f16 v78, v4, v12, v78
	;;#ASMEND
	s_nop 0
	;;#ASMSTART
	v_dot2_f32_f16 v78, v5, v13, v78
	;;#ASMEND
	s_nop 0
	;;#ASMSTART
	v_dot2_f32_f16 v78, v6, v14, v78
	;;#ASMEND
	s_nop 0
	;;#ASMSTART
	v_dot2_f32_f16 v78, v7, v15, v78
	;;#ASMEND
	;; [unrolled: 16-line block ×4, first 2 shown]
	;;#ASMSTART
	v_dot2_f32_f16 v81, v8, v0, v81
	;;#ASMEND
	s_nop 0
	;;#ASMSTART
	v_dot2_f32_f16 v81, v9, v1, v81
	;;#ASMEND
	s_nop 0
	;;#ASMSTART
	v_dot2_f32_f16 v81, v10, v2, v81
	;;#ASMEND
	s_nop 0
	;;#ASMSTART
	v_dot2_f32_f16 v81, v11, v3, v81
	;;#ASMEND
	;;#ASMSTART
	v_dot2_f32_f16 v82, v8, v12, v82
	;;#ASMEND
	s_nop 0
	;;#ASMSTART
	v_dot2_f32_f16 v82, v9, v13, v82
	;;#ASMEND
	s_nop 0
	;;#ASMSTART
	v_dot2_f32_f16 v82, v10, v14, v82
	;;#ASMEND
	s_nop 0
	;;#ASMSTART
	v_dot2_f32_f16 v82, v11, v15, v82
	;;#ASMEND
	;; [unrolled: 15-line block ×4, first 2 shown]
	ds_read_b128 v[0:3], v59 offset:240
	ds_read_b128 v[4:7], v60 offset:112
	;; [unrolled: 1-line block ×6, first 2 shown]
	s_waitcnt lgkmcnt(4)
	;;#ASMSTART
	v_dot2_f32_f16 v77, v4, v0, v77
	;;#ASMEND
	s_nop 0
	;;#ASMSTART
	v_dot2_f32_f16 v77, v5, v1, v77
	;;#ASMEND
	s_nop 0
	;;#ASMSTART
	v_dot2_f32_f16 v77, v6, v2, v77
	;;#ASMEND
	s_nop 0
	;;#ASMSTART
	v_dot2_f32_f16 v77, v7, v3, v77
	;;#ASMEND
	s_waitcnt lgkmcnt(2)
	;;#ASMSTART
	v_dot2_f32_f16 v78, v4, v12, v78
	;;#ASMEND
	s_nop 0
	;;#ASMSTART
	v_dot2_f32_f16 v78, v5, v13, v78
	;;#ASMEND
	s_nop 0
	;;#ASMSTART
	v_dot2_f32_f16 v78, v6, v14, v78
	;;#ASMEND
	s_nop 0
	;;#ASMSTART
	v_dot2_f32_f16 v78, v7, v15, v78
	;;#ASMEND
	;; [unrolled: 16-line block ×3, first 2 shown]
	s_waitcnt lgkmcnt(0)
	;;#ASMSTART
	v_dot2_f32_f16 v80, v4, v40, v80
	;;#ASMEND
	s_nop 0
	;;#ASMSTART
	v_dot2_f32_f16 v80, v5, v41, v80
	;;#ASMEND
	v_lshl_add_u64 v[4:5], s[4:5], 0, v[38:39]
	;;#ASMSTART
	v_dot2_f32_f16 v80, v6, v42, v80
	;;#ASMEND
	v_lshl_add_u64 v[94:95], v[4:5], 0, v[36:37]
	;;#ASMSTART
	v_dot2_f32_f16 v80, v7, v43, v80
	;;#ASMEND
	;;#ASMSTART
	v_dot2_f32_f16 v81, v8, v0, v81
	;;#ASMEND
	s_nop 0
	;;#ASMSTART
	v_dot2_f32_f16 v81, v9, v1, v81
	;;#ASMEND
	s_nop 0
	;;#ASMSTART
	v_dot2_f32_f16 v81, v10, v2, v81
	;;#ASMEND
	s_nop 0
	;;#ASMSTART
	v_dot2_f32_f16 v81, v11, v3, v81
	;;#ASMEND
	;;#ASMSTART
	v_dot2_f32_f16 v82, v8, v12, v82
	;;#ASMEND
	s_nop 0
	;;#ASMSTART
	v_dot2_f32_f16 v82, v9, v13, v82
	;;#ASMEND
	s_nop 0
	;;#ASMSTART
	v_dot2_f32_f16 v82, v10, v14, v82
	;;#ASMEND
	s_nop 0
	;; [unrolled: 15-line block ×4, first 2 shown]
	;;#ASMSTART
	v_dot2_f32_f16 v84, v11, v43, v84
	;;#ASMEND
	global_load_ushort v0, v[44:45], off
	global_load_ushort v1, v[44:45], off offset:64
	s_barrier
	global_load_dwordx4 v[4:7], v[46:47], off
	global_load_dwordx4 v[8:11], v[94:95], off
	s_waitcnt vmcnt(3)
	v_cvt_f32_f16_e32 v0, v0
	s_waitcnt vmcnt(2)
	v_cvt_f32_f16_e32 v1, v1
	v_add_f32_e32 v12, v77, v0
	v_add_f32_e32 v13, v81, v1
	;; [unrolled: 1-line block ×14, first 2 shown]
	v_max3_f32 v0, v86, v0, v1
	v_add_f32_e32 v42, 0x40051340, v18
	v_add_f32_e32 v43, 0x40051340, v19
	v_max3_f32 v1, v85, v2, v3
	v_max3_f32 v2, v88, v40, v41
	ds_bpermute_b32 v40, v93, v0
	v_max3_f32 v3, v87, v42, v43
	ds_bpermute_b32 v41, v93, v1
	ds_bpermute_b32 v42, v93, v2
	ds_bpermute_b32 v43, v93, v3
	s_waitcnt lgkmcnt(3)
	v_max_f32_e32 v40, v40, v40
	v_max_f32_e32 v0, v0, v40
	s_waitcnt lgkmcnt(2)
	v_max_f32_e32 v41, v41, v41
	s_waitcnt lgkmcnt(1)
	v_max_f32_e32 v42, v42, v42
	s_waitcnt lgkmcnt(0)
	v_max_f32_e32 v43, v43, v43
	ds_bpermute_b32 v40, v92, v0
	v_max_f32_e32 v1, v1, v41
	v_max_f32_e32 v2, v2, v42
	v_max_f32_e32 v3, v3, v43
	ds_bpermute_b32 v41, v92, v1
	ds_bpermute_b32 v42, v92, v2
	ds_bpermute_b32 v43, v92, v3
	s_waitcnt lgkmcnt(3)
	v_max_f32_e32 v40, v40, v40
	v_max_f32_e32 v0, v0, v40
	s_waitcnt lgkmcnt(2)
	v_max_f32_e32 v41, v41, v41
	s_waitcnt lgkmcnt(1)
	v_max_f32_e32 v42, v42, v42
	s_waitcnt lgkmcnt(0)
	v_max_f32_e32 v43, v43, v43
	ds_bpermute_b32 v40, v91, v0
	v_max_f32_e32 v1, v1, v41
	v_max_f32_e32 v2, v2, v42
	v_max_f32_e32 v3, v3, v43
	;; [unrolled: 16-line block ×4, first 2 shown]
	ds_bpermute_b32 v41, v89, v1
	ds_bpermute_b32 v42, v89, v2
	;; [unrolled: 1-line block ×3, first 2 shown]
	s_waitcnt lgkmcnt(3)
	v_max_f32_e32 v40, v40, v40
	v_max_f32_e32 v0, v0, v40
	s_waitcnt lgkmcnt(2)
	v_max_f32_e32 v41, v41, v41
	s_waitcnt lgkmcnt(1)
	;; [unrolled: 2-line block ×3, first 2 shown]
	v_max_f32_e32 v43, v43, v43
	v_sub_f32_e32 v12, v12, v0
	v_sub_f32_e32 v13, v13, v0
	v_max_f32_e32 v1, v1, v41
	v_max_f32_e32 v2, v2, v42
	;; [unrolled: 1-line block ×3, first 2 shown]
	v_mul_f32_e32 v40, 0x3fb8aa3b, v12
	v_mul_f32_e32 v41, 0x3fb8aa3b, v13
	v_sub_f32_e32 v14, v14, v1
	v_sub_f32_e32 v15, v15, v1
	;; [unrolled: 1-line block ×6, first 2 shown]
	v_fma_f32 v77, v12, s40, -v40
	v_fma_f32 v78, v13, s40, -v41
	v_rndne_f32_e32 v89, v40
	v_rndne_f32_e32 v90, v41
	v_mul_f32_e32 v42, 0x3fb8aa3b, v14
	v_mul_f32_e32 v43, 0x3fb8aa3b, v15
	;; [unrolled: 1-line block ×6, first 2 shown]
	v_fmac_f32_e32 v77, 0x32a5705f, v12
	v_sub_f32_e32 v40, v40, v89
	v_fmac_f32_e32 v78, 0x32a5705f, v13
	v_sub_f32_e32 v41, v41, v90
	v_fma_f32 v79, v14, s40, -v42
	v_fma_f32 v80, v15, s40, -v43
	;; [unrolled: 1-line block ×6, first 2 shown]
	v_rndne_f32_e32 v91, v42
	v_rndne_f32_e32 v92, v43
	;; [unrolled: 1-line block ×4, first 2 shown]
	v_add_f32_e32 v40, v40, v77
	v_rndne_f32_e32 v77, v46
	v_add_f32_e32 v41, v41, v78
	v_rndne_f32_e32 v78, v47
	v_fmac_f32_e32 v79, 0x32a5705f, v14
	v_fmac_f32_e32 v80, 0x32a5705f, v15
	;; [unrolled: 1-line block ×6, first 2 shown]
	v_sub_f32_e32 v42, v42, v91
	v_sub_f32_e32 v43, v43, v92
	;; [unrolled: 1-line block ×6, first 2 shown]
	v_add_f32_e32 v42, v42, v79
	v_add_f32_e32 v43, v43, v80
	;; [unrolled: 1-line block ×6, first 2 shown]
	v_cvt_i32_f32_e32 v89, v89
	v_cvt_i32_f32_e32 v90, v90
	;; [unrolled: 1-line block ×8, first 2 shown]
	v_exp_f32_e32 v40, v40
	v_exp_f32_e32 v41, v41
	;; [unrolled: 1-line block ×8, first 2 shown]
	v_ldexp_f32 v42, v42, v91
	v_cmp_ngt_f32_e32 vcc, s41, v14
	v_ldexp_f32 v44, v44, v93
	v_cmp_ngt_f32_e64 s[4:5], s41, v16
	v_ldexp_f32 v43, v43, v92
	v_cmp_ngt_f32_e64 s[6:7], s41, v15
	;; [unrolled: 2-line block ×7, first 2 shown]
	s_nop 1
	v_cndmask_b32_e64 v41, 0, v41, s[16:17]
	v_cmp_nlt_f32_e64 s[16:17], s42, v13
	v_cndmask_b32_e32 v13, 0, v42, vcc
	v_cmp_nlt_f32_e32 vcc, s42, v14
	v_cndmask_b32_e64 v14, 0, v43, s[6:7]
	v_cmp_nlt_f32_e64 s[6:7], s42, v15
	v_cndmask_b32_e64 v15, 0, v44, s[4:5]
	v_cmp_nlt_f32_e64 s[4:5], s42, v16
	;; [unrolled: 2-line block ×6, first 2 shown]
	v_cndmask_b32_e64 v42, v64, v41, s[16:17]
	v_cndmask_b32_e32 v41, v64, v13, vcc
	v_cndmask_b32_e64 v40, v64, v19, s[10:11]
	v_cndmask_b32_e64 v43, v64, v14, s[6:7]
	;; [unrolled: 1-line block ×6, first 2 shown]
	v_cvt_pk_f16_f32 v13, v44, v45
	v_cvt_pk_f16_f32 v12, v40, v41
	;; [unrolled: 1-line block ×4, first 2 shown]
	ds_write2_b64 v65, v[12:13], v[14:15] offset1:32
	s_waitcnt vmcnt(1)
	ds_write_b128 v62, v[4:7]
	s_waitcnt vmcnt(0)
	ds_write_b128 v63, v[8:11]
	s_waitcnt lgkmcnt(0)
	s_barrier
	ds_read_b128 v[4:7], v61
	ds_read_b128 v[8:11], v61 offset:16
	ds_read_b128 v[12:15], v61 offset:32
	;; [unrolled: 1-line block ×3, first 2 shown]
	s_waitcnt lgkmcnt(3)
	v_mul_u32_u24_sdwa v77, v4, s43 dst_sel:DWORD dst_unused:UNUSED_PAD src0_sel:WORD_0 src1_sel:DWORD
	v_mul_u32_u24_sdwa v78, v4, s43 dst_sel:DWORD dst_unused:UNUSED_PAD src0_sel:WORD_1 src1_sel:DWORD
	v_mul_u32_u24_sdwa v79, v5, s43 dst_sel:DWORD dst_unused:UNUSED_PAD src0_sel:WORD_0 src1_sel:DWORD
	v_mul_u32_u24_sdwa v80, v5, s43 dst_sel:DWORD dst_unused:UNUSED_PAD src0_sel:WORD_1 src1_sel:DWORD
	;; [unrolled: 2-line block ×4, first 2 shown]
	s_waitcnt lgkmcnt(2)
	v_mul_u32_u24_sdwa v89, v8, s43 dst_sel:DWORD dst_unused:UNUSED_PAD src0_sel:WORD_0 src1_sel:DWORD
	v_mul_u32_u24_sdwa v90, v8, s43 dst_sel:DWORD dst_unused:UNUSED_PAD src0_sel:WORD_1 src1_sel:DWORD
	v_mul_u32_u24_sdwa v91, v9, s43 dst_sel:DWORD dst_unused:UNUSED_PAD src0_sel:WORD_0 src1_sel:DWORD
	v_mul_u32_u24_sdwa v92, v9, s43 dst_sel:DWORD dst_unused:UNUSED_PAD src0_sel:WORD_1 src1_sel:DWORD
	;; [unrolled: 2-line block ×4, first 2 shown]
	ds_read_b128 v[4:7], v61 offset:64
	ds_read_b128 v[8:11], v61 offset:80
	s_waitcnt lgkmcnt(3)
	v_mul_u32_u24_sdwa v97, v12, s43 dst_sel:DWORD dst_unused:UNUSED_PAD src0_sel:WORD_0 src1_sel:DWORD
	v_mul_u32_u24_sdwa v98, v12, s43 dst_sel:DWORD dst_unused:UNUSED_PAD src0_sel:WORD_1 src1_sel:DWORD
	v_sub_f32_e32 v12, v88, v2
	v_mul_u32_u24_sdwa v99, v13, s43 dst_sel:DWORD dst_unused:UNUSED_PAD src0_sel:WORD_0 src1_sel:DWORD
	v_mul_u32_u24_sdwa v100, v13, s43 dst_sel:DWORD dst_unused:UNUSED_PAD src0_sel:WORD_1 src1_sel:DWORD
	v_mul_f32_e32 v13, 0x3fb8aa3b, v12
	s_waitcnt lgkmcnt(1)
	v_mul_u32_u24_sdwa v107, v4, s43 dst_sel:DWORD dst_unused:UNUSED_PAD src0_sel:WORD_0 src1_sel:DWORD
	v_mul_u32_u24_sdwa v108, v4, s43 dst_sel:DWORD dst_unused:UNUSED_PAD src0_sel:WORD_1 src1_sel:DWORD
	v_mul_u32_u24_sdwa v109, v5, s43 dst_sel:DWORD dst_unused:UNUSED_PAD src0_sel:WORD_0 src1_sel:DWORD
	v_mul_u32_u24_sdwa v110, v5, s43 dst_sel:DWORD dst_unused:UNUSED_PAD src0_sel:WORD_1 src1_sel:DWORD
	v_pk_add_f32 v[4:5], v[40:41], v[42:43]
	v_fma_f32 v40, v12, s40, -v13
	v_rndne_f32_e32 v41, v13
	v_fmac_f32_e32 v40, 0x32a5705f, v12
	v_sub_f32_e32 v13, v13, v41
	v_add_f32_e32 v13, v13, v40
	v_sub_f32_e32 v40, v87, v3
	v_mul_f32_e32 v42, 0x3fb8aa3b, v40
	v_cvt_i32_f32_e32 v41, v41
	v_exp_f32_e32 v13, v13
	v_mul_u32_u24_sdwa v111, v6, s43 dst_sel:DWORD dst_unused:UNUSED_PAD src0_sel:WORD_0 src1_sel:DWORD
	v_mul_u32_u24_sdwa v112, v6, s43 dst_sel:DWORD dst_unused:UNUSED_PAD src0_sel:WORD_1 src1_sel:DWORD
	v_mul_u32_u24_sdwa v113, v7, s43 dst_sel:DWORD dst_unused:UNUSED_PAD src0_sel:WORD_0 src1_sel:DWORD
	v_mul_u32_u24_sdwa v114, v7, s43 dst_sel:DWORD dst_unused:UNUSED_PAD src0_sel:WORD_1 src1_sel:DWORD
	v_pk_add_f32 v[6:7], v[44:45], v[46:47]
	v_fma_f32 v43, v40, s40, -v42
	v_rndne_f32_e32 v44, v42
	v_fmac_f32_e32 v43, 0x32a5705f, v40
	v_sub_f32_e32 v42, v42, v44
	v_add_f32_e32 v42, v42, v43
	v_ldexp_f32 v13, v13, v41
	v_cvt_i32_f32_e32 v41, v44
	v_exp_f32_e32 v42, v42
	v_cmp_ngt_f32_e32 vcc, s41, v40
	v_cmp_ngt_f32_e64 s[4:5], s41, v12
	s_waitcnt lgkmcnt(0)
	v_mul_u32_u24_sdwa v47, v8, s43 dst_sel:DWORD dst_unused:UNUSED_PAD src0_sel:WORD_1 src1_sel:DWORD
	v_ldexp_f32 v41, v42, v41
	v_cndmask_b32_e32 v41, 0, v41, vcc
	v_cmp_nlt_f32_e32 vcc, s42, v40
	v_cndmask_b32_e64 v13, 0, v13, s[4:5]
	v_cmp_nlt_f32_e64 s[4:5], s42, v12
	v_mul_u32_u24_sdwa v101, v14, s43 dst_sel:DWORD dst_unused:UNUSED_PAD src0_sel:WORD_0 src1_sel:DWORD
	v_mul_u32_u24_sdwa v14, v14, s43 dst_sel:DWORD dst_unused:UNUSED_PAD src0_sel:WORD_1 src1_sel:DWORD
	v_cndmask_b32_e64 v12, v64, v13, s[4:5]
	v_cndmask_b32_e32 v13, v64, v41, vcc
	v_pk_fma_f32 v[22:23], v[22:23], v[12:13], v[6:7]
	v_sub_f32_e32 v6, v86, v0
	v_mul_f32_e32 v7, 0x3fb8aa3b, v6
	v_fma_f32 v40, v6, s40, -v7
	v_rndne_f32_e32 v41, v7
	v_fmac_f32_e32 v40, 0x32a5705f, v6
	v_sub_f32_e32 v7, v7, v41
	v_add_f32_e32 v7, v7, v40
	v_sub_f32_e32 v40, v85, v1
	v_mul_f32_e32 v42, 0x3fb8aa3b, v40
	v_cvt_i32_f32_e32 v41, v41
	v_exp_f32_e32 v7, v7
	v_fma_f32 v43, v40, s40, -v42
	v_rndne_f32_e32 v44, v42
	v_fmac_f32_e32 v43, 0x32a5705f, v40
	v_sub_f32_e32 v42, v42, v44
	v_add_f32_e32 v42, v42, v43
	v_ldexp_f32 v7, v7, v41
	v_cvt_i32_f32_e32 v41, v44
	v_exp_f32_e32 v42, v42
	v_cmp_ngt_f32_e32 vcc, s41, v40
	v_cmp_ngt_f32_e64 s[4:5], s41, v6
	v_cvt_f16_f32_e32 v12, v12
	v_ldexp_f32 v41, v42, v41
	v_cndmask_b32_e32 v41, 0, v41, vcc
	v_cmp_nlt_f32_e32 vcc, s42, v40
	v_cndmask_b32_e64 v7, 0, v7, s[4:5]
	v_cmp_nlt_f32_e64 s[4:5], s42, v6
	v_mul_u32_u24_e32 v12, 0x10001, v12
	v_mul_u32_u24_sdwa v102, v15, s43 dst_sel:DWORD dst_unused:UNUSED_PAD src0_sel:WORD_0 src1_sel:DWORD
	v_cndmask_b32_e64 v6, v64, v7, s[4:5]
	v_cndmask_b32_e32 v7, v64, v41, vcc
	v_pk_fma_f32 v[24:25], v[24:25], v[6:7], v[4:5]
	v_cvt_f16_f32_e32 v5, v13
	v_cvt_f16_f32_e32 v4, v6
	;; [unrolled: 1-line block ×3, first 2 shown]
	v_mul_u32_u24_sdwa v15, v15, s43 dst_sel:DWORD dst_unused:UNUSED_PAD src0_sel:WORD_1 src1_sel:DWORD
	v_mul_u32_u24_e32 v5, 0x10001, v5
	v_pk_mul_f16 v13, v70, v5
	v_pk_mul_f16 v41, v69, v5
	v_mul_u32_u24_e32 v42, 0x10001, v4
	ds_read2_b64 v[4:7], v50 offset1:32
	v_mul_u32_u24_e32 v40, 0x10001, v40
	v_mul_u32_u24_sdwa v69, v9, s43 dst_sel:DWORD dst_unused:UNUSED_PAD src0_sel:WORD_0 src1_sel:DWORD
	v_mul_u32_u24_sdwa v70, v9, s43 dst_sel:DWORD dst_unused:UNUSED_PAD src0_sel:WORD_1 src1_sel:DWORD
	v_mul_u32_u24_sdwa v104, v17, s43 dst_sel:DWORD dst_unused:UNUSED_PAD src0_sel:WORD_0 src1_sel:DWORD
	s_waitcnt lgkmcnt(0)
	v_pk_mul_f16 v43, v4, v77
	v_pk_mul_f16 v44, v4, v78
	;; [unrolled: 1-line block ×3, first 2 shown]
	v_pk_fma_f16 v43, v75, v42, v43
	v_pk_mul_f16 v42, v76, v42
	v_pk_fma_f16 v44, v74, v40, v44
	v_pk_mul_f16 v40, v73, v40
	;; [unrolled: 2-line block ×3, first 2 shown]
	v_pk_fma_f16 v42, v5, v77, v42
	v_pk_fma_f16 v40, v5, v78, v40
	;; [unrolled: 1-line block ×13, first 2 shown]
	ds_read2_b64 v[4:7], v50 offset0:64 offset1:96
	v_mul_u32_u24_sdwa v44, v8, s43 dst_sel:DWORD dst_unused:UNUSED_PAD src0_sel:WORD_0 src1_sel:DWORD
	v_mul_u32_u24_sdwa v71, v10, s43 dst_sel:DWORD dst_unused:UNUSED_PAD src0_sel:WORD_0 src1_sel:DWORD
	v_mul_u32_u24_sdwa v72, v10, s43 dst_sel:DWORD dst_unused:UNUSED_PAD src0_sel:WORD_1 src1_sel:DWORD
	v_mul_u32_u24_sdwa v73, v11, s43 dst_sel:DWORD dst_unused:UNUSED_PAD src0_sel:WORD_0 src1_sel:DWORD
	v_mul_u32_u24_sdwa v74, v11, s43 dst_sel:DWORD dst_unused:UNUSED_PAD src0_sel:WORD_1 src1_sel:DWORD
	s_waitcnt lgkmcnt(0)
	v_pk_fma_f16 v8, v4, v92, v12
	v_pk_fma_f16 v9, v5, v92, v13
	;; [unrolled: 1-line block ×10, first 2 shown]
	ds_read_b128 v[8:11], v61 offset:96
	v_pk_fma_f16 v5, v5, v91, v46
	v_pk_fma_f16 v4, v4, v91, v45
	;; [unrolled: 1-line block ×6, first 2 shown]
	ds_read_b128 v[4:7], v61 offset:112
	s_waitcnt lgkmcnt(1)
	v_mul_u32_u24_sdwa v75, v8, s43 dst_sel:DWORD dst_unused:UNUSED_PAD src0_sel:WORD_0 src1_sel:DWORD
	v_mul_u32_u24_sdwa v76, v8, s43 dst_sel:DWORD dst_unused:UNUSED_PAD src0_sel:WORD_1 src1_sel:DWORD
	v_mul_u32_u24_sdwa v77, v9, s43 dst_sel:DWORD dst_unused:UNUSED_PAD src0_sel:WORD_0 src1_sel:DWORD
	v_mul_u32_u24_sdwa v78, v9, s43 dst_sel:DWORD dst_unused:UNUSED_PAD src0_sel:WORD_1 src1_sel:DWORD
	;; [unrolled: 2-line block ×4, first 2 shown]
	ds_read2_b64 v[8:11], v50 offset0:128 offset1:160
	s_waitcnt lgkmcnt(1)
	v_mul_u32_u24_sdwa v83, v6, s43 dst_sel:DWORD dst_unused:UNUSED_PAD src0_sel:WORD_0 src1_sel:DWORD
	v_mul_u32_u24_sdwa v84, v6, s43 dst_sel:DWORD dst_unused:UNUSED_PAD src0_sel:WORD_1 src1_sel:DWORD
	v_mul_u32_u24_sdwa v85, v7, s43 dst_sel:DWORD dst_unused:UNUSED_PAD src0_sel:WORD_0 src1_sel:DWORD
	v_mul_u32_u24_sdwa v86, v7, s43 dst_sel:DWORD dst_unused:UNUSED_PAD src0_sel:WORD_1 src1_sel:DWORD
	s_waitcnt lgkmcnt(0)
	v_pk_fma_f16 v40, v8, v100, v40
	v_pk_fma_f16 v41, v9, v100, v41
	;; [unrolled: 1-line block ×14, first 2 shown]
	v_mul_u32_u24_sdwa v14, v4, s43 dst_sel:DWORD dst_unused:UNUSED_PAD src0_sel:WORD_0 src1_sel:DWORD
	v_mul_u32_u24_sdwa v43, v4, s43 dst_sel:DWORD dst_unused:UNUSED_PAD src0_sel:WORD_1 src1_sel:DWORD
	v_mul_u32_u24_sdwa v45, v5, s43 dst_sel:DWORD dst_unused:UNUSED_PAD src0_sel:WORD_0 src1_sel:DWORD
	v_mul_u32_u24_sdwa v46, v5, s43 dst_sel:DWORD dst_unused:UNUSED_PAD src0_sel:WORD_1 src1_sel:DWORD
	ds_read2_b64 v[4:7], v50 offset0:192 offset1:224
	v_mul_u32_u24_sdwa v17, v17, s43 dst_sel:DWORD dst_unused:UNUSED_PAD src0_sel:WORD_1 src1_sel:DWORD
	v_mul_u32_u24_sdwa v103, v16, s43 dst_sel:DWORD dst_unused:UNUSED_PAD src0_sel:WORD_0 src1_sel:DWORD
	v_mul_u32_u24_sdwa v16, v16, s43 dst_sel:DWORD dst_unused:UNUSED_PAD src0_sel:WORD_1 src1_sel:DWORD
	v_mul_u32_u24_sdwa v106, v19, s43 dst_sel:DWORD dst_unused:UNUSED_PAD src0_sel:WORD_0 src1_sel:DWORD
	v_mul_u32_u24_sdwa v19, v19, s43 dst_sel:DWORD dst_unused:UNUSED_PAD src0_sel:WORD_1 src1_sel:DWORD
	v_pk_fma_f16 v9, v11, v102, v9
	v_pk_fma_f16 v8, v10, v102, v8
	s_waitcnt lgkmcnt(0)
	v_pk_fma_f16 v10, v4, v17, v40
	v_pk_fma_f16 v11, v5, v17, v15
	;; [unrolled: 1-line block ×10, first 2 shown]
	ds_read_b128 v[8:11], v61 offset:128
	v_mul_u32_u24_sdwa v105, v18, s43 dst_sel:DWORD dst_unused:UNUSED_PAD src0_sel:WORD_0 src1_sel:DWORD
	v_mul_u32_u24_sdwa v18, v18, s43 dst_sel:DWORD dst_unused:UNUSED_PAD src0_sel:WORD_1 src1_sel:DWORD
	v_pk_fma_f16 v15, v7, v105, v15
	v_pk_fma_f16 v17, v6, v105, v17
	;; [unrolled: 1-line block ×6, first 2 shown]
	ds_read_b128 v[4:7], v61 offset:144
	s_waitcnt lgkmcnt(1)
	v_mul_u32_u24_sdwa v41, v8, s43 dst_sel:DWORD dst_unused:UNUSED_PAD src0_sel:WORD_0 src1_sel:DWORD
	v_mul_u32_u24_sdwa v42, v8, s43 dst_sel:DWORD dst_unused:UNUSED_PAD src0_sel:WORD_1 src1_sel:DWORD
	v_mul_u32_u24_sdwa v87, v9, s43 dst_sel:DWORD dst_unused:UNUSED_PAD src0_sel:WORD_0 src1_sel:DWORD
	v_mul_u32_u24_sdwa v88, v9, s43 dst_sel:DWORD dst_unused:UNUSED_PAD src0_sel:WORD_1 src1_sel:DWORD
	;; [unrolled: 2-line block ×4, first 2 shown]
	ds_read2_b64 v[8:11], v66 offset1:32
	s_waitcnt lgkmcnt(1)
	v_mul_u32_u24_sdwa v93, v5, s43 dst_sel:DWORD dst_unused:UNUSED_PAD src0_sel:WORD_0 src1_sel:DWORD
	v_mul_u32_u24_sdwa v94, v5, s43 dst_sel:DWORD dst_unused:UNUSED_PAD src0_sel:WORD_1 src1_sel:DWORD
	v_mul_u32_u24_sdwa v95, v6, s43 dst_sel:DWORD dst_unused:UNUSED_PAD src0_sel:WORD_0 src1_sel:DWORD
	v_mul_u32_u24_sdwa v96, v6, s43 dst_sel:DWORD dst_unused:UNUSED_PAD src0_sel:WORD_1 src1_sel:DWORD
	s_waitcnt lgkmcnt(0)
	v_pk_fma_f16 v19, v9, v110, v19
	v_pk_fma_f16 v16, v8, v110, v16
	;; [unrolled: 1-line block ×9, first 2 shown]
	v_mul_u32_u24_sdwa v19, v4, s43 dst_sel:DWORD dst_unused:UNUSED_PAD src0_sel:WORD_0 src1_sel:DWORD
	v_mul_u32_u24_sdwa v40, v4, s43 dst_sel:DWORD dst_unused:UNUSED_PAD src0_sel:WORD_1 src1_sel:DWORD
	v_mul_u32_u24_sdwa v97, v7, s43 dst_sel:DWORD dst_unused:UNUSED_PAD src0_sel:WORD_0 src1_sel:DWORD
	v_mul_u32_u24_sdwa v98, v7, s43 dst_sel:DWORD dst_unused:UNUSED_PAD src0_sel:WORD_1 src1_sel:DWORD
	ds_read2_b64 v[4:7], v66 offset0:64 offset1:96
	v_pk_fma_f16 v16, v10, v114, v16
	v_pk_fma_f16 v15, v11, v111, v15
	;; [unrolled: 1-line block ×7, first 2 shown]
	s_waitcnt lgkmcnt(0)
	v_pk_fma_f16 v10, v4, v70, v16
	v_pk_fma_f16 v11, v5, v70, v18
	;; [unrolled: 1-line block ×10, first 2 shown]
	ds_read_b128 v[8:11], v61 offset:160
	v_pk_fma_f16 v15, v7, v71, v15
	v_pk_fma_f16 v16, v6, v71, v16
	;; [unrolled: 1-line block ×6, first 2 shown]
	ds_read_b128 v[4:7], v61 offset:176
	s_waitcnt lgkmcnt(1)
	v_mul_u32_u24_sdwa v69, v8, s43 dst_sel:DWORD dst_unused:UNUSED_PAD src0_sel:WORD_0 src1_sel:DWORD
	v_mul_u32_u24_sdwa v70, v8, s43 dst_sel:DWORD dst_unused:UNUSED_PAD src0_sel:WORD_1 src1_sel:DWORD
	v_mul_u32_u24_sdwa v71, v9, s43 dst_sel:DWORD dst_unused:UNUSED_PAD src0_sel:WORD_0 src1_sel:DWORD
	v_mul_u32_u24_sdwa v72, v9, s43 dst_sel:DWORD dst_unused:UNUSED_PAD src0_sel:WORD_1 src1_sel:DWORD
	;; [unrolled: 2-line block ×4, first 2 shown]
	ds_read2_b64 v[8:11], v66 offset0:128 offset1:160
	s_or_b32 s4, s2, 32
	s_mul_hi_i32 s5, s4, s22
	s_mul_i32 s4, s4, s22
	s_lshl_b64 s[4:5], s[4:5], 2
	s_waitcnt lgkmcnt(0)
	v_pk_fma_f16 v15, v9, v75, v15
	v_pk_fma_f16 v16, v8, v75, v16
	;; [unrolled: 1-line block ×12, first 2 shown]
	v_mul_u32_u24_sdwa v44, v4, s43 dst_sel:DWORD dst_unused:UNUSED_PAD src0_sel:WORD_0 src1_sel:DWORD
	v_mul_u32_u24_sdwa v47, v4, s43 dst_sel:DWORD dst_unused:UNUSED_PAD src0_sel:WORD_1 src1_sel:DWORD
	v_mul_u32_u24_sdwa v75, v5, s43 dst_sel:DWORD dst_unused:UNUSED_PAD src0_sel:WORD_0 src1_sel:DWORD
	v_mul_u32_u24_sdwa v76, v5, s43 dst_sel:DWORD dst_unused:UNUSED_PAD src0_sel:WORD_1 src1_sel:DWORD
	v_mul_u32_u24_sdwa v77, v6, s43 dst_sel:DWORD dst_unused:UNUSED_PAD src0_sel:WORD_0 src1_sel:DWORD
	v_mul_u32_u24_sdwa v78, v6, s43 dst_sel:DWORD dst_unused:UNUSED_PAD src0_sel:WORD_1 src1_sel:DWORD
	v_mul_u32_u24_sdwa v79, v7, s43 dst_sel:DWORD dst_unused:UNUSED_PAD src0_sel:WORD_0 src1_sel:DWORD
	v_mul_u32_u24_sdwa v80, v7, s43 dst_sel:DWORD dst_unused:UNUSED_PAD src0_sel:WORD_1 src1_sel:DWORD
	ds_read2_b64 v[4:7], v66 offset0:192 offset1:224
	v_pk_fma_f16 v17, v10, v82, v17
	v_pk_fma_f16 v18, v11, v82, v18
	;; [unrolled: 1-line block ×4, first 2 shown]
	s_waitcnt lgkmcnt(0)
	v_pk_fma_f16 v10, v4, v46, v17
	v_pk_fma_f16 v11, v5, v46, v18
	;; [unrolled: 1-line block ×10, first 2 shown]
	ds_read_b128 v[8:11], v61 offset:192
	v_pk_fma_f16 v15, v7, v83, v15
	v_pk_fma_f16 v14, v6, v83, v14
	;; [unrolled: 1-line block ×6, first 2 shown]
	ds_read_b128 v[4:7], v61 offset:208
	s_waitcnt lgkmcnt(1)
	v_mul_u32_u24_sdwa v45, v8, s43 dst_sel:DWORD dst_unused:UNUSED_PAD src0_sel:WORD_0 src1_sel:DWORD
	v_mul_u32_u24_sdwa v46, v8, s43 dst_sel:DWORD dst_unused:UNUSED_PAD src0_sel:WORD_1 src1_sel:DWORD
	v_mul_u32_u24_sdwa v81, v9, s43 dst_sel:DWORD dst_unused:UNUSED_PAD src0_sel:WORD_0 src1_sel:DWORD
	v_mul_u32_u24_sdwa v82, v9, s43 dst_sel:DWORD dst_unused:UNUSED_PAD src0_sel:WORD_1 src1_sel:DWORD
	;; [unrolled: 2-line block ×4, first 2 shown]
	ds_read2_b64 v[8:11], v67 offset1:32
	s_add_u32 s4, s38, s4
	s_addc_u32 s5, s39, s5
	s_waitcnt lgkmcnt(0)
	v_pk_fma_f16 v16, v8, v88, v16
	v_pk_fma_f16 v17, v9, v88, v17
	;; [unrolled: 1-line block ×14, first 2 shown]
	v_mul_u32_u24_sdwa v42, v4, s43 dst_sel:DWORD dst_unused:UNUSED_PAD src0_sel:WORD_0 src1_sel:DWORD
	v_pk_fma_f16 v9, v11, v91, v9
	v_pk_fma_f16 v8, v10, v91, v8
	v_mul_u32_u24_sdwa v87, v4, s43 dst_sel:DWORD dst_unused:UNUSED_PAD src0_sel:WORD_1 src1_sel:DWORD
	v_mul_u32_u24_sdwa v88, v5, s43 dst_sel:DWORD dst_unused:UNUSED_PAD src0_sel:WORD_0 src1_sel:DWORD
	v_mul_u32_u24_sdwa v43, v5, s43 dst_sel:DWORD dst_unused:UNUSED_PAD src0_sel:WORD_1 src1_sel:DWORD
	v_mul_u32_u24_sdwa v89, v6, s43 dst_sel:DWORD dst_unused:UNUSED_PAD src0_sel:WORD_0 src1_sel:DWORD
	;; [unrolled: 2-line block ×3, first 2 shown]
	v_mul_u32_u24_sdwa v92, v7, s43 dst_sel:DWORD dst_unused:UNUSED_PAD src0_sel:WORD_1 src1_sel:DWORD
	ds_read2_b64 v[4:7], v67 offset0:64 offset1:96
	s_waitcnt lgkmcnt(0)
	v_pk_fma_f16 v10, v4, v94, v16
	v_pk_fma_f16 v11, v5, v94, v17
	;; [unrolled: 1-line block ×10, first 2 shown]
	ds_read_b128 v[8:11], v61 offset:224
	v_pk_fma_f16 v15, v7, v95, v15
	v_pk_fma_f16 v14, v6, v95, v14
	;; [unrolled: 1-line block ×6, first 2 shown]
	ds_read_b128 v[4:7], v61 offset:240
	s_waitcnt lgkmcnt(1)
	v_mul_u32_u24_sdwa v93, v8, s43 dst_sel:DWORD dst_unused:UNUSED_PAD src0_sel:WORD_0 src1_sel:DWORD
	v_mul_u32_u24_sdwa v94, v8, s43 dst_sel:DWORD dst_unused:UNUSED_PAD src0_sel:WORD_1 src1_sel:DWORD
	v_mul_u32_u24_sdwa v95, v9, s43 dst_sel:DWORD dst_unused:UNUSED_PAD src0_sel:WORD_0 src1_sel:DWORD
	v_mul_u32_u24_sdwa v96, v9, s43 dst_sel:DWORD dst_unused:UNUSED_PAD src0_sel:WORD_1 src1_sel:DWORD
	;; [unrolled: 2-line block ×4, first 2 shown]
	ds_read2_b64 v[8:11], v67 offset0:128 offset1:160
	s_waitcnt lgkmcnt(0)
	v_pk_fma_f16 v16, v8, v72, v16
	v_pk_fma_f16 v17, v9, v72, v17
	;; [unrolled: 1-line block ×14, first 2 shown]
	v_mul_u32_u24_sdwa v69, v4, s43 dst_sel:DWORD dst_unused:UNUSED_PAD src0_sel:WORD_0 src1_sel:DWORD
	v_pk_fma_f16 v9, v11, v99, v9
	v_pk_fma_f16 v8, v10, v99, v8
	v_mul_u32_u24_sdwa v70, v4, s43 dst_sel:DWORD dst_unused:UNUSED_PAD src0_sel:WORD_1 src1_sel:DWORD
	v_mul_u32_u24_sdwa v71, v5, s43 dst_sel:DWORD dst_unused:UNUSED_PAD src0_sel:WORD_0 src1_sel:DWORD
	v_mul_u32_u24_sdwa v72, v5, s43 dst_sel:DWORD dst_unused:UNUSED_PAD src0_sel:WORD_1 src1_sel:DWORD
	v_mul_u32_u24_sdwa v73, v6, s43 dst_sel:DWORD dst_unused:UNUSED_PAD src0_sel:WORD_0 src1_sel:DWORD
	v_mul_u32_u24_sdwa v74, v6, s43 dst_sel:DWORD dst_unused:UNUSED_PAD src0_sel:WORD_1 src1_sel:DWORD
	v_mul_u32_u24_sdwa v99, v7, s43 dst_sel:DWORD dst_unused:UNUSED_PAD src0_sel:WORD_0 src1_sel:DWORD
	v_mul_u32_u24_sdwa v100, v7, s43 dst_sel:DWORD dst_unused:UNUSED_PAD src0_sel:WORD_1 src1_sel:DWORD
	ds_read2_b64 v[4:7], v67 offset0:192 offset1:224
	s_waitcnt lgkmcnt(0)
	v_pk_fma_f16 v10, v4, v76, v16
	v_pk_fma_f16 v11, v5, v76, v17
	;; [unrolled: 1-line block ×8, first 2 shown]
	v_lshl_add_u64 v[4:5], s[4:5], 0, v[34:35]
	v_pk_fma_f16 v10, v6, v80, v10
	v_pk_fma_f16 v11, v7, v80, v11
	;; [unrolled: 1-line block ×4, first 2 shown]
	v_lshl_add_u64 v[16:17], v[4:5], 0, v[36:37]
	v_pk_fma_f16 v12, v7, v78, v12
	v_pk_fma_f16 v18, v7, v79, v18
	;; [unrolled: 1-line block ×4, first 2 shown]
	ds_read2_b64 v[4:7], v68 offset1:32
	v_lshl_add_u64 v[8:9], s[4:5], 0, v[38:39]
	v_lshl_add_u64 v[40:41], v[8:9], 0, v[36:37]
	s_waitcnt lgkmcnt(0)
	v_pk_fma_f16 v44, v4, v82, v10
	v_pk_fma_f16 v47, v5, v82, v11
	ds_read2_b64 v[8:11], v68 offset0:64 offset1:96
	v_pk_fma_f16 v15, v5, v45, v15
	v_pk_fma_f16 v14, v4, v45, v14
	;; [unrolled: 1-line block ×10, first 2 shown]
	ds_read2_b64 v[12:15], v68 offset0:128 offset1:160
	v_pk_fma_f16 v45, v7, v84, v45
	v_pk_fma_f16 v76, v7, v85, v5
	;; [unrolled: 1-line block ×4, first 2 shown]
	ds_read2_b64 v[4:7], v68 offset0:192 offset1:224
	s_waitcnt lgkmcnt(0)
	s_barrier
	global_load_dwordx4 v[16:19], v[16:17], off
	v_pk_fma_f16 v44, v8, v43, v44
	v_pk_fma_f16 v46, v9, v43, v46
	;; [unrolled: 1-line block ×4, first 2 shown]
	global_load_dwordx4 v[40:43], v[40:41], off
	v_pk_fma_f16 v45, v9, v87, v45
	v_pk_fma_f16 v9, v9, v88, v76
	;; [unrolled: 1-line block ×44, first 2 shown]
	s_waitcnt vmcnt(1)
	ds_write_b128 v62, v[16:19]
	s_waitcnt vmcnt(0)
	ds_write_b128 v63, v[40:43]
	s_waitcnt lgkmcnt(0)
	s_barrier
	ds_read_b128 v[4:7], v61 offset:256
	ds_read_b128 v[8:11], v61 offset:272
	;; [unrolled: 1-line block ×5, first 2 shown]
	s_waitcnt lgkmcnt(4)
	v_mul_u32_u24_sdwa v73, v4, s43 dst_sel:DWORD dst_unused:UNUSED_PAD src0_sel:WORD_0 src1_sel:DWORD
	s_waitcnt lgkmcnt(3)
	v_mul_u32_u24_sdwa v81, v8, s43 dst_sel:DWORD dst_unused:UNUSED_PAD src0_sel:WORD_0 src1_sel:DWORD
	v_mul_u32_u24_sdwa v82, v8, s43 dst_sel:DWORD dst_unused:UNUSED_PAD src0_sel:WORD_1 src1_sel:DWORD
	v_mul_u32_u24_sdwa v83, v9, s43 dst_sel:DWORD dst_unused:UNUSED_PAD src0_sel:WORD_0 src1_sel:DWORD
	v_mul_u32_u24_sdwa v84, v9, s43 dst_sel:DWORD dst_unused:UNUSED_PAD src0_sel:WORD_1 src1_sel:DWORD
	;; [unrolled: 2-line block ×4, first 2 shown]
	ds_read2_b64 v[8:11], v50 offset1:32
	v_mul_u32_u24_sdwa v74, v4, s43 dst_sel:DWORD dst_unused:UNUSED_PAD src0_sel:WORD_1 src1_sel:DWORD
	v_mul_u32_u24_sdwa v75, v5, s43 dst_sel:DWORD dst_unused:UNUSED_PAD src0_sel:WORD_0 src1_sel:DWORD
	v_mul_u32_u24_sdwa v76, v5, s43 dst_sel:DWORD dst_unused:UNUSED_PAD src0_sel:WORD_1 src1_sel:DWORD
	v_mul_u32_u24_sdwa v77, v6, s43 dst_sel:DWORD dst_unused:UNUSED_PAD src0_sel:WORD_0 src1_sel:DWORD
	v_mul_u32_u24_sdwa v78, v6, s43 dst_sel:DWORD dst_unused:UNUSED_PAD src0_sel:WORD_1 src1_sel:DWORD
	v_mul_u32_u24_sdwa v79, v7, s43 dst_sel:DWORD dst_unused:UNUSED_PAD src0_sel:WORD_0 src1_sel:DWORD
	v_mul_u32_u24_sdwa v80, v7, s43 dst_sel:DWORD dst_unused:UNUSED_PAD src0_sel:WORD_1 src1_sel:DWORD
	ds_read_b128 v[4:7], v61 offset:336
	s_waitcnt lgkmcnt(1)
	v_pk_fma_f16 v70, v8, v73, v70
	v_pk_fma_f16 v45, v9, v73, v45
	;; [unrolled: 1-line block ×13, first 2 shown]
	s_waitcnt lgkmcnt(0)
	v_mul_u32_u24_sdwa v71, v4, s43 dst_sel:DWORD dst_unused:UNUSED_PAD src0_sel:WORD_0 src1_sel:DWORD
	v_mul_u32_u24_sdwa v72, v4, s43 dst_sel:DWORD dst_unused:UNUSED_PAD src0_sel:WORD_1 src1_sel:DWORD
	v_mul_u32_u24_sdwa v73, v5, s43 dst_sel:DWORD dst_unused:UNUSED_PAD src0_sel:WORD_0 src1_sel:DWORD
	v_mul_u32_u24_sdwa v74, v5, s43 dst_sel:DWORD dst_unused:UNUSED_PAD src0_sel:WORD_1 src1_sel:DWORD
	;; [unrolled: 2-line block ×4, first 2 shown]
	ds_read2_b64 v[4:7], v50 offset0:64 offset1:96
	v_pk_fma_f16 v47, v11, v79, v47
	v_pk_fma_f16 v8, v10, v80, v8
	;; [unrolled: 1-line block ×3, first 2 shown]
	v_mul_u32_u24_sdwa v89, v12, s43 dst_sel:DWORD dst_unused:UNUSED_PAD src0_sel:WORD_0 src1_sel:DWORD
	s_waitcnt lgkmcnt(0)
	v_pk_fma_f16 v10, v4, v81, v44
	v_pk_fma_f16 v11, v5, v81, v45
	;; [unrolled: 1-line block ×10, first 2 shown]
	ds_read_b128 v[8:11], v61 offset:352
	v_pk_fma_f16 v44, v6, v86, v44
	v_pk_fma_f16 v45, v7, v86, v45
	;; [unrolled: 1-line block ×6, first 2 shown]
	ds_read_b128 v[4:7], v61 offset:368
	s_waitcnt lgkmcnt(1)
	v_mul_u32_u24_sdwa v81, v8, s43 dst_sel:DWORD dst_unused:UNUSED_PAD src0_sel:WORD_0 src1_sel:DWORD
	v_mul_u32_u24_sdwa v82, v8, s43 dst_sel:DWORD dst_unused:UNUSED_PAD src0_sel:WORD_1 src1_sel:DWORD
	v_mul_u32_u24_sdwa v83, v9, s43 dst_sel:DWORD dst_unused:UNUSED_PAD src0_sel:WORD_0 src1_sel:DWORD
	v_mul_u32_u24_sdwa v84, v9, s43 dst_sel:DWORD dst_unused:UNUSED_PAD src0_sel:WORD_1 src1_sel:DWORD
	;; [unrolled: 2-line block ×4, first 2 shown]
	ds_read2_b64 v[8:11], v50 offset0:128 offset1:160
	v_mul_u32_u24_sdwa v12, v12, s43 dst_sel:DWORD dst_unused:UNUSED_PAD src0_sel:WORD_1 src1_sel:DWORD
	v_mul_u32_u24_sdwa v90, v13, s43 dst_sel:DWORD dst_unused:UNUSED_PAD src0_sel:WORD_0 src1_sel:DWORD
	v_mul_u32_u24_sdwa v13, v13, s43 dst_sel:DWORD dst_unused:UNUSED_PAD src0_sel:WORD_1 src1_sel:DWORD
	v_mul_u32_u24_sdwa v91, v14, s43 dst_sel:DWORD dst_unused:UNUSED_PAD src0_sel:WORD_0 src1_sel:DWORD
	v_mul_u32_u24_sdwa v14, v14, s43 dst_sel:DWORD dst_unused:UNUSED_PAD src0_sel:WORD_1 src1_sel:DWORD
	v_mul_u32_u24_sdwa v92, v15, s43 dst_sel:DWORD dst_unused:UNUSED_PAD src0_sel:WORD_0 src1_sel:DWORD
	v_mul_u32_u24_sdwa v15, v15, s43 dst_sel:DWORD dst_unused:UNUSED_PAD src0_sel:WORD_1 src1_sel:DWORD
	s_waitcnt lgkmcnt(0)
	v_pk_fma_f16 v69, v8, v89, v69
	v_pk_fma_f16 v70, v9, v89, v70
	;; [unrolled: 1-line block ×14, first 2 shown]
	v_mul_u32_u24_sdwa v46, v4, s43 dst_sel:DWORD dst_unused:UNUSED_PAD src0_sel:WORD_0 src1_sel:DWORD
	v_pk_fma_f16 v8, v10, v15, v8
	v_pk_fma_f16 v9, v11, v15, v9
	v_mul_u32_u24_sdwa v15, v4, s43 dst_sel:DWORD dst_unused:UNUSED_PAD src0_sel:WORD_1 src1_sel:DWORD
	v_mul_u32_u24_sdwa v69, v5, s43 dst_sel:DWORD dst_unused:UNUSED_PAD src0_sel:WORD_0 src1_sel:DWORD
	v_mul_u32_u24_sdwa v70, v5, s43 dst_sel:DWORD dst_unused:UNUSED_PAD src0_sel:WORD_1 src1_sel:DWORD
	v_mul_u32_u24_sdwa v79, v6, s43 dst_sel:DWORD dst_unused:UNUSED_PAD src0_sel:WORD_0 src1_sel:DWORD
	;; [unrolled: 2-line block ×3, first 2 shown]
	v_mul_u32_u24_sdwa v90, v7, s43 dst_sel:DWORD dst_unused:UNUSED_PAD src0_sel:WORD_1 src1_sel:DWORD
	ds_read2_b64 v[4:7], v50 offset0:192 offset1:224
	v_mul_u32_u24_sdwa v93, v16, s43 dst_sel:DWORD dst_unused:UNUSED_PAD src0_sel:WORD_0 src1_sel:DWORD
	v_mul_u32_u24_sdwa v16, v16, s43 dst_sel:DWORD dst_unused:UNUSED_PAD src0_sel:WORD_1 src1_sel:DWORD
	v_mul_u32_u24_sdwa v94, v17, s43 dst_sel:DWORD dst_unused:UNUSED_PAD src0_sel:WORD_0 src1_sel:DWORD
	v_mul_u32_u24_sdwa v17, v17, s43 dst_sel:DWORD dst_unused:UNUSED_PAD src0_sel:WORD_1 src1_sel:DWORD
	v_mul_u32_u24_sdwa v95, v18, s43 dst_sel:DWORD dst_unused:UNUSED_PAD src0_sel:WORD_0 src1_sel:DWORD
	s_waitcnt lgkmcnt(0)
	v_pk_fma_f16 v10, v4, v93, v13
	v_pk_fma_f16 v11, v5, v93, v47
	;; [unrolled: 1-line block ×10, first 2 shown]
	ds_read_b128 v[8:11], v61 offset:384
	v_mul_u32_u24_sdwa v18, v18, s43 dst_sel:DWORD dst_unused:UNUSED_PAD src0_sel:WORD_1 src1_sel:DWORD
	v_mul_u32_u24_sdwa v96, v19, s43 dst_sel:DWORD dst_unused:UNUSED_PAD src0_sel:WORD_0 src1_sel:DWORD
	v_mul_u32_u24_sdwa v19, v19, s43 dst_sel:DWORD dst_unused:UNUSED_PAD src0_sel:WORD_1 src1_sel:DWORD
	v_pk_fma_f16 v13, v6, v18, v13
	v_pk_fma_f16 v12, v7, v18, v12
	;; [unrolled: 1-line block ×6, first 2 shown]
	ds_read_b128 v[4:7], v61 offset:400
	s_waitcnt lgkmcnt(1)
	v_mul_u32_u24_sdwa v45, v8, s43 dst_sel:DWORD dst_unused:UNUSED_PAD src0_sel:WORD_0 src1_sel:DWORD
	v_mul_u32_u24_sdwa v47, v8, s43 dst_sel:DWORD dst_unused:UNUSED_PAD src0_sel:WORD_1 src1_sel:DWORD
	v_mul_u32_u24_sdwa v91, v9, s43 dst_sel:DWORD dst_unused:UNUSED_PAD src0_sel:WORD_0 src1_sel:DWORD
	v_mul_u32_u24_sdwa v92, v9, s43 dst_sel:DWORD dst_unused:UNUSED_PAD src0_sel:WORD_1 src1_sel:DWORD
	;; [unrolled: 2-line block ×4, first 2 shown]
	ds_read2_b64 v[8:11], v66 offset1:32
	v_mul_u32_u24_sdwa v97, v40, s43 dst_sel:DWORD dst_unused:UNUSED_PAD src0_sel:WORD_0 src1_sel:DWORD
	v_mul_u32_u24_sdwa v40, v40, s43 dst_sel:DWORD dst_unused:UNUSED_PAD src0_sel:WORD_1 src1_sel:DWORD
	v_mul_u32_u24_sdwa v98, v41, s43 dst_sel:DWORD dst_unused:UNUSED_PAD src0_sel:WORD_0 src1_sel:DWORD
	v_mul_u32_u24_sdwa v41, v41, s43 dst_sel:DWORD dst_unused:UNUSED_PAD src0_sel:WORD_1 src1_sel:DWORD
	;; [unrolled: 2-line block ×4, first 2 shown]
	s_waitcnt lgkmcnt(0)
	v_pk_fma_f16 v17, v8, v97, v17
	v_pk_fma_f16 v44, v9, v97, v44
	;; [unrolled: 1-line block ×11, first 2 shown]
	v_mul_u32_u24_sdwa v19, v4, s43 dst_sel:DWORD dst_unused:UNUSED_PAD src0_sel:WORD_0 src1_sel:DWORD
	v_pk_fma_f16 v8, v10, v43, v8
	v_pk_fma_f16 v9, v11, v43, v9
	v_mul_u32_u24_sdwa v40, v4, s43 dst_sel:DWORD dst_unused:UNUSED_PAD src0_sel:WORD_1 src1_sel:DWORD
	v_mul_u32_u24_sdwa v41, v5, s43 dst_sel:DWORD dst_unused:UNUSED_PAD src0_sel:WORD_0 src1_sel:DWORD
	v_mul_u32_u24_sdwa v42, v5, s43 dst_sel:DWORD dst_unused:UNUSED_PAD src0_sel:WORD_1 src1_sel:DWORD
	v_mul_u32_u24_sdwa v43, v6, s43 dst_sel:DWORD dst_unused:UNUSED_PAD src0_sel:WORD_0 src1_sel:DWORD
	;; [unrolled: 2-line block ×3, first 2 shown]
	v_mul_u32_u24_sdwa v98, v7, s43 dst_sel:DWORD dst_unused:UNUSED_PAD src0_sel:WORD_1 src1_sel:DWORD
	ds_read2_b64 v[4:7], v66 offset0:64 offset1:96
	v_pk_fma_f16 v17, v10, v99, v17
	v_pk_fma_f16 v14, v10, v100, v14
	;; [unrolled: 1-line block ×3, first 2 shown]
	s_waitcnt lgkmcnt(0)
	v_pk_fma_f16 v10, v4, v71, v17
	v_pk_fma_f16 v11, v5, v71, v18
	;; [unrolled: 1-line block ×10, first 2 shown]
	ds_read_b128 v[8:11], v61 offset:416
	v_pk_fma_f16 v13, v6, v76, v13
	v_pk_fma_f16 v12, v7, v76, v12
	;; [unrolled: 1-line block ×6, first 2 shown]
	ds_read_b128 v[4:7], v61 offset:432
	s_waitcnt lgkmcnt(1)
	v_mul_u32_u24_sdwa v73, v8, s43 dst_sel:DWORD dst_unused:UNUSED_PAD src0_sel:WORD_0 src1_sel:DWORD
	v_mul_u32_u24_sdwa v74, v8, s43 dst_sel:DWORD dst_unused:UNUSED_PAD src0_sel:WORD_1 src1_sel:DWORD
	v_mul_u32_u24_sdwa v75, v9, s43 dst_sel:DWORD dst_unused:UNUSED_PAD src0_sel:WORD_0 src1_sel:DWORD
	v_mul_u32_u24_sdwa v76, v9, s43 dst_sel:DWORD dst_unused:UNUSED_PAD src0_sel:WORD_1 src1_sel:DWORD
	;; [unrolled: 2-line block ×4, first 2 shown]
	ds_read2_b64 v[8:11], v66 offset0:128 offset1:160
	s_waitcnt lgkmcnt(0)
	v_pk_fma_f16 v17, v8, v81, v17
	v_pk_fma_f16 v18, v9, v81, v18
	;; [unrolled: 1-line block ×12, first 2 shown]
	v_mul_u32_u24_sdwa v71, v4, s43 dst_sel:DWORD dst_unused:UNUSED_PAD src0_sel:WORD_0 src1_sel:DWORD
	v_mul_u32_u24_sdwa v72, v4, s43 dst_sel:DWORD dst_unused:UNUSED_PAD src0_sel:WORD_1 src1_sel:DWORD
	v_mul_u32_u24_sdwa v81, v5, s43 dst_sel:DWORD dst_unused:UNUSED_PAD src0_sel:WORD_0 src1_sel:DWORD
	v_mul_u32_u24_sdwa v82, v5, s43 dst_sel:DWORD dst_unused:UNUSED_PAD src0_sel:WORD_1 src1_sel:DWORD
	;; [unrolled: 2-line block ×4, first 2 shown]
	ds_read2_b64 v[4:7], v66 offset0:192 offset1:224
	v_pk_fma_f16 v14, v10, v87, v14
	v_pk_fma_f16 v16, v11, v87, v16
	;; [unrolled: 1-line block ×4, first 2 shown]
	s_waitcnt lgkmcnt(0)
	v_pk_fma_f16 v10, v4, v46, v17
	v_pk_fma_f16 v11, v5, v46, v18
	;; [unrolled: 1-line block ×10, first 2 shown]
	ds_read_b128 v[8:11], v61 offset:448
	v_pk_fma_f16 v13, v6, v80, v13
	v_pk_fma_f16 v12, v7, v80, v12
	;; [unrolled: 1-line block ×6, first 2 shown]
	ds_read_b128 v[4:7], v61 offset:464
	s_waitcnt lgkmcnt(1)
	v_mul_u32_u24_sdwa v69, v8, s43 dst_sel:DWORD dst_unused:UNUSED_PAD src0_sel:WORD_0 src1_sel:DWORD
	v_mul_u32_u24_sdwa v70, v8, s43 dst_sel:DWORD dst_unused:UNUSED_PAD src0_sel:WORD_1 src1_sel:DWORD
	v_mul_u32_u24_sdwa v79, v9, s43 dst_sel:DWORD dst_unused:UNUSED_PAD src0_sel:WORD_0 src1_sel:DWORD
	v_mul_u32_u24_sdwa v80, v9, s43 dst_sel:DWORD dst_unused:UNUSED_PAD src0_sel:WORD_1 src1_sel:DWORD
	v_mul_u32_u24_sdwa v87, v10, s43 dst_sel:DWORD dst_unused:UNUSED_PAD src0_sel:WORD_0 src1_sel:DWORD
	v_mul_u32_u24_sdwa v88, v10, s43 dst_sel:DWORD dst_unused:UNUSED_PAD src0_sel:WORD_1 src1_sel:DWORD
	v_mul_u32_u24_sdwa v89, v11, s43 dst_sel:DWORD dst_unused:UNUSED_PAD src0_sel:WORD_0 src1_sel:DWORD
	v_mul_u32_u24_sdwa v90, v11, s43 dst_sel:DWORD dst_unused:UNUSED_PAD src0_sel:WORD_1 src1_sel:DWORD
	ds_read2_b64 v[8:11], v67 offset1:32
	s_waitcnt lgkmcnt(0)
	v_pk_fma_f16 v16, v8, v45, v16
	v_pk_fma_f16 v17, v9, v45, v17
	;; [unrolled: 1-line block ×14, first 2 shown]
	v_mul_u32_u24_sdwa v45, v4, s43 dst_sel:DWORD dst_unused:UNUSED_PAD src0_sel:WORD_0 src1_sel:DWORD
	v_mul_u32_u24_sdwa v46, v4, s43 dst_sel:DWORD dst_unused:UNUSED_PAD src0_sel:WORD_1 src1_sel:DWORD
	v_mul_u32_u24_sdwa v47, v5, s43 dst_sel:DWORD dst_unused:UNUSED_PAD src0_sel:WORD_0 src1_sel:DWORD
	v_mul_u32_u24_sdwa v91, v5, s43 dst_sel:DWORD dst_unused:UNUSED_PAD src0_sel:WORD_1 src1_sel:DWORD
	;; [unrolled: 2-line block ×4, first 2 shown]
	ds_read2_b64 v[4:7], v67 offset0:64 offset1:96
	v_pk_fma_f16 v8, v10, v96, v8
	v_pk_fma_f16 v9, v11, v96, v9
	s_waitcnt lgkmcnt(0)
	v_pk_fma_f16 v10, v4, v19, v16
	v_pk_fma_f16 v11, v5, v19, v17
	;; [unrolled: 1-line block ×10, first 2 shown]
	ds_read_b128 v[8:11], v61 offset:480
	v_pk_fma_f16 v13, v6, v44, v13
	v_pk_fma_f16 v12, v7, v44, v12
	;; [unrolled: 1-line block ×6, first 2 shown]
	ds_read_b128 v[4:7], v61 offset:496
	s_waitcnt lgkmcnt(1)
	v_mul_u32_u24_sdwa v40, v8, s43 dst_sel:DWORD dst_unused:UNUSED_PAD src0_sel:WORD_0 src1_sel:DWORD
	v_mul_u32_u24_sdwa v41, v8, s43 dst_sel:DWORD dst_unused:UNUSED_PAD src0_sel:WORD_1 src1_sel:DWORD
	v_mul_u32_u24_sdwa v42, v9, s43 dst_sel:DWORD dst_unused:UNUSED_PAD src0_sel:WORD_0 src1_sel:DWORD
	v_mul_u32_u24_sdwa v43, v9, s43 dst_sel:DWORD dst_unused:UNUSED_PAD src0_sel:WORD_1 src1_sel:DWORD
	;; [unrolled: 2-line block ×4, first 2 shown]
	ds_read2_b64 v[8:11], v67 offset0:128 offset1:160
	s_waitcnt lgkmcnt(0)
	v_pk_fma_f16 v16, v8, v73, v16
	v_pk_fma_f16 v17, v9, v73, v17
	;; [unrolled: 1-line block ×14, first 2 shown]
	v_mul_u32_u24_sdwa v73, v4, s43 dst_sel:DWORD dst_unused:UNUSED_PAD src0_sel:WORD_0 src1_sel:DWORD
	v_pk_fma_f16 v8, v10, v100, v8
	v_pk_fma_f16 v9, v11, v100, v9
	v_mul_u32_u24_sdwa v74, v4, s43 dst_sel:DWORD dst_unused:UNUSED_PAD src0_sel:WORD_1 src1_sel:DWORD
	v_mul_u32_u24_sdwa v75, v5, s43 dst_sel:DWORD dst_unused:UNUSED_PAD src0_sel:WORD_0 src1_sel:DWORD
	v_mul_u32_u24_sdwa v76, v5, s43 dst_sel:DWORD dst_unused:UNUSED_PAD src0_sel:WORD_1 src1_sel:DWORD
	v_mul_u32_u24_sdwa v77, v6, s43 dst_sel:DWORD dst_unused:UNUSED_PAD src0_sel:WORD_0 src1_sel:DWORD
	;; [unrolled: 2-line block ×3, first 2 shown]
	v_mul_u32_u24_sdwa v100, v7, s43 dst_sel:DWORD dst_unused:UNUSED_PAD src0_sel:WORD_1 src1_sel:DWORD
	ds_read2_b64 v[4:7], v67 offset0:192 offset1:224
	s_waitcnt lgkmcnt(0)
	v_pk_fma_f16 v10, v4, v71, v16
	v_pk_fma_f16 v11, v5, v71, v17
	;; [unrolled: 1-line block ×10, first 2 shown]
	ds_read2_b64 v[8:11], v68 offset1:32
	v_pk_fma_f16 v13, v6, v84, v13
	v_pk_fma_f16 v12, v7, v84, v12
	;; [unrolled: 1-line block ×6, first 2 shown]
	ds_read2_b64 v[4:7], v68 offset0:64 offset1:96
	s_waitcnt lgkmcnt(1)
	v_pk_fma_f16 v16, v8, v69, v16
	v_pk_fma_f16 v17, v9, v69, v17
	;; [unrolled: 1-line block ×4, first 2 shown]
	ds_read2_b64 v[12:15], v68 offset0:128 offset1:160
	v_pk_fma_f16 v81, v8, v79, v18
	v_pk_fma_f16 v8, v8, v80, v71
	;; [unrolled: 1-line block ×6, first 2 shown]
	ds_read2_b64 v[16:19], v68 offset0:192 offset1:224
	s_waitcnt lgkmcnt(0)
	s_barrier
	s_load_dword s4, s[18:19], 0x4
	v_pk_fma_f16 v69, v10, v88, v69
	v_pk_fma_f16 v70, v11, v88, v70
	;; [unrolled: 1-line block ×30, first 2 shown]
	s_waitcnt lgkmcnt(0)
	s_lshl_b32 s4, s4, 6
	v_pk_fma_f16 v6, v14, v44, v6
	v_pk_fma_f16 v7, v15, v44, v7
	v_pk_fma_f16 v8, v14, v96, v8
	v_pk_fma_f16 v9, v15, v96, v9
	v_pk_fma_f16 v10, v14, v97, v10
	v_pk_fma_f16 v4, v14, v98, v4
	v_pk_fma_f16 v11, v15, v97, v11
	v_pk_fma_f16 v5, v15, v98, v5
	s_add_i32 s2, s4, s2
	v_pk_fma_f16 v6, v16, v73, v6
	v_pk_fma_f16 v8, v16, v74, v8
	;; [unrolled: 1-line block ×8, first 2 shown]
	s_cmp_ge_i32 s2, s34
	v_pk_fma_f16 v75, v18, v77, v6
	v_pk_fma_f16 v74, v18, v78, v8
	;; [unrolled: 1-line block ×8, first 2 shown]
	s_cbranch_scc0 .LBB5_9
.LBB5_10:
	v_cmp_lt_i32_e32 vcc, v54, v51
	s_cmp_lg_u64 s[20:21], 0
	s_cselect_b64 s[4:5], -1, 0
	v_cndmask_b32_e32 v4, v33, v54, vcc
	v_cmp_lt_i32_e32 vcc, v55, v51
	v_lshlrev_b32_e32 v7, 2, v4
	ds_bpermute_b32 v5, v7, v25
	v_cndmask_b32_e32 v4, v33, v55, vcc
	v_cmp_lt_i32_e32 vcc, v56, v51
	v_lshlrev_b32_e32 v11, 2, v4
	ds_bpermute_b32 v6, v7, v22
	v_cndmask_b32_e32 v4, v33, v56, vcc
	v_lshlrev_b32_e32 v12, 2, v4
	ds_bpermute_b32 v4, v7, v24
	ds_bpermute_b32 v7, v7, v23
	v_cmp_lt_i32_e32 vcc, v53, v51
	s_cmp_eq_u32 s3, 0
	s_cselect_b64 s[6:7], -1, 0
	s_waitcnt lgkmcnt(1)
	v_pk_add_f32 v[4:5], v[24:25], v[4:5]
	s_waitcnt lgkmcnt(0)
	v_pk_add_f32 v[6:7], v[22:23], v[6:7]
	ds_bpermute_b32 v8, v11, v4
	ds_bpermute_b32 v9, v11, v5
	;; [unrolled: 1-line block ×4, first 2 shown]
	v_cndmask_b32_e32 v13, v33, v53, vcc
	v_lshlrev_b32_e32 v13, 2, v13
	s_waitcnt lgkmcnt(2)
	v_pk_add_f32 v[4:5], v[4:5], v[8:9]
	ds_bpermute_b32 v8, v12, v4
	s_waitcnt lgkmcnt(1)
	v_pk_add_f32 v[6:7], v[6:7], v[10:11]
	ds_bpermute_b32 v9, v12, v5
	ds_bpermute_b32 v10, v12, v6
	;; [unrolled: 1-line block ×3, first 2 shown]
	v_cmp_lt_i32_e32 vcc, v52, v51
	s_and_b64 s[4:5], s[6:7], s[4:5]
	s_waitcnt lgkmcnt(2)
	v_pk_add_f32 v[4:5], v[4:5], v[8:9]
	ds_bpermute_b32 v8, v13, v4
	s_waitcnt lgkmcnt(1)
	v_pk_add_f32 v[6:7], v[6:7], v[10:11]
	ds_bpermute_b32 v9, v13, v5
	ds_bpermute_b32 v10, v13, v6
	;; [unrolled: 1-line block ×3, first 2 shown]
	v_cndmask_b32_e32 v12, v33, v52, vcc
	v_lshlrev_b32_e32 v13, 2, v12
	s_waitcnt lgkmcnt(2)
	v_pk_add_f32 v[4:5], v[4:5], v[8:9]
	ds_bpermute_b32 v8, v13, v4
	s_waitcnt lgkmcnt(1)
	v_pk_add_f32 v[10:11], v[6:7], v[10:11]
	ds_bpermute_b32 v9, v13, v5
	ds_bpermute_b32 v12, v13, v10
	;; [unrolled: 1-line block ×3, first 2 shown]
	s_and_b64 vcc, exec, s[4:5]
	s_waitcnt lgkmcnt(2)
	v_pk_add_f32 v[6:7], v[4:5], v[8:9]
	s_waitcnt lgkmcnt(0)
	v_pk_add_f32 v[4:5], v[10:11], v[12:13]
	s_cbranch_vccz .LBB5_12
; %bb.11:
	v_add_u32_e32 v8, s35, v48
	v_ashrrev_i32_e32 v9, 31, v8
	v_lshl_add_u64 v[8:9], v[8:9], 2, s[20:21]
	global_load_dwordx4 v[8:11], v[8:9], off
	v_max_f32_e32 v12, v0, v0
	v_max_f32_e32 v13, v1, v1
	s_mov_b32 s5, 0x3fb8aa3b
	v_max_f32_e32 v14, v2, v2
	s_mov_b32 s2, 0xc2ce8ed0
	s_mov_b32 s4, 0x42b17218
	v_mov_b32_e32 v16, 0x7f800000
	s_waitcnt vmcnt(0)
	v_max_f32_e32 v15, v8, v8
	v_max_f32_e32 v12, v12, v15
	;; [unrolled: 1-line block ×3, first 2 shown]
	v_sub_f32_e32 v0, v0, v12
	v_max_f32_e32 v13, v13, v17
	v_sub_f32_e32 v8, v8, v12
	v_mul_f32_e32 v15, 0x3fb8aa3b, v0
	v_max_f32_e32 v18, v10, v10
	v_sub_f32_e32 v1, v1, v13
	v_mul_f32_e32 v17, 0x3fb8aa3b, v8
	v_fma_f32 v24, v0, s5, -v15
	v_rndne_f32_e32 v25, v15
	v_max_f32_e32 v14, v14, v18
	v_sub_f32_e32 v9, v9, v13
	v_mul_f32_e32 v18, 0x3fb8aa3b, v1
	v_fma_f32 v26, v8, s5, -v17
	v_rndne_f32_e32 v27, v17
	v_fmac_f32_e32 v24, 0x32a5705f, v0
	v_sub_f32_e32 v15, v15, v25
	v_sub_f32_e32 v2, v2, v14
	v_mul_f32_e32 v19, 0x3fb8aa3b, v9
	v_fma_f32 v28, v1, s5, -v18
	v_rndne_f32_e32 v29, v18
	v_fmac_f32_e32 v26, 0x32a5705f, v8
	v_sub_f32_e32 v17, v17, v27
	v_add_f32_e32 v15, v15, v24
	v_mul_f32_e32 v22, 0x3fb8aa3b, v2
	v_fma_f32 v30, v9, s5, -v19
	v_rndne_f32_e32 v31, v19
	v_cvt_i32_f32_e32 v25, v25
	v_fmac_f32_e32 v28, 0x32a5705f, v1
	v_sub_f32_e32 v18, v18, v29
	v_add_f32_e32 v17, v17, v26
	v_exp_f32_e32 v15, v15
	v_fma_f32 v32, v2, s5, -v22
	v_rndne_f32_e32 v33, v22
	v_cvt_i32_f32_e32 v27, v27
	v_fmac_f32_e32 v30, 0x32a5705f, v9
	v_sub_f32_e32 v19, v19, v31
	v_add_f32_e32 v18, v18, v28
	v_exp_f32_e32 v17, v17
	v_cvt_i32_f32_e32 v29, v29
	v_fmac_f32_e32 v32, 0x32a5705f, v2
	v_sub_f32_e32 v22, v22, v33
	v_add_f32_e32 v19, v19, v30
	v_exp_f32_e32 v18, v18
	v_cvt_i32_f32_e32 v31, v31
	v_add_f32_e32 v22, v22, v32
	v_exp_f32_e32 v19, v19
	v_cvt_i32_f32_e32 v33, v33
	v_exp_f32_e32 v22, v22
	v_ldexp_f32 v15, v15, v25
	v_cmp_ngt_f32_e32 vcc, s2, v0
	v_ldexp_f32 v17, v17, v27
	v_ldexp_f32 v18, v18, v29
	v_cndmask_b32_e32 v15, 0, v15, vcc
	v_cmp_ngt_f32_e32 vcc, s2, v8
	v_sub_f32_e32 v10, v10, v14
	v_ldexp_f32 v19, v19, v31
	v_cndmask_b32_e32 v17, 0, v17, vcc
	v_cmp_ngt_f32_e32 vcc, s2, v1
	v_mul_f32_e32 v23, 0x3fb8aa3b, v10
	v_ldexp_f32 v22, v22, v33
	v_cndmask_b32_e32 v18, 0, v18, vcc
	v_cmp_ngt_f32_e32 vcc, s2, v9
	v_fma_f32 v34, v10, s5, -v23
	v_rndne_f32_e32 v35, v23
	v_cndmask_b32_e32 v19, 0, v19, vcc
	v_cmp_ngt_f32_e32 vcc, s2, v2
	v_fmac_f32_e32 v34, 0x32a5705f, v10
	v_sub_f32_e32 v23, v23, v35
	v_cndmask_b32_e32 v22, 0, v22, vcc
	v_cmp_nlt_f32_e32 vcc, s4, v0
	v_add_f32_e32 v23, v23, v34
	v_cvt_i32_f32_e32 v35, v35
	v_cndmask_b32_e32 v0, v16, v15, vcc
	v_cvt_f16_f32_e32 v15, v0
	v_exp_f32_e32 v23, v23
	v_cmp_nlt_f32_e32 vcc, s4, v8
	v_mul_u32_u24_e32 v15, 0x10001, v15
	s_nop 0
	v_cndmask_b32_e32 v8, v16, v17, vcc
	v_cmp_nlt_f32_e32 vcc, s4, v1
	v_pk_mul_f16 v75, v75, v15
	v_pk_mul_f16 v76, v76, v15
	v_cndmask_b32_e32 v1, v16, v18, vcc
	v_cmp_nlt_f32_e32 vcc, s4, v9
	v_ldexp_f32 v15, v23, v35
	v_max_f32_e32 v18, v3, v3
	v_cndmask_b32_e32 v9, v16, v19, vcc
	v_cmp_nlt_f32_e32 vcc, s4, v2
	v_cvt_f16_f32_e32 v17, v1
	v_pk_fma_f32 v[6:7], v[6:7], v[0:1], v[8:9]
	v_cndmask_b32_e32 v2, v16, v22, vcc
	v_cmp_ngt_f32_e32 vcc, s2, v10
	v_mul_u32_u24_e32 v17, 0x10001, v17
	v_pk_mul_f16 v74, v74, v17
	v_cndmask_b32_e32 v15, 0, v15, vcc
	v_cmp_nlt_f32_e32 vcc, s4, v10
	v_pk_mul_f16 v73, v73, v17
	v_cvt_f16_f32_e32 v17, v2
	v_cndmask_b32_e32 v10, v16, v15, vcc
	v_max_f32_e32 v15, v11, v11
	v_max_f32_e32 v15, v18, v15
	v_sub_f32_e32 v3, v3, v15
	v_mul_f32_e32 v18, 0x3fb8aa3b, v3
	v_fma_f32 v19, v3, s5, -v18
	v_rndne_f32_e32 v22, v18
	v_fmac_f32_e32 v19, 0x32a5705f, v3
	v_sub_f32_e32 v18, v18, v22
	v_add_f32_e32 v18, v18, v19
	v_exp_f32_e32 v18, v18
	v_cvt_i32_f32_e32 v19, v22
	v_mul_u32_u24_e32 v17, 0x10001, v17
	v_sub_f32_e32 v11, v11, v15
	v_pk_mul_f16 v72, v72, v17
	v_pk_mul_f16 v71, v71, v17
	v_ldexp_f32 v17, v18, v19
	v_mul_f32_e32 v18, 0x3fb8aa3b, v11
	v_fma_f32 v19, v11, s5, -v18
	v_rndne_f32_e32 v22, v18
	v_fmac_f32_e32 v19, 0x32a5705f, v11
	v_sub_f32_e32 v18, v18, v22
	v_add_f32_e32 v18, v18, v19
	v_exp_f32_e32 v18, v18
	v_cvt_i32_f32_e32 v19, v22
	v_cmp_ngt_f32_e32 vcc, s2, v3
	s_nop 1
	v_cndmask_b32_e32 v17, 0, v17, vcc
	v_cmp_nlt_f32_e32 vcc, s4, v3
	s_nop 1
	v_cndmask_b32_e32 v3, v16, v17, vcc
	v_ldexp_f32 v17, v18, v19
	v_cvt_f16_f32_e32 v18, v3
	v_cmp_ngt_f32_e32 vcc, s2, v11
	s_nop 1
	v_cndmask_b32_e32 v17, 0, v17, vcc
	v_cmp_nlt_f32_e32 vcc, s4, v11
	s_nop 1
	v_cndmask_b32_e32 v11, v16, v17, vcc
	v_mul_u32_u24_e32 v16, 0x10001, v18
	v_pk_fma_f32 v[4:5], v[4:5], v[2:3], v[10:11]
	v_mov_b64_e32 v[0:1], v[12:13]
	v_pk_mul_f16 v70, v70, v16
	v_pk_mul_f16 v69, v69, v16
	v_mov_b64_e32 v[2:3], v[14:15]
.LBB5_12:
	v_cmp_gt_i32_e32 vcc, s30, v21
	s_and_saveexec_b64 s[4:5], vcc
	s_cbranch_execz .LBB5_29
; %bb.13:
	s_load_dword s8, s[0:1], 0xd4
	v_mov_b32_e32 v10, 1.0
	s_waitcnt lgkmcnt(0)
	s_cmp_lg_u32 s8, 1
	s_cselect_b64 s[0:1], -1, 0
	s_cmp_eq_u32 s8, 1
	s_cselect_b64 s[6:7], -1, 0
	s_and_b64 vcc, exec, s[0:1]
	s_cbranch_vccnz .LBB5_15
; %bb.14:
	v_div_scale_f32 v8, s[4:5], v6, v6, 1.0
	v_rcp_f32_e32 v9, v8
	v_div_scale_f32 v10, vcc, 1.0, v6, 1.0
	v_fma_f32 v11, -v8, v9, 1.0
	v_fmac_f32_e32 v9, v11, v9
	v_mul_f32_e32 v11, v10, v9
	v_fma_f32 v12, -v8, v11, v10
	v_fmac_f32_e32 v11, v12, v9
	v_fma_f32 v8, -v8, v11, v10
	v_div_fmas_f32 v8, v8, v9, v11
	v_div_fixup_f32 v10, v8, v6, 1.0
.LBB5_15:
	s_mul_i32 s33, s33, s30
	v_add_u32_e32 v8, s33, v21
	v_mul_lo_u32 v8, v8, s31
	v_add3_u32 v8, s35, v48, v8
	v_cvt_f32_f16_sdwa v15, v75 dst_sel:DWORD dst_unused:UNUSED_PAD src0_sel:WORD_1
	v_cvt_f32_f16_e32 v14, v75
	v_cvt_f32_f16_sdwa v17, v76 dst_sel:DWORD dst_unused:UNUSED_PAD src0_sel:WORD_1
	v_cvt_f32_f16_e32 v16, v76
	v_mul_lo_u32 v8, s8, v8
	v_add_u32_e32 v8, s3, v8
	v_cmp_eq_u32_e32 vcc, 0, v20
	v_lshl_add_u32 v12, v8, 7, v49
	v_mov_b32_e32 v13, 0
	s_and_b64 s[4:5], vcc, s[0:1]
	v_lshl_add_u64 v[18:19], v[12:13], 2, s[24:25]
	v_pk_mul_f32 v[12:13], v[10:11], v[14:15] op_sel_hi:[0,1]
	v_pk_mul_f32 v[14:15], v[10:11], v[16:17] op_sel_hi:[0,1]
	global_store_dwordx4 v[18:19], v[12:15], off
	s_and_saveexec_b64 s[0:1], s[4:5]
	s_cbranch_execz .LBB5_17
; %bb.16:
	v_ashrrev_i32_e32 v9, 31, v8
	v_lshl_add_u64 v[10:11], v[8:9], 3, s[26:27]
	v_mov_b32_e32 v12, v0
	v_mov_b32_e32 v13, v6
	global_store_dwordx2 v[10:11], v[12:13], off
.LBB5_17:
	s_or_b64 exec, exec, s[0:1]
	v_cndmask_b32_e64 v0, 0, 1, s[6:7]
	v_cmp_ne_u32_e64 s[0:1], 1, v0
	s_andn2_b64 vcc, exec, s[6:7]
	v_mov_b32_e32 v0, 1.0
	s_cbranch_vccnz .LBB5_19
; %bb.18:
	v_div_scale_f32 v0, s[2:3], v7, v7, 1.0
	v_rcp_f32_e32 v6, v0
	v_div_scale_f32 v9, vcc, 1.0, v7, 1.0
	v_fma_f32 v10, -v0, v6, 1.0
	v_fmac_f32_e32 v6, v10, v6
	v_mul_f32_e32 v10, v9, v6
	v_fma_f32 v11, -v0, v10, v9
	v_fmac_f32_e32 v10, v11, v6
	v_fma_f32 v0, -v0, v10, v9
	v_div_fmas_f32 v0, v0, v6, v10
	v_div_fixup_f32 v0, v0, v7, 1.0
.LBB5_19:
	v_cvt_f32_f16_sdwa v13, v74 dst_sel:DWORD dst_unused:UNUSED_PAD src0_sel:WORD_1
	v_cvt_f32_f16_e32 v12, v74
	v_cvt_f32_f16_sdwa v15, v73 dst_sel:DWORD dst_unused:UNUSED_PAD src0_sel:WORD_1
	v_cvt_f32_f16_e32 v14, v73
	v_add_u32_e32 v8, s8, v8
	v_lshl_add_u32 v10, v8, 7, v49
	v_mov_b32_e32 v11, 0
	v_lshl_add_u64 v[16:17], v[10:11], 2, s[24:25]
	v_pk_mul_f32 v[10:11], v[0:1], v[12:13] op_sel_hi:[0,1]
	v_pk_mul_f32 v[12:13], v[0:1], v[14:15] op_sel_hi:[0,1]
	global_store_dwordx4 v[16:17], v[10:13], off
	s_and_saveexec_b64 s[2:3], s[4:5]
	s_cbranch_execz .LBB5_21
; %bb.20:
	v_ashrrev_i32_e32 v9, 31, v8
	v_lshl_add_u64 v[10:11], v[8:9], 3, s[26:27]
	v_mov_b32_e32 v6, v1
	global_store_dwordx2 v[10:11], v[6:7], off
.LBB5_21:
	s_or_b64 exec, exec, s[2:3]
	s_and_b64 vcc, exec, s[0:1]
	v_mov_b32_e32 v6, 1.0
	s_cbranch_vccnz .LBB5_23
; %bb.22:
	v_div_scale_f32 v0, s[2:3], v4, v4, 1.0
	v_rcp_f32_e32 v1, v0
	v_div_scale_f32 v6, vcc, 1.0, v4, 1.0
	v_fma_f32 v7, -v0, v1, 1.0
	v_fmac_f32_e32 v1, v7, v1
	v_mul_f32_e32 v7, v6, v1
	v_fma_f32 v9, -v0, v7, v6
	v_fmac_f32_e32 v7, v9, v1
	v_fma_f32 v0, -v0, v7, v6
	v_div_fmas_f32 v0, v0, v1, v7
	v_div_fixup_f32 v6, v0, v4, 1.0
.LBB5_23:
	v_cvt_f32_f16_sdwa v11, v72 dst_sel:DWORD dst_unused:UNUSED_PAD src0_sel:WORD_1
	v_cvt_f32_f16_e32 v10, v72
	v_cvt_f32_f16_sdwa v13, v71 dst_sel:DWORD dst_unused:UNUSED_PAD src0_sel:WORD_1
	v_cvt_f32_f16_e32 v12, v71
	v_add_u32_e32 v0, s8, v8
	v_lshl_add_u32 v8, v0, 7, v49
	v_mov_b32_e32 v9, 0
	v_lshl_add_u64 v[14:15], v[8:9], 2, s[24:25]
	v_pk_mul_f32 v[8:9], v[6:7], v[10:11] op_sel_hi:[0,1]
	v_pk_mul_f32 v[10:11], v[6:7], v[12:13] op_sel_hi:[0,1]
	global_store_dwordx4 v[14:15], v[8:11], off
	s_and_saveexec_b64 s[2:3], s[4:5]
	s_cbranch_execz .LBB5_25
; %bb.24:
	v_ashrrev_i32_e32 v1, 31, v0
	v_lshl_add_u64 v[6:7], v[0:1], 3, s[26:27]
	v_mov_b32_e32 v8, v2
	v_mov_b32_e32 v9, v4
	global_store_dwordx2 v[6:7], v[8:9], off
.LBB5_25:
	s_or_b64 exec, exec, s[2:3]
	s_and_b64 vcc, exec, s[0:1]
	v_mov_b32_e32 v2, 1.0
	s_cbranch_vccnz .LBB5_27
; %bb.26:
	v_div_scale_f32 v1, s[0:1], v5, v5, 1.0
	v_rcp_f32_e32 v2, v1
	v_div_scale_f32 v4, vcc, 1.0, v5, 1.0
	v_fma_f32 v6, -v1, v2, 1.0
	v_fmac_f32_e32 v2, v6, v2
	v_mul_f32_e32 v6, v4, v2
	v_fma_f32 v7, -v1, v6, v4
	v_fmac_f32_e32 v6, v7, v2
	v_fma_f32 v1, -v1, v6, v4
	v_div_fmas_f32 v1, v1, v2, v6
	v_div_fixup_f32 v2, v1, v5, 1.0
.LBB5_27:
	v_cvt_f32_f16_sdwa v9, v70 dst_sel:DWORD dst_unused:UNUSED_PAD src0_sel:WORD_1
	v_cvt_f32_f16_e32 v8, v70
	v_cvt_f32_f16_sdwa v11, v69 dst_sel:DWORD dst_unused:UNUSED_PAD src0_sel:WORD_1
	v_cvt_f32_f16_e32 v10, v69
	v_add_u32_e32 v0, s8, v0
	v_lshl_add_u32 v6, v0, 7, v49
	v_mov_b32_e32 v7, 0
	v_lshl_add_u64 v[12:13], v[6:7], 2, s[24:25]
	v_pk_mul_f32 v[6:7], v[2:3], v[8:9] op_sel_hi:[0,1]
	v_pk_mul_f32 v[8:9], v[2:3], v[10:11] op_sel_hi:[0,1]
	global_store_dwordx4 v[12:13], v[6:9], off
	s_and_b64 exec, exec, s[4:5]
	s_cbranch_execz .LBB5_29
; %bb.28:
	v_ashrrev_i32_e32 v1, 31, v0
	v_lshl_add_u64 v[0:1], v[0:1], 3, s[26:27]
	v_mov_b32_e32 v4, v3
	global_store_dwordx2 v[0:1], v[4:5], off
.LBB5_29:
	s_endpgm
	.section	.rodata,"a",@progbits
	.p2align	6, 0x0
	.amdhsa_kernel _ZL15flash_attn_tileILi128ELi128ELi4ELi8ELb0EEvPKcS1_S1_S1_S1_PKiPfP15HIP_vector_typeIfLj2EEffffjfiS5_IjLj3EEiiiiiiiiiiiliiliiiiil
		.amdhsa_group_segment_fixed_size 21504
		.amdhsa_private_segment_fixed_size 0
		.amdhsa_kernarg_size 464
		.amdhsa_user_sgpr_count 2
		.amdhsa_user_sgpr_dispatch_ptr 0
		.amdhsa_user_sgpr_queue_ptr 0
		.amdhsa_user_sgpr_kernarg_segment_ptr 1
		.amdhsa_user_sgpr_dispatch_id 0
		.amdhsa_user_sgpr_kernarg_preload_length 0
		.amdhsa_user_sgpr_kernarg_preload_offset 0
		.amdhsa_user_sgpr_private_segment_size 0
		.amdhsa_uses_dynamic_stack 0
		.amdhsa_enable_private_segment 0
		.amdhsa_system_sgpr_workgroup_id_x 1
		.amdhsa_system_sgpr_workgroup_id_y 1
		.amdhsa_system_sgpr_workgroup_id_z 1
		.amdhsa_system_sgpr_workgroup_info 0
		.amdhsa_system_vgpr_workitem_id 1
		.amdhsa_next_free_vgpr 115
		.amdhsa_next_free_sgpr 75
		.amdhsa_accum_offset 116
		.amdhsa_reserve_vcc 1
		.amdhsa_float_round_mode_32 0
		.amdhsa_float_round_mode_16_64 0
		.amdhsa_float_denorm_mode_32 3
		.amdhsa_float_denorm_mode_16_64 3
		.amdhsa_dx10_clamp 1
		.amdhsa_ieee_mode 1
		.amdhsa_fp16_overflow 0
		.amdhsa_tg_split 0
		.amdhsa_exception_fp_ieee_invalid_op 0
		.amdhsa_exception_fp_denorm_src 0
		.amdhsa_exception_fp_ieee_div_zero 0
		.amdhsa_exception_fp_ieee_overflow 0
		.amdhsa_exception_fp_ieee_underflow 0
		.amdhsa_exception_fp_ieee_inexact 0
		.amdhsa_exception_int_div_zero 0
	.end_amdhsa_kernel
	.section	.text._ZL15flash_attn_tileILi128ELi128ELi4ELi8ELb0EEvPKcS1_S1_S1_S1_PKiPfP15HIP_vector_typeIfLj2EEffffjfiS5_IjLj3EEiiiiiiiiiiiliiliiiiil,"axG",@progbits,_ZL15flash_attn_tileILi128ELi128ELi4ELi8ELb0EEvPKcS1_S1_S1_S1_PKiPfP15HIP_vector_typeIfLj2EEffffjfiS5_IjLj3EEiiiiiiiiiiiliiliiiiil,comdat
.Lfunc_end5:
	.size	_ZL15flash_attn_tileILi128ELi128ELi4ELi8ELb0EEvPKcS1_S1_S1_S1_PKiPfP15HIP_vector_typeIfLj2EEffffjfiS5_IjLj3EEiiiiiiiiiiiliiliiiiil, .Lfunc_end5-_ZL15flash_attn_tileILi128ELi128ELi4ELi8ELb0EEvPKcS1_S1_S1_S1_PKiPfP15HIP_vector_typeIfLj2EEffffjfiS5_IjLj3EEiiiiiiiiiiiliiliiiiil
                                        ; -- End function
	.set _ZL15flash_attn_tileILi128ELi128ELi4ELi8ELb0EEvPKcS1_S1_S1_S1_PKiPfP15HIP_vector_typeIfLj2EEffffjfiS5_IjLj3EEiiiiiiiiiiiliiliiiiil.num_vgpr, 115
	.set _ZL15flash_attn_tileILi128ELi128ELi4ELi8ELb0EEvPKcS1_S1_S1_S1_PKiPfP15HIP_vector_typeIfLj2EEffffjfiS5_IjLj3EEiiiiiiiiiiiliiliiiiil.num_agpr, 0
	.set _ZL15flash_attn_tileILi128ELi128ELi4ELi8ELb0EEvPKcS1_S1_S1_S1_PKiPfP15HIP_vector_typeIfLj2EEffffjfiS5_IjLj3EEiiiiiiiiiiiliiliiiiil.numbered_sgpr, 44
	.set _ZL15flash_attn_tileILi128ELi128ELi4ELi8ELb0EEvPKcS1_S1_S1_S1_PKiPfP15HIP_vector_typeIfLj2EEffffjfiS5_IjLj3EEiiiiiiiiiiiliiliiiiil.num_named_barrier, 0
	.set _ZL15flash_attn_tileILi128ELi128ELi4ELi8ELb0EEvPKcS1_S1_S1_S1_PKiPfP15HIP_vector_typeIfLj2EEffffjfiS5_IjLj3EEiiiiiiiiiiiliiliiiiil.private_seg_size, 0
	.set _ZL15flash_attn_tileILi128ELi128ELi4ELi8ELb0EEvPKcS1_S1_S1_S1_PKiPfP15HIP_vector_typeIfLj2EEffffjfiS5_IjLj3EEiiiiiiiiiiiliiliiiiil.uses_vcc, 1
	.set _ZL15flash_attn_tileILi128ELi128ELi4ELi8ELb0EEvPKcS1_S1_S1_S1_PKiPfP15HIP_vector_typeIfLj2EEffffjfiS5_IjLj3EEiiiiiiiiiiiliiliiiiil.uses_flat_scratch, 0
	.set _ZL15flash_attn_tileILi128ELi128ELi4ELi8ELb0EEvPKcS1_S1_S1_S1_PKiPfP15HIP_vector_typeIfLj2EEffffjfiS5_IjLj3EEiiiiiiiiiiiliiliiiiil.has_dyn_sized_stack, 0
	.set _ZL15flash_attn_tileILi128ELi128ELi4ELi8ELb0EEvPKcS1_S1_S1_S1_PKiPfP15HIP_vector_typeIfLj2EEffffjfiS5_IjLj3EEiiiiiiiiiiiliiliiiiil.has_recursion, 0
	.set _ZL15flash_attn_tileILi128ELi128ELi4ELi8ELb0EEvPKcS1_S1_S1_S1_PKiPfP15HIP_vector_typeIfLj2EEffffjfiS5_IjLj3EEiiiiiiiiiiiliiliiiiil.has_indirect_call, 0
	.section	.AMDGPU.csdata,"",@progbits
; Kernel info:
; codeLenInByte = 24048
; TotalNumSgprs: 50
; NumVgprs: 115
; NumAgprs: 0
; TotalNumVgprs: 115
; ScratchSize: 0
; MemoryBound: 0
; FloatMode: 240
; IeeeMode: 1
; LDSByteSize: 21504 bytes/workgroup (compile time only)
; SGPRBlocks: 10
; VGPRBlocks: 14
; NumSGPRsForWavesPerEU: 81
; NumVGPRsForWavesPerEU: 115
; AccumOffset: 116
; Occupancy: 4
; WaveLimiterHint : 1
; COMPUTE_PGM_RSRC2:SCRATCH_EN: 0
; COMPUTE_PGM_RSRC2:USER_SGPR: 2
; COMPUTE_PGM_RSRC2:TRAP_HANDLER: 0
; COMPUTE_PGM_RSRC2:TGID_X_EN: 1
; COMPUTE_PGM_RSRC2:TGID_Y_EN: 1
; COMPUTE_PGM_RSRC2:TGID_Z_EN: 1
; COMPUTE_PGM_RSRC2:TIDIG_COMP_CNT: 1
; COMPUTE_PGM_RSRC3_GFX90A:ACCUM_OFFSET: 28
; COMPUTE_PGM_RSRC3_GFX90A:TG_SPLIT: 0
	.section	.text._ZL25flash_attn_mask_to_KV_maxILi4EEvPK7__half2Piiii,"axG",@progbits,_ZL25flash_attn_mask_to_KV_maxILi4EEvPK7__half2Piiii,comdat
	.globl	_ZL25flash_attn_mask_to_KV_maxILi4EEvPK7__half2Piiii ; -- Begin function _ZL25flash_attn_mask_to_KV_maxILi4EEvPK7__half2Piiii
	.p2align	8
	.type	_ZL25flash_attn_mask_to_KV_maxILi4EEvPK7__half2Piiii,@function
_ZL25flash_attn_mask_to_KV_maxILi4EEvPK7__half2Piiii: ; @_ZL25flash_attn_mask_to_KV_maxILi4EEvPK7__half2Piiii
; %bb.0:
	s_load_dwordx4 s[4:7], s[0:1], 0x0
	v_cmp_gt_u32_e32 vcc, 32, v0
	s_and_saveexec_b64 s[8:9], vcc
; %bb.1:
	v_lshlrev_b32_e32 v1, 2, v0
	v_mov_b32_e32 v2, 1
	ds_write_b32 v1, v2
; %bb.2:
	s_or_b64 exec, exec, s[8:9]
	s_load_dwordx4 s[8:11], s[0:1], 0x10
	s_load_dword s24, s[0:1], 0x20
	v_and_b32_e32 v2, 31, v0
	v_lshlrev_b32_e32 v6, 2, v2
	v_lshrrev_b32_e32 v1, 3, v0
	s_waitcnt lgkmcnt(0)
	s_mul_i32 s1, s2, s9
	s_mul_i32 s0, s10, s3
	s_lshl_b32 s1, s1, 2
	s_add_i32 s0, s0, s1
	s_ashr_i32 s1, s0, 31
	s_lshl_b64 s[0:1], s[0:1], 2
	s_add_u32 s10, s4, s0
	s_addc_u32 s11, s5, s1
	v_cmp_eq_u32_e64 s[0:1], 0, v2
	v_mbcnt_lo_u32_b32 v2, -1, 0
	v_mbcnt_hi_u32_b32 v7, -1, v2
	v_and_b32_e32 v2, 0x60, v7
	s_lshl_b32 s8, s8, 8
	s_mov_b64 s[12:13], 0
	v_mov_b32_e32 v3, 0
	s_movk_i32 s25, 0x204
	v_add_u32_e32 v8, 32, v2
	v_xor_b32_e32 v9, 16, v7
	v_xor_b32_e32 v10, 8, v7
	;; [unrolled: 1-line block ×5, first 2 shown]
	s_barrier
                                        ; implicit-def: $sgpr4_sgpr5
	s_branch .LBB6_5
.LBB6_3:                                ;   in Loop: Header=BB6_5 Depth=1
	s_or_b64 exec, exec, s[14:15]
	s_waitcnt lgkmcnt(0)
	s_barrier
	ds_read_b32 v16, v6
	s_waitcnt lgkmcnt(0)
	s_barrier
	ds_bpermute_b32 v2, v2, v16
	v_cmp_ne_u32_e32 vcc, 0, v16
	s_waitcnt lgkmcnt(0)
	v_cmp_ne_u32_e64 s[4:5], 0, v2
	s_and_b64 s[4:5], vcc, s[4:5]
	s_nop 0
	v_cndmask_b32_e64 v2, 0, 1, s[4:5]
	ds_bpermute_b32 v2, v4, v2
	s_waitcnt lgkmcnt(0)
	v_cmp_ne_u32_e32 vcc, 0, v2
	s_and_b64 s[4:5], vcc, s[4:5]
	v_cndmask_b32_e64 v2, 0, 1, s[4:5]
	ds_bpermute_b32 v2, v5, v2
	s_waitcnt lgkmcnt(0)
	v_cmp_ne_u32_e32 vcc, 0, v2
	s_and_b64 s[4:5], vcc, s[4:5]
	;; [unrolled: 5-line block ×3, first 2 shown]
	v_cndmask_b32_e64 v2, 0, 1, s[4:5]
	ds_bpermute_b32 v2, v15, v2
	s_xor_b64 s[4:5], s[4:5], -1
	s_waitcnt lgkmcnt(0)
	v_cmp_eq_u32_e32 vcc, 0, v2
	s_or_b64 s[4:5], vcc, s[4:5]
.LBB6_4:                                ;   in Loop: Header=BB6_5 Depth=1
	s_and_b64 s[14:15], exec, s[4:5]
	s_or_b64 s[12:13], s[14:15], s[12:13]
	v_mov_b32_e32 v2, s8
	s_mov_b32 s8, s26
	s_andn2_b64 exec, exec, s[12:13]
	s_cbranch_execz .LBB6_20
.LBB6_5:                                ; =>This Inner Loop Header: Depth=1
	s_add_i32 s26, s8, 0xffffff00
	s_or_b64 s[4:5], s[4:5], exec
	s_cmp_lt_i32 s26, 0
	s_cbranch_scc1 .LBB6_4
; %bb.6:                                ;   in Loop: Header=BB6_5 Depth=1
	s_lshr_b32 s4, s26, 1
	v_add_u32_e32 v2, s4, v0
	v_lshl_add_u64 v[4:5], v[2:3], 2, s[10:11]
	global_load_dword v4, v[4:5], off
	v_mov_b32_e32 v5, 0
	s_waitcnt vmcnt(0)
	v_cmp_class_f16_e64 s[4:5], v4, s25
	v_cmp_class_f16_sdwa s[14:15], v4, s25 src0_sel:WORD_1 src1_sel:DWORD
	s_and_b64 s[14:15], s[4:5], s[14:15]
	s_and_saveexec_b64 s[4:5], s[14:15]
	s_cbranch_execz .LBB6_18
; %bb.7:                                ;   in Loop: Header=BB6_5 Depth=1
	v_add_u32_e32 v4, s9, v2
	v_ashrrev_i32_e32 v5, 31, v4
	v_lshl_add_u64 v[14:15], v[4:5], 2, s[10:11]
	global_load_dword v2, v[14:15], off
	v_mov_b32_e32 v5, 0
	s_waitcnt vmcnt(0)
	v_cmp_class_f16_e64 s[16:17], v2, s25
	s_and_saveexec_b64 s[14:15], s[16:17]
	s_cbranch_execz .LBB6_17
; %bb.8:                                ;   in Loop: Header=BB6_5 Depth=1
	v_cmp_class_f16_sdwa s[18:19], v2, s25 src0_sel:WORD_1 src1_sel:DWORD
	v_mov_b32_e32 v5, 0
	s_and_saveexec_b64 s[16:17], s[18:19]
	s_cbranch_execz .LBB6_16
; %bb.9:                                ;   in Loop: Header=BB6_5 Depth=1
	v_add_u32_e32 v4, s9, v4
	v_ashrrev_i32_e32 v5, 31, v4
	v_lshl_add_u64 v[14:15], v[4:5], 2, s[10:11]
	global_load_dword v2, v[14:15], off
	v_mov_b32_e32 v5, 0
	s_waitcnt vmcnt(0)
	v_cmp_class_f16_e64 s[20:21], v2, s25
	s_and_saveexec_b64 s[18:19], s[20:21]
	s_cbranch_execz .LBB6_15
; %bb.10:                               ;   in Loop: Header=BB6_5 Depth=1
	v_cmp_class_f16_sdwa s[22:23], v2, s25 src0_sel:WORD_1 src1_sel:DWORD
	v_mov_b32_e32 v5, 0
	s_and_saveexec_b64 s[20:21], s[22:23]
	s_cbranch_execz .LBB6_14
; %bb.11:                               ;   in Loop: Header=BB6_5 Depth=1
	v_add_u32_e32 v4, s9, v4
	v_ashrrev_i32_e32 v5, 31, v4
	v_lshl_add_u64 v[4:5], v[4:5], 2, s[10:11]
	global_load_dword v2, v[4:5], off
	v_mov_b32_e32 v5, 0
	s_waitcnt vmcnt(0)
	v_cmp_class_f16_e64 s[28:29], v2, s25
	s_and_saveexec_b64 s[22:23], s[28:29]
; %bb.12:                               ;   in Loop: Header=BB6_5 Depth=1
	v_cmp_class_f16_sdwa s[28:29], v2, s25 src0_sel:WORD_1 src1_sel:DWORD
	s_nop 1
	v_cndmask_b32_e64 v5, 0, 1, s[28:29]
; %bb.13:                               ;   in Loop: Header=BB6_5 Depth=1
	s_or_b64 exec, exec, s[22:23]
.LBB6_14:                               ;   in Loop: Header=BB6_5 Depth=1
	s_or_b64 exec, exec, s[20:21]
.LBB6_15:                               ;   in Loop: Header=BB6_5 Depth=1
	s_or_b64 exec, exec, s[18:19]
.LBB6_16:                               ;   in Loop: Header=BB6_5 Depth=1
	s_or_b64 exec, exec, s[16:17]
.LBB6_17:                               ;   in Loop: Header=BB6_5 Depth=1
	s_or_b64 exec, exec, s[14:15]
.LBB6_18:                               ;   in Loop: Header=BB6_5 Depth=1
	s_or_b64 exec, exec, s[4:5]
	v_cmp_lt_i32_e32 vcc, v9, v8
	s_nop 1
	v_cndmask_b32_e32 v2, v7, v9, vcc
	v_lshlrev_b32_e32 v2, 2, v2
	ds_bpermute_b32 v4, v2, v5
	v_cmp_ne_u32_e32 vcc, 0, v5
	s_waitcnt lgkmcnt(0)
	v_cmp_ne_u32_e64 s[4:5], 0, v4
	s_and_b64 s[4:5], vcc, s[4:5]
	v_cmp_lt_i32_e32 vcc, v10, v8
	v_cndmask_b32_e64 v5, 0, 1, s[4:5]
	s_nop 0
	v_cndmask_b32_e32 v4, v7, v10, vcc
	v_lshlrev_b32_e32 v4, 2, v4
	ds_bpermute_b32 v5, v4, v5
	s_waitcnt lgkmcnt(0)
	v_cmp_ne_u32_e32 vcc, 0, v5
	s_and_b64 s[4:5], vcc, s[4:5]
	v_cmp_lt_i32_e32 vcc, v11, v8
	v_cndmask_b32_e64 v14, 0, 1, s[4:5]
	s_nop 0
	v_cndmask_b32_e32 v5, v7, v11, vcc
	v_lshlrev_b32_e32 v5, 2, v5
	ds_bpermute_b32 v14, v5, v14
	s_waitcnt lgkmcnt(0)
	v_cmp_ne_u32_e32 vcc, 0, v14
	;; [unrolled: 9-line block ×3, first 2 shown]
	s_and_b64 s[4:5], vcc, s[4:5]
	v_cmp_lt_i32_e32 vcc, v13, v8
	v_cndmask_b32_e64 v16, 0, 1, s[4:5]
	s_nop 0
	v_cndmask_b32_e32 v15, v7, v13, vcc
	v_lshlrev_b32_e32 v15, 2, v15
	ds_bpermute_b32 v16, v15, v16
	s_and_saveexec_b64 s[14:15], s[0:1]
	s_cbranch_execz .LBB6_3
; %bb.19:                               ;   in Loop: Header=BB6_5 Depth=1
	s_waitcnt lgkmcnt(0)
	v_cmp_ne_u32_e32 vcc, 0, v16
	s_and_b64 s[4:5], vcc, s[4:5]
	v_cndmask_b32_e64 v16, 0, 1, s[4:5]
	ds_write_b32 v1, v16
	s_branch .LBB6_3
.LBB6_20:
	s_or_b64 exec, exec, s[12:13]
	v_cmp_eq_u32_e32 vcc, 0, v0
	s_and_saveexec_b64 s[0:1], vcc
	s_cbranch_execz .LBB6_22
; %bb.21:
	s_mul_i32 s0, s24, s3
	s_add_i32 s0, s0, s2
	s_ashr_i32 s1, s0, 31
	s_lshl_b64 s[0:1], s[0:1], 2
	s_add_u32 s0, s6, s0
	s_addc_u32 s1, s7, s1
	v_mov_b32_e32 v0, 0
	global_store_dword v0, v2, s[0:1]
.LBB6_22:
	s_endpgm
	.section	.rodata,"a",@progbits
	.p2align	6, 0x0
	.amdhsa_kernel _ZL25flash_attn_mask_to_KV_maxILi4EEvPK7__half2Piiii
		.amdhsa_group_segment_fixed_size 128
		.amdhsa_private_segment_fixed_size 0
		.amdhsa_kernarg_size 288
		.amdhsa_user_sgpr_count 2
		.amdhsa_user_sgpr_dispatch_ptr 0
		.amdhsa_user_sgpr_queue_ptr 0
		.amdhsa_user_sgpr_kernarg_segment_ptr 1
		.amdhsa_user_sgpr_dispatch_id 0
		.amdhsa_user_sgpr_kernarg_preload_length 0
		.amdhsa_user_sgpr_kernarg_preload_offset 0
		.amdhsa_user_sgpr_private_segment_size 0
		.amdhsa_uses_dynamic_stack 0
		.amdhsa_enable_private_segment 0
		.amdhsa_system_sgpr_workgroup_id_x 1
		.amdhsa_system_sgpr_workgroup_id_y 1
		.amdhsa_system_sgpr_workgroup_id_z 0
		.amdhsa_system_sgpr_workgroup_info 0
		.amdhsa_system_vgpr_workitem_id 0
		.amdhsa_next_free_vgpr 17
		.amdhsa_next_free_sgpr 30
		.amdhsa_accum_offset 20
		.amdhsa_reserve_vcc 1
		.amdhsa_float_round_mode_32 0
		.amdhsa_float_round_mode_16_64 0
		.amdhsa_float_denorm_mode_32 3
		.amdhsa_float_denorm_mode_16_64 3
		.amdhsa_dx10_clamp 1
		.amdhsa_ieee_mode 1
		.amdhsa_fp16_overflow 0
		.amdhsa_tg_split 0
		.amdhsa_exception_fp_ieee_invalid_op 0
		.amdhsa_exception_fp_denorm_src 0
		.amdhsa_exception_fp_ieee_div_zero 0
		.amdhsa_exception_fp_ieee_overflow 0
		.amdhsa_exception_fp_ieee_underflow 0
		.amdhsa_exception_fp_ieee_inexact 0
		.amdhsa_exception_int_div_zero 0
	.end_amdhsa_kernel
	.section	.text._ZL25flash_attn_mask_to_KV_maxILi4EEvPK7__half2Piiii,"axG",@progbits,_ZL25flash_attn_mask_to_KV_maxILi4EEvPK7__half2Piiii,comdat
.Lfunc_end6:
	.size	_ZL25flash_attn_mask_to_KV_maxILi4EEvPK7__half2Piiii, .Lfunc_end6-_ZL25flash_attn_mask_to_KV_maxILi4EEvPK7__half2Piiii
                                        ; -- End function
	.set _ZL25flash_attn_mask_to_KV_maxILi4EEvPK7__half2Piiii.num_vgpr, 17
	.set _ZL25flash_attn_mask_to_KV_maxILi4EEvPK7__half2Piiii.num_agpr, 0
	.set _ZL25flash_attn_mask_to_KV_maxILi4EEvPK7__half2Piiii.numbered_sgpr, 30
	.set _ZL25flash_attn_mask_to_KV_maxILi4EEvPK7__half2Piiii.num_named_barrier, 0
	.set _ZL25flash_attn_mask_to_KV_maxILi4EEvPK7__half2Piiii.private_seg_size, 0
	.set _ZL25flash_attn_mask_to_KV_maxILi4EEvPK7__half2Piiii.uses_vcc, 1
	.set _ZL25flash_attn_mask_to_KV_maxILi4EEvPK7__half2Piiii.uses_flat_scratch, 0
	.set _ZL25flash_attn_mask_to_KV_maxILi4EEvPK7__half2Piiii.has_dyn_sized_stack, 0
	.set _ZL25flash_attn_mask_to_KV_maxILi4EEvPK7__half2Piiii.has_recursion, 0
	.set _ZL25flash_attn_mask_to_KV_maxILi4EEvPK7__half2Piiii.has_indirect_call, 0
	.section	.AMDGPU.csdata,"",@progbits
; Kernel info:
; codeLenInByte = 988
; TotalNumSgprs: 36
; NumVgprs: 17
; NumAgprs: 0
; TotalNumVgprs: 17
; ScratchSize: 0
; MemoryBound: 0
; FloatMode: 240
; IeeeMode: 1
; LDSByteSize: 128 bytes/workgroup (compile time only)
; SGPRBlocks: 4
; VGPRBlocks: 2
; NumSGPRsForWavesPerEU: 36
; NumVGPRsForWavesPerEU: 17
; AccumOffset: 20
; Occupancy: 8
; WaveLimiterHint : 0
; COMPUTE_PGM_RSRC2:SCRATCH_EN: 0
; COMPUTE_PGM_RSRC2:USER_SGPR: 2
; COMPUTE_PGM_RSRC2:TRAP_HANDLER: 0
; COMPUTE_PGM_RSRC2:TGID_X_EN: 1
; COMPUTE_PGM_RSRC2:TGID_Y_EN: 1
; COMPUTE_PGM_RSRC2:TGID_Z_EN: 0
; COMPUTE_PGM_RSRC2:TIDIG_COMP_CNT: 0
; COMPUTE_PGM_RSRC3_GFX90A:ACCUM_OFFSET: 4
; COMPUTE_PGM_RSRC3_GFX90A:TG_SPLIT: 0
	.section	.text._ZL33flash_attn_stream_k_fixup_uniformILi128ELi4ELi8EEvPfPK15HIP_vector_typeIfLj2EEiiiiiiS1_IjLj3EES5_S5_,"axG",@progbits,_ZL33flash_attn_stream_k_fixup_uniformILi128ELi4ELi8EEvPfPK15HIP_vector_typeIfLj2EEiiiiiiS1_IjLj3EES5_S5_,comdat
	.globl	_ZL33flash_attn_stream_k_fixup_uniformILi128ELi4ELi8EEvPfPK15HIP_vector_typeIfLj2EEiiiiiiS1_IjLj3EES5_S5_ ; -- Begin function _ZL33flash_attn_stream_k_fixup_uniformILi128ELi4ELi8EEvPfPK15HIP_vector_typeIfLj2EEiiiiiiS1_IjLj3EES5_S5_
	.p2align	8
	.type	_ZL33flash_attn_stream_k_fixup_uniformILi128ELi4ELi8EEvPfPK15HIP_vector_typeIfLj2EEiiiiiiS1_IjLj3EES5_S5_,@function
_ZL33flash_attn_stream_k_fixup_uniformILi128ELi4ELi8EEvPfPK15HIP_vector_typeIfLj2EEiiiiiiS1_IjLj3EES5_S5_: ; @_ZL33flash_attn_stream_k_fixup_uniformILi128ELi4ELi8EEvPfPK15HIP_vector_typeIfLj2EEiiiiiiS1_IjLj3EES5_S5_
; %bb.0:
	s_load_dwordx8 s[8:15], s[0:1], 0x1c
	s_load_dwordx2 s[6:7], s[0:1], 0x10
	s_load_dwordx4 s[20:23], s[0:1], 0x3c
	s_waitcnt lgkmcnt(0)
	s_mul_hi_u32 s5, s11, s2
	s_add_i32 s5, s2, s5
	s_lshr_b32 s5, s5, s12
	s_mul_i32 s11, s5, s13
	s_sub_i32 s11, s2, s11
	s_mul_hi_u32 s12, s11, s14
	s_add_i32 s12, s11, s12
	s_lshr_b32 s16, s12, s15
	s_mul_i32 s12, s16, s20
	s_sub_i32 s11, s11, s12
	;; [unrolled: 5-line block ×3, first 2 shown]
	s_lshl_b32 s11, s12, 3
	s_lshl_b32 s12, s17, 2
	s_add_i32 s12, s12, s3
	s_cmp_lt_i32 s12, s6
	s_cselect_b64 s[12:13], -1, 0
	s_add_i32 s14, s11, s4
	s_cmp_lt_i32 s14, s9
	s_cselect_b64 s[14:15], -1, 0
	s_and_b64 s[12:13], s[12:13], s[14:15]
	s_andn2_b64 vcc, exec, s[12:13]
	s_cbranch_vccnz .LBB7_6
; %bb.1:
	s_load_dwordx4 s[12:15], s[0:1], 0x0
	s_mul_i32 s0, s5, s6
	s_add_i32 s0, s0, s3
	s_mul_i32 s0, s0, s7
	s_mul_i32 s16, s16, s9
	s_add_i32 s0, s0, s4
	s_add_i32 s0, s0, s16
	s_mul_i32 s1, s7, s17
	s_add_i32 s0, s0, s11
	s_lshl_b32 s1, s1, 9
	s_lshl_b32 s0, s0, 7
	s_add_i32 s1, s1, s0
	v_or_b32_e32 v4, s1, v0
	s_waitcnt lgkmcnt(0)
	v_mov_b32_e32 v2, s12
	v_mov_b32_e32 v3, s13
	v_ashrrev_i32_e32 v5, 31, v4
	v_lshl_add_u64 v[2:3], v[4:5], 2, v[2:3]
	global_load_dword v5, v[2:3], off
	s_mul_i32 s5, s10, s2
	s_lshl_b32 s11, s3, 3
	s_add_i32 s9, s5, s10
	s_add_i32 s0, s11, s4
	s_lshl_b32 s1, s9, 5
	s_add_i32 s0, s0, s1
	s_sub_i32 s0, s0, 32
	s_ashr_i32 s1, s0, 31
	s_lshl_b64 s[0:1], s[0:1], 3
	s_add_u32 s0, s14, s0
	s_addc_u32 s1, s15, s1
	s_load_dword s12, s[0:1], 0x4
	s_add_i32 s6, s9, -2
	s_cmp_lt_i32 s6, s5
	s_cbranch_scc1 .LBB7_4
; %bb.2:
	s_lshl_b32 s6, s8, 7
	s_ashr_i32 s7, s6, 31
	s_lshl_b64 s[6:7], s[6:7], 2
	s_add_u32 s6, s14, s6
	s_addc_u32 s7, s15, s7
	s_add_i32 s2, s2, 1
	s_load_dword s0, s[0:1], 0x0
	s_mul_i32 s1, s10, s2
	s_lshl_b32 s3, s3, 10
	s_lshl_b32 s10, s4, 7
	s_lshl_b32 s2, s1, 12
	s_add_i32 s3, s10, s3
	s_lshl_b32 s1, s1, 5
	s_add_i32 s3, s3, s2
	s_add_i32 s1, s4, s1
	s_lshl_b32 s2, s8, 5
	s_add_i32 s1, s1, s2
	v_or_b32_e32 v0, s3, v0
	s_add_i32 s1, s1, s11
	s_add_i32 s9, s9, -1
	v_add_u32_e32 v0, 0xffffe000, v0
	s_sub_i32 s2, s1, 64
	s_waitcnt lgkmcnt(0)
	v_mov_b32_e32 v7, s0
	v_mov_b32_e32 v4, s12
	s_mov_b32 s4, 0x3fb8aa3b
	s_mov_b32 s8, 0xc2ce8ed0
	;; [unrolled: 1-line block ×3, first 2 shown]
	v_mov_b32_e32 v6, 0x7f800000
	s_mov_b32 s11, 0xc1a00000
.LBB7_3:                                ; =>This Inner Loop Header: Depth=1
	v_ashrrev_i32_e32 v1, 31, v0
	v_lshl_add_u64 v[8:9], v[0:1], 2, s[6:7]
	global_load_dword v9, v[8:9], off
	s_ashr_i32 s3, s2, 31
	s_lshl_b64 s[0:1], s[2:3], 3
	s_add_u32 s0, s14, s0
	s_addc_u32 s1, s15, s1
	s_load_dwordx2 s[0:1], s[0:1], 0x0
	v_max_f32_e32 v1, v7, v7
	s_add_i32 s9, s9, -1
	s_sub_i32 s2, s2, 32
	v_add_u32_e32 v0, 0xfffff000, v0
	s_waitcnt lgkmcnt(0)
	v_max_f32_e64 v10, s0, s0
	v_max_f32_e32 v1, v1, v10
	v_sub_f32_e32 v11, s0, v1
	v_sub_f32_e32 v10, v7, v1
	v_mul_f32_e32 v12, 0x3fb8aa3b, v11
	v_mov_b32_e32 v7, v1
	v_mul_f32_e32 v1, 0x3fb8aa3b, v10
	v_fma_f32 v15, v11, s4, -v12
	v_rndne_f32_e32 v16, v12
	v_fma_f32 v13, v10, s4, -v1
	v_rndne_f32_e32 v14, v1
	v_fmac_f32_e32 v15, 0x32a5705f, v11
	v_sub_f32_e32 v12, v12, v16
	v_fmac_f32_e32 v13, 0x32a5705f, v10
	v_sub_f32_e32 v1, v1, v14
	v_add_f32_e32 v12, v12, v15
	v_cvt_i32_f32_e32 v16, v16
	v_add_f32_e32 v1, v1, v13
	v_exp_f32_e32 v12, v12
	v_cvt_i32_f32_e32 v14, v14
	v_exp_f32_e32 v1, v1
	v_cmp_ngt_f32_e32 vcc, s8, v11
	v_ldexp_f32 v12, v12, v16
	v_mov_b32_e32 v8, s1
	v_ldexp_f32 v1, v1, v14
	v_cmp_ngt_f32_e64 s[0:1], s8, v10
	v_cndmask_b32_e32 v12, 0, v12, vcc
	v_cmp_nlt_f32_e32 vcc, s10, v11
	v_cndmask_b32_e64 v1, 0, v1, s[0:1]
	v_cmp_nlt_f32_e64 s[0:1], s10, v10
	v_cndmask_b32_e32 v12, v6, v12, vcc
	v_cmp_le_f32_e32 vcc, s11, v11
	v_cndmask_b32_e64 v1, v6, v1, s[0:1]
	v_cmp_le_f32_e64 s[0:1], s11, v10
	v_cndmask_b32_e32 v12, 0, v12, vcc
	s_cmp_le_i32 s9, s5
	v_cndmask_b32_e64 v10, 0, v1, s[0:1]
	s_waitcnt vmcnt(0)
	v_pk_mul_f32 v[8:9], v[8:9], v[12:13] op_sel_hi:[1,0]
	s_nop 0
	v_pk_fma_f32 v[4:5], v[4:5], v[10:11], v[8:9] op_sel_hi:[1,0,1]
	s_cbranch_scc0 .LBB7_3
	s_branch .LBB7_5
.LBB7_4:
	s_waitcnt lgkmcnt(0)
	v_mov_b32_e32 v4, s12
.LBB7_5:
	s_waitcnt vmcnt(0)
	v_div_scale_f32 v0, s[0:1], v4, v4, v5
	v_rcp_f32_e32 v1, v0
	v_div_scale_f32 v6, vcc, v5, v4, v5
	v_fma_f32 v7, -v0, v1, 1.0
	v_fmac_f32_e32 v1, v7, v1
	v_mul_f32_e32 v7, v6, v1
	v_fma_f32 v8, -v0, v7, v6
	v_fmac_f32_e32 v7, v8, v1
	v_fma_f32 v0, -v0, v7, v6
	v_div_fmas_f32 v0, v0, v1, v7
	v_div_fixup_f32 v0, v0, v4, v5
	global_store_dword v[2:3], v0, off
.LBB7_6:
	s_endpgm
	.section	.rodata,"a",@progbits
	.p2align	6, 0x0
	.amdhsa_kernel _ZL33flash_attn_stream_k_fixup_uniformILi128ELi4ELi8EEvPfPK15HIP_vector_typeIfLj2EEiiiiiiS1_IjLj3EES5_S5_
		.amdhsa_group_segment_fixed_size 0
		.amdhsa_private_segment_fixed_size 0
		.amdhsa_kernarg_size 76
		.amdhsa_user_sgpr_count 2
		.amdhsa_user_sgpr_dispatch_ptr 0
		.amdhsa_user_sgpr_queue_ptr 0
		.amdhsa_user_sgpr_kernarg_segment_ptr 1
		.amdhsa_user_sgpr_dispatch_id 0
		.amdhsa_user_sgpr_kernarg_preload_length 0
		.amdhsa_user_sgpr_kernarg_preload_offset 0
		.amdhsa_user_sgpr_private_segment_size 0
		.amdhsa_uses_dynamic_stack 0
		.amdhsa_enable_private_segment 0
		.amdhsa_system_sgpr_workgroup_id_x 1
		.amdhsa_system_sgpr_workgroup_id_y 1
		.amdhsa_system_sgpr_workgroup_id_z 1
		.amdhsa_system_sgpr_workgroup_info 0
		.amdhsa_system_vgpr_workitem_id 0
		.amdhsa_next_free_vgpr 17
		.amdhsa_next_free_sgpr 24
		.amdhsa_accum_offset 20
		.amdhsa_reserve_vcc 1
		.amdhsa_float_round_mode_32 0
		.amdhsa_float_round_mode_16_64 0
		.amdhsa_float_denorm_mode_32 3
		.amdhsa_float_denorm_mode_16_64 3
		.amdhsa_dx10_clamp 1
		.amdhsa_ieee_mode 1
		.amdhsa_fp16_overflow 0
		.amdhsa_tg_split 0
		.amdhsa_exception_fp_ieee_invalid_op 0
		.amdhsa_exception_fp_denorm_src 0
		.amdhsa_exception_fp_ieee_div_zero 0
		.amdhsa_exception_fp_ieee_overflow 0
		.amdhsa_exception_fp_ieee_underflow 0
		.amdhsa_exception_fp_ieee_inexact 0
		.amdhsa_exception_int_div_zero 0
	.end_amdhsa_kernel
	.section	.text._ZL33flash_attn_stream_k_fixup_uniformILi128ELi4ELi8EEvPfPK15HIP_vector_typeIfLj2EEiiiiiiS1_IjLj3EES5_S5_,"axG",@progbits,_ZL33flash_attn_stream_k_fixup_uniformILi128ELi4ELi8EEvPfPK15HIP_vector_typeIfLj2EEiiiiiiS1_IjLj3EES5_S5_,comdat
.Lfunc_end7:
	.size	_ZL33flash_attn_stream_k_fixup_uniformILi128ELi4ELi8EEvPfPK15HIP_vector_typeIfLj2EEiiiiiiS1_IjLj3EES5_S5_, .Lfunc_end7-_ZL33flash_attn_stream_k_fixup_uniformILi128ELi4ELi8EEvPfPK15HIP_vector_typeIfLj2EEiiiiiiS1_IjLj3EES5_S5_
                                        ; -- End function
	.set _ZL33flash_attn_stream_k_fixup_uniformILi128ELi4ELi8EEvPfPK15HIP_vector_typeIfLj2EEiiiiiiS1_IjLj3EES5_S5_.num_vgpr, 17
	.set _ZL33flash_attn_stream_k_fixup_uniformILi128ELi4ELi8EEvPfPK15HIP_vector_typeIfLj2EEiiiiiiS1_IjLj3EES5_S5_.num_agpr, 0
	.set _ZL33flash_attn_stream_k_fixup_uniformILi128ELi4ELi8EEvPfPK15HIP_vector_typeIfLj2EEiiiiiiS1_IjLj3EES5_S5_.numbered_sgpr, 24
	.set _ZL33flash_attn_stream_k_fixup_uniformILi128ELi4ELi8EEvPfPK15HIP_vector_typeIfLj2EEiiiiiiS1_IjLj3EES5_S5_.num_named_barrier, 0
	.set _ZL33flash_attn_stream_k_fixup_uniformILi128ELi4ELi8EEvPfPK15HIP_vector_typeIfLj2EEiiiiiiS1_IjLj3EES5_S5_.private_seg_size, 0
	.set _ZL33flash_attn_stream_k_fixup_uniformILi128ELi4ELi8EEvPfPK15HIP_vector_typeIfLj2EEiiiiiiS1_IjLj3EES5_S5_.uses_vcc, 1
	.set _ZL33flash_attn_stream_k_fixup_uniformILi128ELi4ELi8EEvPfPK15HIP_vector_typeIfLj2EEiiiiiiS1_IjLj3EES5_S5_.uses_flat_scratch, 0
	.set _ZL33flash_attn_stream_k_fixup_uniformILi128ELi4ELi8EEvPfPK15HIP_vector_typeIfLj2EEiiiiiiS1_IjLj3EES5_S5_.has_dyn_sized_stack, 0
	.set _ZL33flash_attn_stream_k_fixup_uniformILi128ELi4ELi8EEvPfPK15HIP_vector_typeIfLj2EEiiiiiiS1_IjLj3EES5_S5_.has_recursion, 0
	.set _ZL33flash_attn_stream_k_fixup_uniformILi128ELi4ELi8EEvPfPK15HIP_vector_typeIfLj2EEiiiiiiS1_IjLj3EES5_S5_.has_indirect_call, 0
	.section	.AMDGPU.csdata,"",@progbits
; Kernel info:
; codeLenInByte = 836
; TotalNumSgprs: 30
; NumVgprs: 17
; NumAgprs: 0
; TotalNumVgprs: 17
; ScratchSize: 0
; MemoryBound: 0
; FloatMode: 240
; IeeeMode: 1
; LDSByteSize: 0 bytes/workgroup (compile time only)
; SGPRBlocks: 3
; VGPRBlocks: 2
; NumSGPRsForWavesPerEU: 30
; NumVGPRsForWavesPerEU: 17
; AccumOffset: 20
; Occupancy: 8
; WaveLimiterHint : 0
; COMPUTE_PGM_RSRC2:SCRATCH_EN: 0
; COMPUTE_PGM_RSRC2:USER_SGPR: 2
; COMPUTE_PGM_RSRC2:TRAP_HANDLER: 0
; COMPUTE_PGM_RSRC2:TGID_X_EN: 1
; COMPUTE_PGM_RSRC2:TGID_Y_EN: 1
; COMPUTE_PGM_RSRC2:TGID_Z_EN: 1
; COMPUTE_PGM_RSRC2:TIDIG_COMP_CNT: 0
; COMPUTE_PGM_RSRC3_GFX90A:ACCUM_OFFSET: 4
; COMPUTE_PGM_RSRC3_GFX90A:TG_SPLIT: 0
	.section	.text._ZL33flash_attn_stream_k_fixup_generalILi128ELi4ELi8EEvPfPK15HIP_vector_typeIfLj2EEiiiiS1_IjLj3EES5_S5_S5_,"axG",@progbits,_ZL33flash_attn_stream_k_fixup_generalILi128ELi4ELi8EEvPfPK15HIP_vector_typeIfLj2EEiiiiS1_IjLj3EES5_S5_S5_,comdat
	.globl	_ZL33flash_attn_stream_k_fixup_generalILi128ELi4ELi8EEvPfPK15HIP_vector_typeIfLj2EEiiiiS1_IjLj3EES5_S5_S5_ ; -- Begin function _ZL33flash_attn_stream_k_fixup_generalILi128ELi4ELi8EEvPfPK15HIP_vector_typeIfLj2EEiiiiS1_IjLj3EES5_S5_S5_
	.p2align	8
	.type	_ZL33flash_attn_stream_k_fixup_generalILi128ELi4ELi8EEvPfPK15HIP_vector_typeIfLj2EEiiiiS1_IjLj3EES5_S5_S5_,@function
_ZL33flash_attn_stream_k_fixup_generalILi128ELi4ELi8EEvPfPK15HIP_vector_typeIfLj2EEiiiiS1_IjLj3EES5_S5_S5_: ; @_ZL33flash_attn_stream_k_fixup_generalILi128ELi4ELi8EEvPfPK15HIP_vector_typeIfLj2EEiiiiS1_IjLj3EES5_S5_S5_
; %bb.0:
	s_load_dwordx4 s[8:11], s[0:1], 0x10
	s_load_dword s22, s[0:1], 0x50
	s_mov_b32 s12, 0
	s_waitcnt lgkmcnt(0)
	s_mul_hi_i32 s13, s11, s2
	s_cmp_lg_u64 s[12:13], 0
	s_mul_i32 s5, s11, s2
	s_cbranch_scc0 .LBB8_20
; %bb.1:
	s_add_u32 s6, s22, 0
	s_addc_u32 s7, 0, 0
	s_xor_b64 s[6:7], s[6:7], 0
	v_cvt_f32_u32_e32 v1, s6
	v_cvt_f32_u32_e32 v2, s7
	s_sub_u32 s12, 0, s6
	s_subb_u32 s18, 0, s7
	v_fmamk_f32 v1, v2, 0x4f800000, v1
	v_rcp_f32_e32 v1, v1
	s_nop 0
	v_mul_f32_e32 v1, 0x5f7ffffc, v1
	v_mul_f32_e32 v2, 0x2f800000, v1
	v_trunc_f32_e32 v2, v2
	v_fmamk_f32 v1, v2, 0xcf800000, v1
	v_cvt_u32_f32_e32 v2, v2
	v_cvt_u32_f32_e32 v1, v1
	v_readfirstlane_b32 s19, v2
	v_readfirstlane_b32 s14, v1
	s_mul_i32 s15, s12, s19
	s_mul_hi_u32 s21, s12, s14
	s_mul_i32 s20, s18, s14
	s_add_i32 s15, s21, s15
	s_add_i32 s15, s15, s20
	s_mul_i32 s23, s12, s14
	s_mul_i32 s21, s14, s15
	s_mul_hi_u32 s24, s14, s23
	s_mul_hi_u32 s20, s14, s15
	s_add_u32 s21, s24, s21
	s_addc_u32 s20, 0, s20
	s_mul_hi_u32 s25, s19, s23
	s_mul_i32 s23, s19, s23
	s_add_u32 s21, s21, s23
	s_mul_hi_u32 s24, s19, s15
	s_addc_u32 s20, s20, s25
	s_addc_u32 s21, s24, 0
	s_mul_i32 s15, s19, s15
	s_add_u32 s15, s20, s15
	s_addc_u32 s20, 0, s21
	s_add_u32 s21, s14, s15
	s_cselect_b64 s[14:15], -1, 0
	s_cmp_lg_u64 s[14:15], 0
	s_addc_u32 s19, s19, s20
	s_mul_i32 s14, s12, s19
	s_mul_hi_u32 s15, s12, s21
	s_add_i32 s14, s15, s14
	s_mul_i32 s18, s18, s21
	s_add_i32 s14, s14, s18
	s_mul_i32 s12, s12, s21
	s_mul_hi_u32 s18, s19, s12
	s_mul_i32 s20, s19, s12
	s_mul_i32 s24, s21, s14
	s_mul_hi_u32 s12, s21, s12
	s_mul_hi_u32 s23, s21, s14
	s_add_u32 s12, s12, s24
	s_addc_u32 s23, 0, s23
	s_add_u32 s12, s12, s20
	s_mul_hi_u32 s15, s19, s14
	s_addc_u32 s12, s23, s18
	s_addc_u32 s15, s15, 0
	s_mul_i32 s14, s19, s14
	s_add_u32 s12, s12, s14
	s_addc_u32 s18, 0, s15
	s_add_u32 s20, s21, s12
	s_cselect_b64 s[14:15], -1, 0
	s_cmp_lg_u64 s[14:15], 0
	s_addc_u32 s18, s19, s18
	s_ashr_i32 s14, s13, 31
	s_add_u32 s12, s5, s14
	s_mov_b32 s15, s14
	s_addc_u32 s13, s13, s14
	s_xor_b64 s[12:13], s[12:13], s[14:15]
	s_mul_i32 s21, s12, s18
	s_mul_hi_u32 s23, s12, s20
	s_mul_hi_u32 s19, s12, s18
	s_add_u32 s21, s23, s21
	s_addc_u32 s19, 0, s19
	s_mul_hi_u32 s24, s13, s20
	s_mul_i32 s20, s13, s20
	s_add_u32 s20, s21, s20
	s_mul_hi_u32 s23, s13, s18
	s_addc_u32 s19, s19, s24
	s_addc_u32 s20, s23, 0
	s_mul_i32 s18, s13, s18
	s_add_u32 s23, s19, s18
	s_addc_u32 s24, 0, s20
	s_mul_i32 s18, s6, s24
	s_mul_hi_u32 s19, s6, s23
	s_add_i32 s18, s19, s18
	s_mul_i32 s19, s7, s23
	s_add_i32 s25, s18, s19
	s_sub_i32 s20, s13, s25
	s_mul_i32 s18, s6, s23
	s_sub_u32 s12, s12, s18
	s_cselect_b64 s[18:19], -1, 0
	s_cmp_lg_u64 s[18:19], 0
	s_subb_u32 s26, s20, s7
	s_sub_u32 s27, s12, s6
	s_cselect_b64 s[20:21], -1, 0
	s_cmp_lg_u64 s[20:21], 0
	s_subb_u32 s20, s26, 0
	s_cmp_ge_u32 s20, s7
	s_cselect_b32 s21, -1, 0
	s_cmp_ge_u32 s27, s6
	s_cselect_b32 s26, -1, 0
	s_cmp_eq_u32 s20, s7
	s_cselect_b32 s20, s26, s21
	s_add_u32 s21, s23, 1
	s_addc_u32 s26, s24, 0
	s_add_u32 s27, s23, 2
	s_addc_u32 s28, s24, 0
	s_cmp_lg_u32 s20, 0
	s_cselect_b32 s20, s27, s21
	s_cselect_b32 s21, s28, s26
	s_cmp_lg_u64 s[18:19], 0
	s_subb_u32 s13, s13, s25
	s_cmp_ge_u32 s13, s7
	s_cselect_b32 s18, -1, 0
	s_cmp_ge_u32 s12, s6
	s_cselect_b32 s6, -1, 0
	s_cmp_eq_u32 s13, s7
	s_cselect_b32 s6, s6, s18
	s_cmp_lg_u32 s6, 0
	s_cselect_b32 s7, s21, s24
	s_cselect_b32 s6, s20, s23
	s_xor_b64 s[12:13], s[14:15], 0
	s_xor_b64 s[6:7], s[6:7], s[12:13]
	s_sub_u32 s6, s6, s12
	s_load_dwordx4 s[12:15], s[0:1], 0x44
	s_cbranch_execnz .LBB8_3
.LBB8_2:
	v_cvt_f32_u32_e32 v1, s22
	s_sub_i32 s6, 0, s22
	v_rcp_iflag_f32_e32 v1, v1
	s_nop 0
	v_mul_f32_e32 v1, 0x4f7ffffe, v1
	v_cvt_u32_f32_e32 v1, v1
	s_nop 0
	v_readfirstlane_b32 s7, v1
	s_mul_i32 s6, s6, s7
	s_mul_hi_u32 s6, s7, s6
	s_add_i32 s7, s7, s6
	s_mul_hi_u32 s6, s5, s7
	s_waitcnt lgkmcnt(0)
	s_mul_i32 s15, s6, s22
	s_sub_i32 s5, s5, s15
	s_add_i32 s7, s6, 1
	s_sub_i32 s15, s5, s22
	s_cmp_ge_u32 s5, s22
	s_cselect_b32 s6, s7, s6
	s_cselect_b32 s5, s15, s5
	s_add_i32 s7, s6, 1
	s_cmp_ge_u32 s5, s22
	s_cselect_b32 s6, s7, s6
.LBB8_3:
	s_add_i32 s5, s2, 1
	s_mul_hi_i32 s21, s11, s5
	s_mov_b32 s20, 0
	s_cmp_lg_u64 s[20:21], 0
	s_mul_i32 s5, s11, s5
	s_cbranch_scc0 .LBB8_21
; %bb.4:
	s_add_u32 s16, s22, 0
	s_addc_u32 s17, 0, 0
	s_xor_b64 s[18:19], s[16:17], 0
	v_cvt_f32_u32_e32 v1, s18
	v_cvt_f32_u32_e32 v2, s19
	s_sub_u32 s7, 0, s18
	s_waitcnt lgkmcnt(0)
	s_subb_u32 s15, 0, s19
	v_fmamk_f32 v1, v2, 0x4f800000, v1
	v_rcp_f32_e32 v1, v1
	s_nop 0
	v_mul_f32_e32 v1, 0x5f7ffffc, v1
	v_mul_f32_e32 v2, 0x2f800000, v1
	v_trunc_f32_e32 v2, v2
	v_fmamk_f32 v1, v2, 0xcf800000, v1
	v_cvt_u32_f32_e32 v2, v2
	v_cvt_u32_f32_e32 v1, v1
	v_readfirstlane_b32 s20, v2
	v_readfirstlane_b32 s23, v1
	s_mul_i32 s24, s7, s20
	s_mul_hi_u32 s26, s7, s23
	s_mul_i32 s25, s15, s23
	s_add_i32 s24, s26, s24
	s_add_i32 s24, s24, s25
	s_mul_i32 s27, s7, s23
	s_mul_i32 s26, s23, s24
	s_mul_hi_u32 s28, s23, s27
	s_mul_hi_u32 s25, s23, s24
	s_add_u32 s26, s28, s26
	s_addc_u32 s25, 0, s25
	s_mul_hi_u32 s29, s20, s27
	s_mul_i32 s27, s20, s27
	s_add_u32 s26, s26, s27
	s_mul_hi_u32 s28, s20, s24
	s_addc_u32 s25, s25, s29
	s_addc_u32 s26, s28, 0
	s_mul_i32 s24, s20, s24
	s_add_u32 s24, s25, s24
	s_addc_u32 s26, 0, s26
	s_add_u32 s23, s23, s24
	s_cselect_b64 s[24:25], -1, 0
	s_cmp_lg_u64 s[24:25], 0
	s_addc_u32 s20, s20, s26
	s_mul_i32 s24, s7, s20
	s_mul_hi_u32 s25, s7, s23
	s_add_i32 s24, s25, s24
	s_mul_i32 s15, s15, s23
	s_add_i32 s24, s24, s15
	s_mul_i32 s7, s7, s23
	s_mul_hi_u32 s25, s20, s7
	s_mul_i32 s26, s20, s7
	s_mul_i32 s28, s23, s24
	s_mul_hi_u32 s7, s23, s7
	s_mul_hi_u32 s27, s23, s24
	s_add_u32 s7, s7, s28
	s_addc_u32 s27, 0, s27
	s_add_u32 s7, s7, s26
	s_mul_hi_u32 s15, s20, s24
	s_addc_u32 s7, s27, s25
	s_addc_u32 s15, s15, 0
	s_mul_i32 s24, s20, s24
	s_add_u32 s7, s7, s24
	s_addc_u32 s15, 0, s15
	s_add_u32 s7, s23, s7
	s_cselect_b64 s[24:25], -1, 0
	s_cmp_lg_u64 s[24:25], 0
	s_addc_u32 s15, s20, s15
	s_ashr_i32 s24, s21, 31
	s_add_u32 s20, s5, s24
	s_mov_b32 s25, s24
	s_addc_u32 s21, s21, s24
	s_xor_b64 s[20:21], s[20:21], s[24:25]
	s_mul_i32 s26, s20, s15
	s_mul_hi_u32 s27, s20, s7
	s_mul_hi_u32 s23, s20, s15
	s_add_u32 s26, s27, s26
	s_addc_u32 s23, 0, s23
	s_mul_hi_u32 s28, s21, s7
	s_mul_i32 s7, s21, s7
	s_add_u32 s7, s26, s7
	s_mul_hi_u32 s27, s21, s15
	s_addc_u32 s7, s23, s28
	s_addc_u32 s23, s27, 0
	s_mul_i32 s15, s21, s15
	s_add_u32 s7, s7, s15
	s_addc_u32 s15, 0, s23
	s_mul_i32 s23, s18, s15
	s_mul_hi_u32 s26, s18, s7
	s_add_i32 s23, s26, s23
	s_mul_i32 s26, s19, s7
	s_add_i32 s23, s23, s26
	s_sub_i32 s28, s21, s23
	s_mul_i32 s26, s18, s7
	s_sub_u32 s20, s20, s26
	s_cselect_b64 s[26:27], -1, 0
	s_cmp_lg_u64 s[26:27], 0
	s_subb_u32 s30, s28, s19
	s_sub_u32 s31, s20, s18
	s_cselect_b64 s[28:29], -1, 0
	s_cmp_lg_u64 s[28:29], 0
	s_subb_u32 s28, s30, 0
	s_cmp_ge_u32 s28, s19
	s_cselect_b32 s29, -1, 0
	s_cmp_ge_u32 s31, s18
	s_cselect_b32 s30, -1, 0
	s_cmp_eq_u32 s28, s19
	s_cselect_b32 s28, s30, s29
	s_add_u32 s29, s7, 1
	s_addc_u32 s30, s15, 0
	s_add_u32 s31, s7, 2
	s_addc_u32 s33, s15, 0
	s_cmp_lg_u32 s28, 0
	s_cselect_b32 s28, s31, s29
	s_cselect_b32 s29, s33, s30
	s_cmp_lg_u64 s[26:27], 0
	s_subb_u32 s21, s21, s23
	s_cmp_ge_u32 s21, s19
	s_cselect_b32 s23, -1, 0
	s_cmp_ge_u32 s20, s18
	s_cselect_b32 s18, -1, 0
	s_cmp_eq_u32 s21, s19
	s_cselect_b32 s18, s18, s23
	s_cmp_lg_u32 s18, 0
	s_cselect_b32 s19, s29, s15
	s_cselect_b32 s18, s28, s7
	s_xor_b64 s[20:21], s[24:25], 0
	s_xor_b64 s[18:19], s[18:19], s[20:21]
	s_sub_u32 s18, s18, s20
	s_cbranch_execnz .LBB8_6
.LBB8_5:
	v_cvt_f32_u32_e32 v1, s22
	s_sub_i32 s7, 0, s22
	v_rcp_iflag_f32_e32 v1, v1
	s_nop 0
	v_mul_f32_e32 v1, 0x4f7ffffe, v1
	v_cvt_u32_f32_e32 v1, v1
	s_waitcnt lgkmcnt(0)
	v_readfirstlane_b32 s15, v1
	s_mul_i32 s7, s7, s15
	s_mul_hi_u32 s7, s15, s7
	s_add_i32 s15, s15, s7
	s_mul_hi_u32 s7, s5, s15
	s_mul_i32 s16, s7, s22
	s_sub_i32 s5, s5, s16
	s_add_i32 s15, s7, 1
	s_sub_i32 s16, s5, s22
	s_cmp_ge_u32 s5, s22
	s_cselect_b32 s7, s15, s7
	s_cselect_b32 s5, s16, s5
	s_add_i32 s15, s7, 1
	s_cmp_ge_u32 s5, s22
	s_cselect_b32 s18, s15, s7
.LBB8_6:
	s_cmp_eq_u32 s6, s18
	s_waitcnt lgkmcnt(0)
	s_mul_hi_u32 s5, s6, s12
	s_cselect_b64 s[16:17], -1, 0
	s_add_i32 s5, s5, s6
	s_lshr_b32 s7, s5, s13
	s_mul_i32 s5, s7, s14
	s_cmp_eq_u32 s5, s6
	s_mul_hi_u32 s5, s18, s12
	s_cselect_b64 s[20:21], -1, 0
	s_add_i32 s5, s5, s18
	s_lshr_b32 s5, s5, s13
	s_cmp_eq_u32 s7, s5
	s_mul_i32 s5, s5, s14
	s_cselect_b64 s[24:25], -1, 0
	s_cmp_lg_u32 s5, s18
	s_cselect_b64 s[18:19], -1, 0
	s_and_b64 s[18:19], s[24:25], s[18:19]
	s_or_b64 s[16:17], s[16:17], s[20:21]
	s_or_b64 s[16:17], s[16:17], s[18:19]
	s_and_b64 vcc, exec, s[16:17]
	s_cbranch_vccnz .LBB8_23
; %bb.7:
	s_load_dwordx8 s[24:31], s[0:1], 0x20
	s_load_dword s15, s[0:1], 0x40
	s_waitcnt lgkmcnt(0)
	s_mul_hi_u32 s5, s6, s24
	s_add_i32 s5, s5, s6
	s_lshr_b32 s5, s5, s25
	s_mul_i32 s16, s5, s26
	s_sub_i32 s16, s6, s16
	s_mul_hi_u32 s17, s16, s27
	s_add_i32 s17, s16, s17
	s_lshr_b32 s20, s17, s28
	s_mul_i32 s17, s20, s29
	s_sub_i32 s16, s16, s17
	;; [unrolled: 5-line block ×3, first 2 shown]
	s_mul_hi_u32 s16, s15, s12
	s_add_i32 s15, s15, s16
	s_lshr_b32 s23, s15, s13
	s_lshl_b32 s15, s23, 2
	s_lshl_b32 s21, s17, 3
	s_add_i32 s15, s15, s3
	s_cmp_lt_i32 s15, s8
	s_cselect_b64 s[16:17], -1, 0
	s_add_i32 s15, s21, s4
	s_cmp_lt_i32 s15, s10
	s_cselect_b64 s[18:19], -1, 0
	s_and_b64 s[16:17], s[16:17], s[18:19]
	s_andn2_b64 vcc, exec, s[16:17]
	s_cbranch_vccnz .LBB8_23
; %bb.8:
	s_load_dwordx4 s[16:19], s[0:1], 0x0
	s_mov_b32 s0, 0
	s_lshl_b32 s15, s3, 3
	s_lshl_b32 s24, s22, 7
	s_mov_b32 s25, s0
	s_add_i32 s15, s15, s4
	s_waitcnt lgkmcnt(0)
	v_mov_b32_e32 v2, s16
	v_mov_b32_e32 v3, s17
	s_lshl_b64 s[16:17], s[24:25], 2
	s_add_u32 s16, s18, s16
	s_mul_i32 s1, s5, s8
	s_addc_u32 s17, s19, s17
	s_add_i32 s1, s1, s3
	s_mul_i32 s1, s1, s9
	s_mul_i32 s20, s20, s10
	s_add_i32 s1, s1, s4
	s_add_i32 s1, s1, s20
	s_mul_i32 s5, s9, s23
	s_add_i32 s1, s1, s21
	s_lshl_b32 s5, s5, 9
	s_lshl_b32 s1, s1, 7
	s_add_i32 s5, s5, s1
	v_or_b32_e32 v4, s5, v0
	v_ashrrev_i32_e32 v5, 31, v4
	v_lshl_add_u64 v[2:3], v[4:5], 2, v[2:3]
	global_load_dword v1, v[2:3], off
	v_cvt_f32_u32_e32 v4, s22
	s_lshl_b32 s1, s2, 5
	s_add_i32 s4, s15, s1
	s_ashr_i32 s5, s4, 31
	s_lshl_b64 s[4:5], s[4:5], 3
	v_rcp_iflag_f32_e32 v4, v4
	s_add_u32 s4, s18, s4
	s_addc_u32 s5, s19, s5
	s_load_dwordx2 s[4:5], s[4:5], 0x0
	v_mul_f32_e32 v4, 0x4f7ffffe, v4
	v_cvt_u32_f32_e32 v7, v4
	s_add_i32 s24, s2, -1
	v_lshl_or_b32 v6, s15, 7, v0
	s_waitcnt lgkmcnt(0)
	v_mov_b32_e32 v0, s5
	v_mov_b32_e32 v9, s4
	s_mov_b32 s10, 0x3fb8aa3b
	s_mov_b32 s20, 0xc2ce8ed0
	;; [unrolled: 1-line block ×4, first 2 shown]
	v_mov_b32_e32 v8, 0x7f800000
	s_mul_hi_i32 s1, s24, s11
	s_cmp_lg_u64 s[0:1], 0
	s_mul_i32 s8, s24, s11
	s_cbranch_scc0 .LBB8_19
.LBB8_9:
	s_add_u32 s2, s22, 0
	s_addc_u32 s3, 0, 0
	s_xor_b64 s[2:3], s[2:3], 0
	v_cvt_f32_u32_e32 v4, s2
	v_cvt_f32_u32_e32 v5, s3
	s_sub_u32 s9, 0, s2
	s_subb_u32 s25, 0, s3
	v_fmac_f32_e32 v4, 0x4f800000, v5
	v_rcp_f32_e32 v4, v4
	s_nop 0
	v_mul_f32_e32 v4, 0x5f7ffffc, v4
	v_mul_f32_e32 v5, 0x2f800000, v4
	v_trunc_f32_e32 v5, v5
	v_fmac_f32_e32 v4, 0xcf800000, v5
	v_cvt_u32_f32_e32 v5, v5
	v_cvt_u32_f32_e32 v4, v4
	v_readfirstlane_b32 s26, v5
	v_readfirstlane_b32 s4, v4
	s_mul_i32 s5, s9, s26
	s_mul_hi_u32 s28, s9, s4
	s_mul_i32 s27, s25, s4
	s_add_i32 s5, s28, s5
	s_mul_i32 s29, s9, s4
	s_add_i32 s5, s5, s27
	s_mul_i32 s28, s4, s5
	s_mul_hi_u32 s30, s4, s29
	s_mul_hi_u32 s27, s4, s5
	s_add_u32 s28, s30, s28
	s_addc_u32 s27, 0, s27
	s_mul_hi_u32 s31, s26, s29
	s_mul_i32 s29, s26, s29
	s_add_u32 s28, s28, s29
	s_mul_hi_u32 s30, s26, s5
	s_addc_u32 s27, s27, s31
	s_addc_u32 s28, s30, 0
	s_mul_i32 s5, s26, s5
	s_add_u32 s5, s27, s5
	s_addc_u32 s27, 0, s28
	s_add_u32 s28, s4, s5
	s_cselect_b64 s[4:5], -1, 0
	s_cmp_lg_u64 s[4:5], 0
	s_addc_u32 s26, s26, s27
	s_mul_i32 s4, s9, s26
	s_mul_hi_u32 s5, s9, s28
	s_add_i32 s4, s5, s4
	s_mul_i32 s25, s25, s28
	s_add_i32 s4, s4, s25
	s_mul_i32 s9, s9, s28
	s_mul_hi_u32 s25, s26, s9
	s_mul_i32 s27, s26, s9
	s_mul_i32 s30, s28, s4
	s_mul_hi_u32 s9, s28, s9
	s_mul_hi_u32 s29, s28, s4
	s_add_u32 s9, s9, s30
	s_addc_u32 s29, 0, s29
	s_add_u32 s9, s9, s27
	s_mul_hi_u32 s5, s26, s4
	s_addc_u32 s9, s29, s25
	s_addc_u32 s5, s5, 0
	s_mul_i32 s4, s26, s4
	s_add_u32 s4, s9, s4
	s_addc_u32 s9, 0, s5
	s_add_u32 s25, s28, s4
	s_cselect_b64 s[4:5], -1, 0
	s_cmp_lg_u64 s[4:5], 0
	s_addc_u32 s9, s26, s9
	s_ashr_i32 s4, s1, 31
	s_add_u32 s26, s8, s4
	s_mov_b32 s5, s4
	s_addc_u32 s27, s1, s4
	s_xor_b64 s[26:27], s[26:27], s[4:5]
	s_mul_i32 s28, s26, s9
	s_mul_hi_u32 s29, s26, s25
	s_mul_hi_u32 s1, s26, s9
	s_add_u32 s28, s29, s28
	s_addc_u32 s1, 0, s1
	s_mul_hi_u32 s30, s27, s25
	s_mul_i32 s25, s27, s25
	s_add_u32 s25, s28, s25
	s_mul_hi_u32 s29, s27, s9
	s_addc_u32 s1, s1, s30
	s_addc_u32 s25, s29, 0
	s_mul_i32 s9, s27, s9
	s_add_u32 s1, s1, s9
	s_addc_u32 s9, 0, s25
	s_mul_i32 s25, s2, s9
	s_mul_hi_u32 s28, s2, s1
	s_add_i32 s25, s28, s25
	s_mul_i32 s28, s3, s1
	s_add_i32 s25, s25, s28
	s_sub_i32 s30, s27, s25
	s_mul_i32 s28, s2, s1
	s_sub_u32 s26, s26, s28
	s_cselect_b64 s[28:29], -1, 0
	s_cmp_lg_u64 s[28:29], 0
	s_subb_u32 s33, s30, s3
	s_sub_u32 s34, s26, s2
	s_cselect_b64 s[30:31], -1, 0
	s_cmp_lg_u64 s[30:31], 0
	s_subb_u32 s30, s33, 0
	s_cmp_ge_u32 s30, s3
	s_cselect_b32 s31, -1, 0
	s_cmp_ge_u32 s34, s2
	s_cselect_b32 s33, -1, 0
	s_cmp_eq_u32 s30, s3
	s_cselect_b32 s30, s33, s31
	s_add_u32 s31, s1, 1
	s_addc_u32 s33, s9, 0
	s_add_u32 s34, s1, 2
	s_addc_u32 s35, s9, 0
	s_cmp_lg_u32 s30, 0
	s_cselect_b32 s30, s34, s31
	s_cselect_b32 s31, s35, s33
	s_cmp_lg_u64 s[28:29], 0
	s_subb_u32 s25, s27, s25
	s_cmp_ge_u32 s25, s3
	s_cselect_b32 s27, -1, 0
	s_cmp_ge_u32 s26, s2
	s_cselect_b32 s2, -1, 0
	s_cmp_eq_u32 s25, s3
	s_cselect_b32 s2, s2, s27
	s_cmp_lg_u32 s2, 0
	s_cselect_b32 s3, s31, s9
	s_cselect_b32 s2, s30, s1
	s_xor_b64 s[4:5], s[4:5], 0
	s_xor_b64 s[2:3], s[2:3], s[4:5]
	s_sub_u32 s4, s2, s4
	s_cbranch_execnz .LBB8_11
.LBB8_10:
	s_sub_i32 s1, 0, s22
	v_readfirstlane_b32 s2, v7
	s_mul_i32 s1, s1, s2
	s_mul_hi_u32 s1, s2, s1
	s_add_i32 s2, s2, s1
	s_mul_hi_u32 s1, s8, s2
	s_mul_i32 s3, s1, s22
	s_sub_i32 s3, s8, s3
	s_add_i32 s2, s1, 1
	s_sub_i32 s4, s3, s22
	s_cmp_ge_u32 s3, s22
	s_cselect_b32 s1, s2, s1
	s_cselect_b32 s3, s4, s3
	s_add_i32 s2, s1, 1
	s_cmp_ge_u32 s3, s22
	s_cselect_b32 s4, s2, s1
.LBB8_11:
	s_cmp_lg_u32 s6, s4
	s_cbranch_scc0 .LBB8_15
; %bb.12:
	s_add_i32 s1, s24, s22
	s_lshl_b32 s1, s1, 5
	s_add_i32 s2, s1, s15
	s_mov_b32 s3, s0
	s_lshl_b64 s[2:3], s[2:3], 3
	s_add_u32 s8, s18, s2
	s_mul_hi_u32 s1, s4, s12
	s_addc_u32 s9, s19, s3
	s_add_i32 s1, s1, s4
	s_lshr_b32 s1, s1, s13
	s_mul_i32 s2, s1, s14
	s_cmp_eq_u32 s2, s4
	s_cselect_b64 s[2:3], -1, 0
	s_cmp_lt_u32 s1, s7
	s_cselect_b64 s[26:27], -1, 0
	s_or_b64 s[26:27], s[26:27], s[2:3]
	s_mov_b64 s[2:3], -1
	s_and_b64 vcc, exec, s[26:27]
	s_mov_b32 s1, s24
	s_mov_b32 s25, s6
	s_cbranch_vccnz .LBB8_14
; %bb.13:
	s_add_i32 s1, s24, -1
	s_mov_b64 s[2:3], 0
	s_mov_b32 s25, s4
.LBB8_14:
	v_lshl_add_u32 v4, s24, 12, v6
	v_ashrrev_i32_e32 v5, 31, v4
	v_lshl_add_u64 v[4:5], v[4:5], 2, s[16:17]
	global_load_dword v5, v[4:5], off
	s_load_dwordx2 s[4:5], s[8:9], 0x0
	v_max_f32_e32 v4, v9, v9
	s_waitcnt lgkmcnt(0)
	v_max_f32_e64 v10, s4, s4
	v_max_f32_e32 v10, v4, v10
	v_sub_f32_e32 v11, v9, v10
	v_sub_f32_e32 v13, s4, v10
	v_mul_f32_e32 v4, 0x3fb8aa3b, v11
	v_mul_f32_e32 v12, 0x3fb8aa3b, v13
	v_fma_f32 v14, v11, s10, -v4
	v_rndne_f32_e32 v15, v4
	v_fma_f32 v16, v13, s10, -v12
	v_rndne_f32_e32 v17, v12
	v_fmac_f32_e32 v14, 0x32a5705f, v11
	v_sub_f32_e32 v4, v4, v15
	v_fmac_f32_e32 v16, 0x32a5705f, v13
	v_sub_f32_e32 v12, v12, v17
	v_add_f32_e32 v4, v4, v14
	v_cvt_i32_f32_e32 v15, v15
	v_add_f32_e32 v12, v12, v16
	v_exp_f32_e32 v14, v4
	v_cvt_i32_f32_e32 v17, v17
	v_exp_f32_e32 v12, v12
	v_cmp_ngt_f32_e32 vcc, s20, v11
	v_ldexp_f32 v14, v14, v15
	v_mov_b32_e32 v4, s5
	v_ldexp_f32 v12, v12, v17
	v_cndmask_b32_e32 v14, 0, v14, vcc
	v_cmp_ngt_f32_e32 vcc, s20, v13
	s_nop 1
	v_cndmask_b32_e32 v12, 0, v12, vcc
	v_cmp_nlt_f32_e32 vcc, s21, v11
	s_nop 1
	v_cndmask_b32_e32 v14, v8, v14, vcc
	v_cmp_nlt_f32_e32 vcc, s21, v13
	s_nop 1
	v_cndmask_b32_e32 v15, v8, v12, vcc
	v_cmp_le_f32_e32 vcc, s23, v11
	s_nop 1
	v_cndmask_b32_e32 v12, 0, v14, vcc
	v_cmp_le_f32_e32 vcc, s23, v13
	s_nop 1
	v_cndmask_b32_e32 v14, 0, v15, vcc
	s_waitcnt vmcnt(0)
	v_pk_mul_f32 v[4:5], v[4:5], v[14:15] op_sel_hi:[1,0]
	s_nop 0
	v_pk_fma_f32 v[4:5], v[0:1], v[12:13], v[4:5] op_sel_hi:[1,0,1]
	s_cbranch_execz .LBB8_16
	s_branch .LBB8_17
.LBB8_15:
                                        ; implicit-def: $vgpr4_vgpr5
                                        ; implicit-def: $sgpr2_sgpr3
                                        ; implicit-def: $vgpr10
                                        ; implicit-def: $sgpr1
                                        ; implicit-def: $sgpr25
.LBB8_16:
	s_add_i32 s1, s24, -1
	s_mov_b64 s[2:3], 0
	s_mov_b32 s25, s6
	v_mov_b32_e32 v10, v9
	s_waitcnt vmcnt(0)
	v_mov_b64_e32 v[4:5], v[0:1]
.LBB8_17:
	s_andn2_b64 vcc, exec, s[2:3]
	s_cbranch_vccz .LBB8_22
; %bb.18:
	s_mov_b32 s6, s25
	s_mov_b32 s24, s1
	v_mov_b32_e32 v9, v10
	s_waitcnt vmcnt(0)
	v_mov_b64_e32 v[0:1], v[4:5]
	s_mul_hi_i32 s1, s24, s11
	s_cmp_lg_u64 s[0:1], 0
	s_mul_i32 s8, s24, s11
	s_cbranch_scc1 .LBB8_9
.LBB8_19:
                                        ; implicit-def: $sgpr4_sgpr5
	s_branch .LBB8_10
.LBB8_20:
                                        ; implicit-def: $sgpr6_sgpr7
	s_load_dwordx4 s[12:15], s[0:1], 0x44
	s_branch .LBB8_2
.LBB8_21:
                                        ; implicit-def: $sgpr18_sgpr19
	s_branch .LBB8_5
.LBB8_22:
	v_div_scale_f32 v0, s[0:1], v4, v4, v5
	s_waitcnt vmcnt(0)
	v_rcp_f32_e32 v1, v0
	v_div_scale_f32 v6, vcc, v5, v4, v5
	v_fma_f32 v7, -v0, v1, 1.0
	v_fmac_f32_e32 v1, v7, v1
	v_mul_f32_e32 v7, v6, v1
	v_fma_f32 v8, -v0, v7, v6
	v_fmac_f32_e32 v7, v8, v1
	v_fma_f32 v0, -v0, v7, v6
	v_div_fmas_f32 v0, v0, v1, v7
	v_div_fixup_f32 v0, v0, v4, v5
	global_store_dword v[2:3], v0, off
.LBB8_23:
	s_endpgm
	.section	.rodata,"a",@progbits
	.p2align	6, 0x0
	.amdhsa_kernel _ZL33flash_attn_stream_k_fixup_generalILi128ELi4ELi8EEvPfPK15HIP_vector_typeIfLj2EEiiiiS1_IjLj3EES5_S5_S5_
		.amdhsa_group_segment_fixed_size 0
		.amdhsa_private_segment_fixed_size 0
		.amdhsa_kernarg_size 336
		.amdhsa_user_sgpr_count 2
		.amdhsa_user_sgpr_dispatch_ptr 0
		.amdhsa_user_sgpr_queue_ptr 0
		.amdhsa_user_sgpr_kernarg_segment_ptr 1
		.amdhsa_user_sgpr_dispatch_id 0
		.amdhsa_user_sgpr_kernarg_preload_length 0
		.amdhsa_user_sgpr_kernarg_preload_offset 0
		.amdhsa_user_sgpr_private_segment_size 0
		.amdhsa_uses_dynamic_stack 0
		.amdhsa_enable_private_segment 0
		.amdhsa_system_sgpr_workgroup_id_x 1
		.amdhsa_system_sgpr_workgroup_id_y 1
		.amdhsa_system_sgpr_workgroup_id_z 1
		.amdhsa_system_sgpr_workgroup_info 0
		.amdhsa_system_vgpr_workitem_id 0
		.amdhsa_next_free_vgpr 18
		.amdhsa_next_free_sgpr 36
		.amdhsa_accum_offset 20
		.amdhsa_reserve_vcc 1
		.amdhsa_float_round_mode_32 0
		.amdhsa_float_round_mode_16_64 0
		.amdhsa_float_denorm_mode_32 3
		.amdhsa_float_denorm_mode_16_64 3
		.amdhsa_dx10_clamp 1
		.amdhsa_ieee_mode 1
		.amdhsa_fp16_overflow 0
		.amdhsa_tg_split 0
		.amdhsa_exception_fp_ieee_invalid_op 0
		.amdhsa_exception_fp_denorm_src 0
		.amdhsa_exception_fp_ieee_div_zero 0
		.amdhsa_exception_fp_ieee_overflow 0
		.amdhsa_exception_fp_ieee_underflow 0
		.amdhsa_exception_fp_ieee_inexact 0
		.amdhsa_exception_int_div_zero 0
	.end_amdhsa_kernel
	.section	.text._ZL33flash_attn_stream_k_fixup_generalILi128ELi4ELi8EEvPfPK15HIP_vector_typeIfLj2EEiiiiS1_IjLj3EES5_S5_S5_,"axG",@progbits,_ZL33flash_attn_stream_k_fixup_generalILi128ELi4ELi8EEvPfPK15HIP_vector_typeIfLj2EEiiiiS1_IjLj3EES5_S5_S5_,comdat
.Lfunc_end8:
	.size	_ZL33flash_attn_stream_k_fixup_generalILi128ELi4ELi8EEvPfPK15HIP_vector_typeIfLj2EEiiiiS1_IjLj3EES5_S5_S5_, .Lfunc_end8-_ZL33flash_attn_stream_k_fixup_generalILi128ELi4ELi8EEvPfPK15HIP_vector_typeIfLj2EEiiiiS1_IjLj3EES5_S5_S5_
                                        ; -- End function
	.set _ZL33flash_attn_stream_k_fixup_generalILi128ELi4ELi8EEvPfPK15HIP_vector_typeIfLj2EEiiiiS1_IjLj3EES5_S5_S5_.num_vgpr, 18
	.set _ZL33flash_attn_stream_k_fixup_generalILi128ELi4ELi8EEvPfPK15HIP_vector_typeIfLj2EEiiiiS1_IjLj3EES5_S5_S5_.num_agpr, 0
	.set _ZL33flash_attn_stream_k_fixup_generalILi128ELi4ELi8EEvPfPK15HIP_vector_typeIfLj2EEiiiiS1_IjLj3EES5_S5_S5_.numbered_sgpr, 36
	.set _ZL33flash_attn_stream_k_fixup_generalILi128ELi4ELi8EEvPfPK15HIP_vector_typeIfLj2EEiiiiS1_IjLj3EES5_S5_S5_.num_named_barrier, 0
	.set _ZL33flash_attn_stream_k_fixup_generalILi128ELi4ELi8EEvPfPK15HIP_vector_typeIfLj2EEiiiiS1_IjLj3EES5_S5_S5_.private_seg_size, 0
	.set _ZL33flash_attn_stream_k_fixup_generalILi128ELi4ELi8EEvPfPK15HIP_vector_typeIfLj2EEiiiiS1_IjLj3EES5_S5_S5_.uses_vcc, 1
	.set _ZL33flash_attn_stream_k_fixup_generalILi128ELi4ELi8EEvPfPK15HIP_vector_typeIfLj2EEiiiiS1_IjLj3EES5_S5_S5_.uses_flat_scratch, 0
	.set _ZL33flash_attn_stream_k_fixup_generalILi128ELi4ELi8EEvPfPK15HIP_vector_typeIfLj2EEiiiiS1_IjLj3EES5_S5_S5_.has_dyn_sized_stack, 0
	.set _ZL33flash_attn_stream_k_fixup_generalILi128ELi4ELi8EEvPfPK15HIP_vector_typeIfLj2EEiiiiS1_IjLj3EES5_S5_S5_.has_recursion, 0
	.set _ZL33flash_attn_stream_k_fixup_generalILi128ELi4ELi8EEvPfPK15HIP_vector_typeIfLj2EEiiiiS1_IjLj3EES5_S5_S5_.has_indirect_call, 0
	.section	.AMDGPU.csdata,"",@progbits
; Kernel info:
; codeLenInByte = 2940
; TotalNumSgprs: 42
; NumVgprs: 18
; NumAgprs: 0
; TotalNumVgprs: 18
; ScratchSize: 0
; MemoryBound: 0
; FloatMode: 240
; IeeeMode: 1
; LDSByteSize: 0 bytes/workgroup (compile time only)
; SGPRBlocks: 5
; VGPRBlocks: 2
; NumSGPRsForWavesPerEU: 42
; NumVGPRsForWavesPerEU: 18
; AccumOffset: 20
; Occupancy: 8
; WaveLimiterHint : 0
; COMPUTE_PGM_RSRC2:SCRATCH_EN: 0
; COMPUTE_PGM_RSRC2:USER_SGPR: 2
; COMPUTE_PGM_RSRC2:TRAP_HANDLER: 0
; COMPUTE_PGM_RSRC2:TGID_X_EN: 1
; COMPUTE_PGM_RSRC2:TGID_Y_EN: 1
; COMPUTE_PGM_RSRC2:TGID_Z_EN: 1
; COMPUTE_PGM_RSRC2:TIDIG_COMP_CNT: 0
; COMPUTE_PGM_RSRC3_GFX90A:ACCUM_OFFSET: 4
; COMPUTE_PGM_RSRC3_GFX90A:TG_SPLIT: 0
	.section	.text._ZL15flash_attn_tileILi128ELi128ELi2ELi8ELb0EEvPKcS1_S1_S1_S1_PKiPfP15HIP_vector_typeIfLj2EEffffjfiS5_IjLj3EEiiiiiiiiiiiliiliiiiil,"axG",@progbits,_ZL15flash_attn_tileILi128ELi128ELi2ELi8ELb0EEvPKcS1_S1_S1_S1_PKiPfP15HIP_vector_typeIfLj2EEffffjfiS5_IjLj3EEiiiiiiiiiiiliiliiiiil,comdat
	.globl	_ZL15flash_attn_tileILi128ELi128ELi2ELi8ELb0EEvPKcS1_S1_S1_S1_PKiPfP15HIP_vector_typeIfLj2EEffffjfiS5_IjLj3EEiiiiiiiiiiiliiliiiiil ; -- Begin function _ZL15flash_attn_tileILi128ELi128ELi2ELi8ELb0EEvPKcS1_S1_S1_S1_PKiPfP15HIP_vector_typeIfLj2EEffffjfiS5_IjLj3EEiiiiiiiiiiiliiliiiiil
	.p2align	8
	.type	_ZL15flash_attn_tileILi128ELi128ELi2ELi8ELb0EEvPKcS1_S1_S1_S1_PKiPfP15HIP_vector_typeIfLj2EEffffjfiS5_IjLj3EEiiiiiiiiiiiliiliiiiil,@function
_ZL15flash_attn_tileILi128ELi128ELi2ELi8ELb0EEvPKcS1_S1_S1_S1_PKiPfP15HIP_vector_typeIfLj2EEffffjfiS5_IjLj3EEiiiiiiiiiiiliiliiiiil: ; @_ZL15flash_attn_tileILi128ELi128ELi2ELi8ELb0EEvPKcS1_S1_S1_S1_PKiPfP15HIP_vector_typeIfLj2EEffffjfiS5_IjLj3EEiiiiiiiiiiiliiliiiiil
; %bb.0:
	s_load_dwordx4 s[24:27], s[0:1], 0x5c
	s_load_dwordx2 s[28:29], s[0:1], 0x80
	s_mov_b64 s[30:31], 0
	s_waitcnt lgkmcnt(0)
	s_ashr_i32 s5, s27, 31
	s_lshr_b32 s5, s5, 29
	s_add_i32 s5, s27, s5
	s_ashr_i32 s5, s5, 3
	v_cvt_f32_u32_e32 v1, s5
	s_sub_i32 s6, 0, s5
	v_rcp_iflag_f32_e32 v1, v1
	s_nop 0
	v_mul_f32_e32 v1, 0x4f7ffffe, v1
	v_cvt_u32_f32_e32 v1, v1
	s_nop 0
	v_readfirstlane_b32 s7, v1
	s_mul_i32 s6, s6, s7
	s_mul_hi_u32 s6, s7, s6
	s_add_i32 s7, s7, s6
	s_mul_hi_u32 s6, s4, s7
	s_mul_i32 s7, s6, s5
	s_sub_i32 s7, s4, s7
	s_add_i32 s8, s6, 1
	s_sub_i32 s9, s7, s5
	s_cmp_ge_u32 s7, s5
	s_cselect_b32 s6, s8, s6
	s_cselect_b32 s7, s9, s7
	s_add_i32 s8, s6, 1
	s_cmp_ge_u32 s7, s5
	s_cselect_b32 s33, s8, s6
	s_abs_i32 s5, s29
	v_cvt_f32_u32_e32 v1, s5
	s_lshl_b32 s4, s4, 3
	s_mul_i32 s8, s33, s27
	s_xor_b32 s6, s27, s29
	v_rcp_iflag_f32_e32 v1, v1
	s_sub_i32 s9, 0, s5
	s_sub_i32 s29, s4, s8
	s_abs_i32 s7, s27
	v_mul_f32_e32 v1, 0x4f7ffffe, v1
	v_cvt_u32_f32_e32 v1, v1
	s_ashr_i32 s6, s6, 31
	v_readfirstlane_b32 s4, v1
	s_mul_i32 s9, s9, s4
	s_mul_hi_u32 s8, s4, s9
	s_add_i32 s4, s4, s8
	s_mul_hi_u32 s4, s7, s4
	s_mul_i32 s8, s4, s5
	s_sub_i32 s7, s7, s8
	s_add_i32 s9, s4, 1
	s_sub_i32 s8, s7, s5
	s_cmp_ge_u32 s7, s5
	s_cselect_b32 s4, s9, s4
	s_cselect_b32 s7, s8, s7
	s_add_i32 s8, s4, 1
	s_cmp_ge_u32 s7, s5
	s_cselect_b32 s4, s8, s4
	s_xor_b32 s4, s4, s6
	s_sub_i32 s35, s4, s6
	s_abs_i32 s34, s35
	v_cvt_f32_u32_e32 v1, s34
	s_load_dwordx16 s[8:23], s[0:1], 0x0
	s_load_dwordx2 s[4:5], s[0:1], 0xb8
	v_rcp_iflag_f32_e32 v1, v1
	s_waitcnt lgkmcnt(0)
	s_cmp_eq_u64 s[14:15], 0
	v_mul_f32_e32 v1, 0x4f7ffffe, v1
	v_cvt_u32_f32_e32 v1, v1
	s_nop 0
	v_readfirstlane_b32 s36, v1
	s_cbranch_scc1 .LBB9_2
; %bb.1:
	s_abs_i32 s4, s4
	v_cvt_f32_u32_e32 v1, s4
	s_sub_i32 s37, 0, s4
	s_abs_i32 s31, s33
	s_ashr_i32 s30, s33, 31
	v_rcp_iflag_f32_e32 v1, v1
	s_load_dwordx2 s[6:7], s[0:1], 0xc8
	v_mul_f32_e32 v1, 0x4f7ffffe, v1
	v_cvt_u32_f32_e32 v1, v1
	s_nop 0
	v_readfirstlane_b32 s38, v1
	s_mul_i32 s37, s37, s38
	s_mul_hi_u32 s37, s38, s37
	s_add_i32 s38, s38, s37
	s_mul_hi_u32 s37, s31, s38
	s_mul_i32 s37, s37, s4
	s_sub_i32 s31, s31, s37
	s_sub_i32 s37, s31, s4
	s_cmp_ge_u32 s31, s4
	s_cselect_b32 s31, s37, s31
	s_sub_i32 s37, s31, s4
	s_cmp_ge_u32 s31, s4
	s_cselect_b32 s4, s37, s31
	s_xor_b32 s4, s4, s30
	s_sub_i32 s4, s4, s30
	s_ashr_i32 s30, s4, 31
	s_waitcnt lgkmcnt(0)
	s_mul_hi_u32 s31, s6, s4
	s_mul_i32 s30, s6, s30
	s_mul_i32 s7, s7, s4
	s_add_i32 s30, s31, s30
	s_add_i32 s7, s30, s7
	s_mul_i32 s4, s6, s4
	s_add_u32 s30, s14, s4
	s_addc_u32 s31, s15, s7
.LBB9_2:
	s_load_dwordx4 s[40:43], s[0:1], 0x70
	v_lshrrev_b32_e32 v2, 10, v0
	v_bfe_u32 v2, v2, 2, 8
	v_lshl_add_u32 v9, s2, 1, v2
	v_mul_hi_u32 v2, s24, v9
	s_waitcnt lgkmcnt(0)
	s_mul_i32 s4, s33, s42
	s_ashr_i32 s7, s4, 31
	s_mul_i32 s6, s29, s41
	s_add_u32 s4, s8, s4
	s_addc_u32 s7, s9, s7
	s_ashr_i32 s8, s6, 31
	v_add_u32_e32 v2, v9, v2
	s_add_u32 s6, s4, s6
	v_lshrrev_b32_e32 v2, s25, v2
	s_addc_u32 s7, s7, s8
	s_ashr_i32 s9, s41, 31
	s_mov_b32 s8, s41
	v_mul_lo_u32 v2, v2, s26
	s_ashr_i32 s41, s40, 31
	v_sub_u32_e32 v2, v9, v2
	s_lshr_b64 s[24:25], s[40:41], 2
	v_mad_u64_u32 v[4:5], s[24:25], s24, v2, 0
	v_mov_b32_e32 v6, v5
	s_lshr_b32 s4, s41, 2
	v_bfe_u32 v1, v0, 10, 10
	v_mad_u64_u32 v[6:7], s[24:25], s4, v2, v[6:7]
	v_lshlrev_b32_e32 v3, 1, v1
	v_mov_b32_e32 v5, v6
	v_and_b32_e32 v8, 0x3ff, v0
	s_lshr_b64 s[14:15], s[8:9], 2
	v_lshl_add_u64 v[4:5], v[4:5], 2, s[6:7]
	v_lshlrev_b32_e32 v6, 4, v8
	v_mov_b32_e32 v7, 0
	v_and_b32_e32 v32, 6, v3
	v_lshl_add_u64 v[10:11], v[4:5], 0, v[6:7]
	v_mad_u64_u32 v[4:5], s[6:7], s14, v32, 0
	v_bitop3_b32 v14, v3, 7, 1 bitop3:0xc8
	v_mov_b32_e32 v0, v5
	s_lshr_b32 s4, s9, 2
	v_mad_u64_u32 v[12:13], s[6:7], s14, v14, 0
	v_mad_u64_u32 v[6:7], s[6:7], s4, v32, v[0:1]
	v_mov_b32_e32 v0, v13
	v_mov_b32_e32 v5, v6
	v_mad_u64_u32 v[14:15], s[6:7], s4, v14, v[0:1]
	v_lshl_add_u64 v[4:5], v[4:5], 2, v[10:11]
	v_mov_b32_e32 v13, v14
	global_load_dwordx4 v[4:7], v[4:5], off
	v_lshl_add_u64 v[10:11], v[12:13], 2, v[10:11]
	global_load_dwordx4 v[10:13], v[10:11], off
	s_load_dword s4, s[0:1], 0x40
	v_lshlrev_b32_e32 v34, 3, v8
	v_lshlrev_b32_e32 v0, 9, v1
	v_add_u32_e32 v14, 0x4400, v34
	v_or_b32_e32 v15, 1, v3
	v_add_u32_e32 v16, v14, v0
	s_cmp_eq_u64 s[18:19], 0
	v_lshl_add_u32 v14, v15, 8, v14
	s_waitcnt vmcnt(1) lgkmcnt(0)
	v_fma_mixlo_f16 v4, s4, v4, 0
	v_fma_mixlo_f16 v5, s4, v5, 0
	;; [unrolled: 1-line block ×4, first 2 shown]
	s_waitcnt vmcnt(0)
	v_fma_mixlo_f16 v10, s4, v10, 0
	v_fma_mixlo_f16 v11, s4, v11, 0
	v_lshlrev_b32_e32 v5, 16, v5
	v_and_b32_e32 v4, 0xffff, v4
	v_fma_mixlo_f16 v12, s4, v12, 0
	v_fma_mixlo_f16 v13, s4, v13, 0
	v_lshlrev_b32_e32 v7, 16, v7
	v_and_b32_e32 v6, 0xffff, v6
	v_lshlrev_b32_e32 v11, 16, v11
	v_and_b32_e32 v10, 0xffff, v10
	v_or_b32_e32 v4, v5, v4
	v_lshlrev_b32_e32 v13, 16, v13
	v_and_b32_e32 v12, 0xffff, v12
	v_or3_b32 v5, v7, v6, 0
	v_or_b32_e32 v6, v11, v10
	v_or3_b32 v4, 0, 0, v4
	v_or3_b32 v7, v13, v12, 0
	;; [unrolled: 1-line block ×3, first 2 shown]
	ds_write_b64 v16, v[4:5]
	ds_write_b64 v14, v[6:7]
	s_waitcnt lgkmcnt(0)
	s_barrier
	s_cbranch_scc1 .LBB9_4
; %bb.3:
	s_load_dword s4, s[0:1], 0xd0
	s_mov_b32 s7, 0
	s_waitcnt lgkmcnt(0)
	s_mul_i32 s4, s4, s33
	s_add_i32 s6, s4, s2
	s_lshl_b64 s[6:7], s[6:7], 2
	s_add_u32 s6, s18, s6
	s_addc_u32 s7, s19, s7
	s_load_dword s28, s[6:7], 0x0
.LBB9_4:
	s_lshl_b32 s2, s3, 6
	s_waitcnt lgkmcnt(0)
	s_cmp_lt_i32 s2, s28
	v_mbcnt_lo_u32_b32 v5, -1, 0
	s_cbranch_scc1 .LBB9_7
; %bb.5:
	v_mbcnt_hi_u32_b32 v23, -1, v5
	v_and_b32_e32 v4, 0x60, v23
	v_add_u32_e32 v35, 32, v4
	v_xor_b32_e32 v40, 16, v23
	v_xor_b32_e32 v39, 8, v23
	;; [unrolled: 1-line block ×5, first 2 shown]
	v_lshlrev_b32_e32 v33, 2, v8
	s_cbranch_execz .LBB9_8
; %bb.6:
	v_mov_b32_e32 v15, 0
	v_mov_b32_e32 v5, 0xfeffffff
	;; [unrolled: 1-line block ×8, first 2 shown]
	s_branch .LBB9_10
.LBB9_7:
                                        ; implicit-def: $vgpr23
                                        ; implicit-def: $vgpr35
                                        ; implicit-def: $vgpr40
                                        ; implicit-def: $vgpr39
                                        ; implicit-def: $vgpr38
                                        ; implicit-def: $vgpr37
                                        ; implicit-def: $vgpr36
	v_lshlrev_b32_e32 v33, 2, v8
.LBB9_8:
	s_sub_i32 s4, 0, s34
	s_mul_i32 s4, s4, s36
	s_mul_hi_u32 s4, s36, s4
	s_add_i32 s4, s36, s4
	s_load_dwordx2 s[6:7], s[0:1], 0x8c
	s_load_dwordx4 s[36:39], s[0:1], 0x98
	s_ashr_i32 s24, s35, 31
	s_abs_i32 s14, s29
	s_ashr_i32 s15, s29, 31
	s_waitcnt lgkmcnt(0)
	s_ashr_i32 s19, s6, 2
	s_ashr_i32 s6, s33, 31
	s_mul_hi_u32 s25, s36, s33
	s_mul_i32 s35, s36, s6
	s_add_i32 s25, s25, s35
	s_mul_i32 s35, s37, s33
	s_ashr_i32 s18, s38, 2
	s_ashr_i32 s5, s5, 1
	s_add_i32 s25, s25, s35
	s_mul_i32 s35, s36, s33
	s_mul_hi_u32 s4, s14, s4
	s_add_u32 s10, s10, s35
	s_addc_u32 s11, s11, s25
	s_xor_b32 s15, s15, s24
	s_mul_i32 s24, s4, s34
	s_sub_i32 s14, s14, s24
	s_add_i32 s24, s4, 1
	s_sub_i32 s25, s14, s34
	s_cmp_ge_u32 s14, s34
	s_cselect_b32 s4, s24, s4
	s_cselect_b32 s14, s25, s14
	s_add_i32 s24, s4, 1
	s_cmp_ge_u32 s14, s34
	s_load_dwordx2 s[8:9], s[0:1], 0xa8
	s_cselect_b32 s4, s24, s4
	s_xor_b32 s4, s4, s15
	s_sub_i32 s4, s4, s15
	s_mul_i32 s7, s4, s7
	s_ashr_i32 s14, s7, 31
	s_add_u32 s24, s10, s7
	s_waitcnt lgkmcnt(0)
	s_mul_hi_u32 s7, s8, s33
	s_mul_i32 s6, s8, s6
	s_addc_u32 s25, s11, s14
	s_add_i32 s6, s7, s6
	s_mul_i32 s7, s9, s33
	s_add_i32 s6, s6, s7
	s_mul_i32 s7, s8, s33
	s_add_u32 s7, s12, s7
	s_mul_i32 s4, s4, s39
	s_addc_u32 s6, s13, s6
	s_ashr_i32 s8, s4, 31
	v_lshrrev_b32_e32 v4, 4, v8
	v_and_b32_e32 v6, 60, v33
	s_add_u32 s34, s7, s4
	v_add_u32_e32 v3, v4, v3
	v_lshlrev_b32_e32 v4, 2, v6
	s_movk_i32 s4, 0x110
	s_addc_u32 s35, s6, s8
	v_mad_u32_u24 v41, v3, s4, v4
	v_mul_lo_u32 v12, s19, v3
	s_lshl_b32 s4, s19, 4
	v_add_u32_e32 v16, s4, v12
	v_add_u32_e32 v18, s4, v16
	;; [unrolled: 1-line block ×3, first 2 shown]
	v_mad_u64_u32 v[22:23], s[4:5], v2, s5, v[8:9]
	v_mul_lo_u32 v24, s18, v3
	s_lshl_b32 s4, s18, 4
	v_add_u32_e32 v26, s4, v24
	v_add_u32_e32 v45, 0x4400, v0
	v_mov_b32_e32 v0, 0x5400
	v_add_u32_e32 v28, s4, v26
	v_mbcnt_hi_u32_b32 v23, -1, v5
	v_mov_b32_e32 v11, 0
	v_lshl_add_u32 v47, v1, 8, v0
	v_lshl_or_b32 v48, v3, 8, v4
	v_add_u32_e32 v30, s4, v28
	s_add_u32 s14, s0, 0xd0
	v_mov_b32_e32 v4, 0xfeffffff
	v_and_b32_e32 v0, 0x60, v23
	v_ashrrev_i32_e32 v13, 31, v12
	v_add_u32_e32 v42, 0x1100, v41
	v_ashrrev_i32_e32 v17, 31, v16
	v_add_u32_e32 v43, 0x2200, v41
	;; [unrolled: 2-line block ×3, first 2 shown]
	v_ashrrev_i32_e32 v21, 31, v20
	v_mul_u32_u24_e32 v46, 0x110, v8
	v_ashrrev_i32_e32 v25, 31, v24
	v_add_u32_e32 v49, 0x1000, v48
	v_ashrrev_i32_e32 v27, 31, v26
	v_add_u32_e32 v50, 0x2000, v48
	;; [unrolled: 2-line block ×3, first 2 shown]
	v_ashrrev_i32_e32 v31, 31, v30
	s_addc_u32 s15, s1, 0
	v_lshlrev_b32_e32 v10, 2, v6
	v_add_u32_e32 v35, 32, v0
	v_xor_b32_e32 v40, 16, v23
	v_xor_b32_e32 v39, 8, v23
	v_xor_b32_e32 v38, 4, v23
	v_xor_b32_e32 v37, 2, v23
	v_xor_b32_e32 v36, 1, v23
	s_mov_b32 s36, 0x3fb8aa3b
	s_mov_b32 s37, 0xc2ce8ed0
	;; [unrolled: 1-line block ×3, first 2 shown]
	v_mov_b32_e32 v52, 0x7f800000
	s_mov_b32 s39, 0x10001
	v_add_u32_e32 v53, v47, v33
	v_add_u32_e32 v54, 0x800, v34
	;; [unrolled: 1-line block ×8, first 2 shown]
	v_mov_b32_e32 v62, v11
	v_mov_b32_e32 v61, v11
	;; [unrolled: 1-line block ×7, first 2 shown]
.LBB9_9:                                ; =>This Inner Loop Header: Depth=1
	s_mul_hi_i32 s5, s2, s19
	s_mul_i32 s4, s2, s19
	s_lshl_b64 s[4:5], s[4:5], 2
	s_add_u32 s4, s24, s4
	s_addc_u32 s5, s25, s5
	v_lshl_add_u64 v[0:1], v[12:13], 2, s[4:5]
	v_mov_b32_e32 v65, v5
	v_mov_b32_e32 v66, v4
	v_lshl_add_u64 v[2:3], v[16:17], 2, s[4:5]
	v_lshl_add_u64 v[4:5], v[18:19], 2, s[4:5]
	;; [unrolled: 1-line block ×7, first 2 shown]
	global_load_dwordx4 v[0:3], v[80:81], off
	global_load_dwordx4 v[4:7], v[82:83], off
	;; [unrolled: 1-line block ×4, first 2 shown]
	v_mov_b32_e32 v68, 0
	v_mov_b32_e32 v67, 0
	;; [unrolled: 1-line block ×4, first 2 shown]
	v_cmp_lt_i32_e32 vcc, v40, v35
	s_mul_hi_i32 s5, s2, s18
	s_mul_i32 s4, s2, s18
	v_cndmask_b32_e32 v71, v23, v40, vcc
	v_cmp_lt_i32_e32 vcc, v39, v35
	v_lshlrev_b32_e32 v71, 2, v71
	s_lshl_b64 s[4:5], s[4:5], 2
	s_add_u32 s4, s34, s4
	s_addc_u32 s5, s35, s5
	s_waitcnt vmcnt(3)
	ds_write_b128 v41, v[0:3]
	s_waitcnt vmcnt(2)
	ds_write_b128 v42, v[4:7]
	;; [unrolled: 2-line block ×4, first 2 shown]
	s_waitcnt lgkmcnt(0)
	s_barrier
	ds_read_b128 v[0:3], v45
	ds_read_b128 v[4:7], v46
	ds_read_b128 v[72:75], v46 offset:8704
	ds_read_b128 v[76:79], v45 offset:256
	s_waitcnt lgkmcnt(2)
	;;#ASMSTART
	v_dot2_f32_f16 v68, v4, v0, v68
	;;#ASMEND
	s_nop 0
	;;#ASMSTART
	v_dot2_f32_f16 v68, v5, v1, v68
	;;#ASMEND
	s_nop 0
	;;#ASMSTART
	v_dot2_f32_f16 v68, v6, v2, v68
	;;#ASMEND
	s_nop 0
	;;#ASMSTART
	v_dot2_f32_f16 v68, v7, v3, v68
	;;#ASMEND
	s_waitcnt lgkmcnt(0)
	;;#ASMSTART
	v_dot2_f32_f16 v67, v4, v76, v67
	;;#ASMEND
	s_nop 0
	;;#ASMSTART
	v_dot2_f32_f16 v67, v5, v77, v67
	;;#ASMEND
	s_nop 0
	;;#ASMSTART
	v_dot2_f32_f16 v67, v6, v78, v67
	;;#ASMEND
	s_nop 0
	;;#ASMSTART
	v_dot2_f32_f16 v67, v7, v79, v67
	;;#ASMEND
	;;#ASMSTART
	v_dot2_f32_f16 v70, v72, v0, v70
	;;#ASMEND
	s_nop 0
	;;#ASMSTART
	v_dot2_f32_f16 v70, v73, v1, v70
	;;#ASMEND
	s_nop 0
	;;#ASMSTART
	v_dot2_f32_f16 v70, v74, v2, v70
	;;#ASMEND
	s_nop 0
	;;#ASMSTART
	v_dot2_f32_f16 v70, v75, v3, v70
	;;#ASMEND
	;; [unrolled: 15-line block ×3, first 2 shown]
	ds_read_b128 v[0:3], v45 offset:16
	ds_read_b128 v[4:7], v46 offset:16
	;; [unrolled: 1-line block ×4, first 2 shown]
	s_waitcnt lgkmcnt(2)
	;;#ASMSTART
	v_dot2_f32_f16 v68, v4, v0, v68
	;;#ASMEND
	s_nop 0
	;;#ASMSTART
	v_dot2_f32_f16 v68, v5, v1, v68
	;;#ASMEND
	s_nop 0
	;;#ASMSTART
	v_dot2_f32_f16 v68, v6, v2, v68
	;;#ASMEND
	s_nop 0
	;;#ASMSTART
	v_dot2_f32_f16 v68, v7, v3, v68
	;;#ASMEND
	s_waitcnt lgkmcnt(0)
	;;#ASMSTART
	v_dot2_f32_f16 v67, v4, v76, v67
	;;#ASMEND
	s_nop 0
	;;#ASMSTART
	v_dot2_f32_f16 v67, v5, v77, v67
	;;#ASMEND
	s_nop 0
	;;#ASMSTART
	v_dot2_f32_f16 v67, v6, v78, v67
	;;#ASMEND
	s_nop 0
	;;#ASMSTART
	v_dot2_f32_f16 v67, v7, v79, v67
	;;#ASMEND
	;;#ASMSTART
	v_dot2_f32_f16 v70, v72, v0, v70
	;;#ASMEND
	s_nop 0
	;;#ASMSTART
	v_dot2_f32_f16 v70, v73, v1, v70
	;;#ASMEND
	s_nop 0
	;;#ASMSTART
	v_dot2_f32_f16 v70, v74, v2, v70
	;;#ASMEND
	s_nop 0
	;;#ASMSTART
	v_dot2_f32_f16 v70, v75, v3, v70
	;;#ASMEND
	;; [unrolled: 15-line block ×3, first 2 shown]
	ds_read_b128 v[0:3], v45 offset:32
	ds_read_b128 v[4:7], v46 offset:32
	;; [unrolled: 1-line block ×4, first 2 shown]
	s_waitcnt lgkmcnt(2)
	;;#ASMSTART
	v_dot2_f32_f16 v68, v4, v0, v68
	;;#ASMEND
	s_nop 0
	;;#ASMSTART
	v_dot2_f32_f16 v68, v5, v1, v68
	;;#ASMEND
	s_nop 0
	;; [unrolled: 4-line block ×3, first 2 shown]
	;;#ASMSTART
	v_dot2_f32_f16 v68, v7, v3, v68
	;;#ASMEND
	s_waitcnt lgkmcnt(0)
	;;#ASMSTART
	v_dot2_f32_f16 v67, v4, v76, v67
	;;#ASMEND
	s_nop 0
	;;#ASMSTART
	v_dot2_f32_f16 v67, v5, v77, v67
	;;#ASMEND
	s_nop 0
	;;#ASMSTART
	v_dot2_f32_f16 v67, v6, v78, v67
	;;#ASMEND
	s_nop 0
	;;#ASMSTART
	v_dot2_f32_f16 v67, v7, v79, v67
	;;#ASMEND
	;;#ASMSTART
	v_dot2_f32_f16 v70, v72, v0, v70
	;;#ASMEND
	s_nop 0
	;;#ASMSTART
	v_dot2_f32_f16 v70, v73, v1, v70
	;;#ASMEND
	s_nop 0
	;;#ASMSTART
	v_dot2_f32_f16 v70, v74, v2, v70
	;;#ASMEND
	s_nop 0
	;;#ASMSTART
	v_dot2_f32_f16 v70, v75, v3, v70
	;;#ASMEND
	;; [unrolled: 15-line block ×3, first 2 shown]
	ds_read_b128 v[0:3], v45 offset:48
	ds_read_b128 v[4:7], v46 offset:48
	;; [unrolled: 1-line block ×4, first 2 shown]
	s_waitcnt lgkmcnt(2)
	;;#ASMSTART
	v_dot2_f32_f16 v68, v4, v0, v68
	;;#ASMEND
	s_nop 0
	;;#ASMSTART
	v_dot2_f32_f16 v68, v5, v1, v68
	;;#ASMEND
	s_nop 0
	;; [unrolled: 4-line block ×3, first 2 shown]
	;;#ASMSTART
	v_dot2_f32_f16 v68, v7, v3, v68
	;;#ASMEND
	s_waitcnt lgkmcnt(0)
	;;#ASMSTART
	v_dot2_f32_f16 v67, v4, v76, v67
	;;#ASMEND
	s_nop 0
	;;#ASMSTART
	v_dot2_f32_f16 v67, v5, v77, v67
	;;#ASMEND
	s_nop 0
	;;#ASMSTART
	v_dot2_f32_f16 v67, v6, v78, v67
	;;#ASMEND
	s_nop 0
	;;#ASMSTART
	v_dot2_f32_f16 v67, v7, v79, v67
	;;#ASMEND
	;;#ASMSTART
	v_dot2_f32_f16 v70, v72, v0, v70
	;;#ASMEND
	s_nop 0
	;;#ASMSTART
	v_dot2_f32_f16 v70, v73, v1, v70
	;;#ASMEND
	s_nop 0
	;;#ASMSTART
	v_dot2_f32_f16 v70, v74, v2, v70
	;;#ASMEND
	s_nop 0
	;;#ASMSTART
	v_dot2_f32_f16 v70, v75, v3, v70
	;;#ASMEND
	;; [unrolled: 15-line block ×3, first 2 shown]
	ds_read_b128 v[0:3], v45 offset:64
	ds_read_b128 v[4:7], v46 offset:64
	;; [unrolled: 1-line block ×4, first 2 shown]
	s_waitcnt lgkmcnt(2)
	;;#ASMSTART
	v_dot2_f32_f16 v68, v4, v0, v68
	;;#ASMEND
	s_nop 0
	;;#ASMSTART
	v_dot2_f32_f16 v68, v5, v1, v68
	;;#ASMEND
	s_nop 0
	;; [unrolled: 4-line block ×3, first 2 shown]
	;;#ASMSTART
	v_dot2_f32_f16 v68, v7, v3, v68
	;;#ASMEND
	s_waitcnt lgkmcnt(0)
	;;#ASMSTART
	v_dot2_f32_f16 v67, v4, v76, v67
	;;#ASMEND
	s_nop 0
	;;#ASMSTART
	v_dot2_f32_f16 v67, v5, v77, v67
	;;#ASMEND
	s_nop 0
	;;#ASMSTART
	v_dot2_f32_f16 v67, v6, v78, v67
	;;#ASMEND
	s_nop 0
	;;#ASMSTART
	v_dot2_f32_f16 v67, v7, v79, v67
	;;#ASMEND
	;;#ASMSTART
	v_dot2_f32_f16 v70, v72, v0, v70
	;;#ASMEND
	s_nop 0
	;;#ASMSTART
	v_dot2_f32_f16 v70, v73, v1, v70
	;;#ASMEND
	s_nop 0
	;;#ASMSTART
	v_dot2_f32_f16 v70, v74, v2, v70
	;;#ASMEND
	s_nop 0
	;;#ASMSTART
	v_dot2_f32_f16 v70, v75, v3, v70
	;;#ASMEND
	;; [unrolled: 15-line block ×3, first 2 shown]
	ds_read_b128 v[0:3], v45 offset:80
	ds_read_b128 v[4:7], v46 offset:80
	ds_read_b128 v[72:75], v46 offset:8784
	ds_read_b128 v[76:79], v45 offset:336
	s_waitcnt lgkmcnt(2)
	;;#ASMSTART
	v_dot2_f32_f16 v68, v4, v0, v68
	;;#ASMEND
	s_nop 0
	;;#ASMSTART
	v_dot2_f32_f16 v68, v5, v1, v68
	;;#ASMEND
	s_nop 0
	;; [unrolled: 4-line block ×3, first 2 shown]
	;;#ASMSTART
	v_dot2_f32_f16 v68, v7, v3, v68
	;;#ASMEND
	s_waitcnt lgkmcnt(0)
	;;#ASMSTART
	v_dot2_f32_f16 v67, v4, v76, v67
	;;#ASMEND
	s_nop 0
	;;#ASMSTART
	v_dot2_f32_f16 v67, v5, v77, v67
	;;#ASMEND
	s_nop 0
	;;#ASMSTART
	v_dot2_f32_f16 v67, v6, v78, v67
	;;#ASMEND
	s_nop 0
	;;#ASMSTART
	v_dot2_f32_f16 v67, v7, v79, v67
	;;#ASMEND
	;;#ASMSTART
	v_dot2_f32_f16 v70, v72, v0, v70
	;;#ASMEND
	s_nop 0
	;;#ASMSTART
	v_dot2_f32_f16 v70, v73, v1, v70
	;;#ASMEND
	s_nop 0
	;;#ASMSTART
	v_dot2_f32_f16 v70, v74, v2, v70
	;;#ASMEND
	s_nop 0
	;;#ASMSTART
	v_dot2_f32_f16 v70, v75, v3, v70
	;;#ASMEND
	;; [unrolled: 15-line block ×3, first 2 shown]
	ds_read_b128 v[0:3], v45 offset:96
	ds_read_b128 v[4:7], v46 offset:96
	;; [unrolled: 1-line block ×4, first 2 shown]
	s_waitcnt lgkmcnt(2)
	;;#ASMSTART
	v_dot2_f32_f16 v68, v4, v0, v68
	;;#ASMEND
	s_nop 0
	;;#ASMSTART
	v_dot2_f32_f16 v68, v5, v1, v68
	;;#ASMEND
	s_nop 0
	;; [unrolled: 4-line block ×3, first 2 shown]
	;;#ASMSTART
	v_dot2_f32_f16 v68, v7, v3, v68
	;;#ASMEND
	s_waitcnt lgkmcnt(0)
	;;#ASMSTART
	v_dot2_f32_f16 v67, v4, v76, v67
	;;#ASMEND
	s_nop 0
	;;#ASMSTART
	v_dot2_f32_f16 v67, v5, v77, v67
	;;#ASMEND
	s_nop 0
	;;#ASMSTART
	v_dot2_f32_f16 v67, v6, v78, v67
	;;#ASMEND
	s_nop 0
	;;#ASMSTART
	v_dot2_f32_f16 v67, v7, v79, v67
	;;#ASMEND
	;;#ASMSTART
	v_dot2_f32_f16 v70, v72, v0, v70
	;;#ASMEND
	s_nop 0
	;;#ASMSTART
	v_dot2_f32_f16 v70, v73, v1, v70
	;;#ASMEND
	s_nop 0
	;;#ASMSTART
	v_dot2_f32_f16 v70, v74, v2, v70
	;;#ASMEND
	s_nop 0
	;;#ASMSTART
	v_dot2_f32_f16 v70, v75, v3, v70
	;;#ASMEND
	;;#ASMSTART
	v_dot2_f32_f16 v69, v72, v76, v69
	;;#ASMEND
	s_nop 0
	;;#ASMSTART
	v_dot2_f32_f16 v69, v73, v77, v69
	;;#ASMEND
	s_nop 0
	;;#ASMSTART
	v_dot2_f32_f16 v69, v74, v78, v69
	;;#ASMEND
	s_nop 0
	;;#ASMSTART
	v_dot2_f32_f16 v69, v75, v79, v69
	;;#ASMEND
	ds_read_b128 v[0:3], v45 offset:112
	ds_read_b128 v[4:7], v46 offset:112
	;; [unrolled: 1-line block ×4, first 2 shown]
	s_waitcnt lgkmcnt(2)
	;;#ASMSTART
	v_dot2_f32_f16 v68, v4, v0, v68
	;;#ASMEND
	s_nop 0
	;;#ASMSTART
	v_dot2_f32_f16 v68, v5, v1, v68
	;;#ASMEND
	s_nop 0
	;; [unrolled: 4-line block ×3, first 2 shown]
	;;#ASMSTART
	v_dot2_f32_f16 v68, v7, v3, v68
	;;#ASMEND
	s_waitcnt lgkmcnt(0)
	;;#ASMSTART
	v_dot2_f32_f16 v67, v4, v76, v67
	;;#ASMEND
	s_nop 0
	;;#ASMSTART
	v_dot2_f32_f16 v67, v5, v77, v67
	;;#ASMEND
	s_nop 0
	;;#ASMSTART
	v_dot2_f32_f16 v67, v6, v78, v67
	;;#ASMEND
	s_nop 0
	;;#ASMSTART
	v_dot2_f32_f16 v67, v7, v79, v67
	;;#ASMEND
	;;#ASMSTART
	v_dot2_f32_f16 v70, v72, v0, v70
	;;#ASMEND
	s_nop 0
	;;#ASMSTART
	v_dot2_f32_f16 v70, v73, v1, v70
	;;#ASMEND
	s_nop 0
	;;#ASMSTART
	v_dot2_f32_f16 v70, v74, v2, v70
	;;#ASMEND
	s_nop 0
	;;#ASMSTART
	v_dot2_f32_f16 v70, v75, v3, v70
	;;#ASMEND
	;;#ASMSTART
	v_dot2_f32_f16 v69, v72, v76, v69
	;;#ASMEND
	s_nop 0
	;;#ASMSTART
	v_dot2_f32_f16 v69, v73, v77, v69
	;;#ASMEND
	s_nop 0
	;;#ASMSTART
	v_dot2_f32_f16 v69, v74, v78, v69
	;;#ASMEND
	s_nop 0
	;;#ASMSTART
	v_dot2_f32_f16 v69, v75, v79, v69
	;;#ASMEND
	ds_read_b128 v[0:3], v45 offset:128
	ds_read_b128 v[4:7], v46 offset:128
	;; [unrolled: 1-line block ×4, first 2 shown]
	s_waitcnt lgkmcnt(2)
	;;#ASMSTART
	v_dot2_f32_f16 v68, v4, v0, v68
	;;#ASMEND
	s_nop 0
	;;#ASMSTART
	v_dot2_f32_f16 v68, v5, v1, v68
	;;#ASMEND
	s_nop 0
	;; [unrolled: 4-line block ×3, first 2 shown]
	;;#ASMSTART
	v_dot2_f32_f16 v68, v7, v3, v68
	;;#ASMEND
	s_waitcnt lgkmcnt(0)
	;;#ASMSTART
	v_dot2_f32_f16 v67, v4, v76, v67
	;;#ASMEND
	s_nop 0
	;;#ASMSTART
	v_dot2_f32_f16 v67, v5, v77, v67
	;;#ASMEND
	s_nop 0
	;;#ASMSTART
	v_dot2_f32_f16 v67, v6, v78, v67
	;;#ASMEND
	s_nop 0
	;;#ASMSTART
	v_dot2_f32_f16 v67, v7, v79, v67
	;;#ASMEND
	;;#ASMSTART
	v_dot2_f32_f16 v70, v72, v0, v70
	;;#ASMEND
	s_nop 0
	;;#ASMSTART
	v_dot2_f32_f16 v70, v73, v1, v70
	;;#ASMEND
	s_nop 0
	;;#ASMSTART
	v_dot2_f32_f16 v70, v74, v2, v70
	;;#ASMEND
	s_nop 0
	;;#ASMSTART
	v_dot2_f32_f16 v70, v75, v3, v70
	;;#ASMEND
	;; [unrolled: 15-line block ×3, first 2 shown]
	ds_read_b128 v[0:3], v45 offset:144
	ds_read_b128 v[4:7], v46 offset:144
	;; [unrolled: 1-line block ×4, first 2 shown]
	s_waitcnt lgkmcnt(2)
	;;#ASMSTART
	v_dot2_f32_f16 v68, v4, v0, v68
	;;#ASMEND
	s_nop 0
	;;#ASMSTART
	v_dot2_f32_f16 v68, v5, v1, v68
	;;#ASMEND
	s_nop 0
	;; [unrolled: 4-line block ×3, first 2 shown]
	;;#ASMSTART
	v_dot2_f32_f16 v68, v7, v3, v68
	;;#ASMEND
	s_waitcnt lgkmcnt(0)
	;;#ASMSTART
	v_dot2_f32_f16 v67, v4, v76, v67
	;;#ASMEND
	s_nop 0
	;;#ASMSTART
	v_dot2_f32_f16 v67, v5, v77, v67
	;;#ASMEND
	s_nop 0
	;;#ASMSTART
	v_dot2_f32_f16 v67, v6, v78, v67
	;;#ASMEND
	s_nop 0
	;;#ASMSTART
	v_dot2_f32_f16 v67, v7, v79, v67
	;;#ASMEND
	;;#ASMSTART
	v_dot2_f32_f16 v70, v72, v0, v70
	;;#ASMEND
	s_nop 0
	;;#ASMSTART
	v_dot2_f32_f16 v70, v73, v1, v70
	;;#ASMEND
	s_nop 0
	;;#ASMSTART
	v_dot2_f32_f16 v70, v74, v2, v70
	;;#ASMEND
	s_nop 0
	;;#ASMSTART
	v_dot2_f32_f16 v70, v75, v3, v70
	;;#ASMEND
	;; [unrolled: 15-line block ×3, first 2 shown]
	ds_read_b128 v[0:3], v45 offset:160
	ds_read_b128 v[4:7], v46 offset:160
	;; [unrolled: 1-line block ×4, first 2 shown]
	s_waitcnt lgkmcnt(2)
	;;#ASMSTART
	v_dot2_f32_f16 v68, v4, v0, v68
	;;#ASMEND
	s_nop 0
	;;#ASMSTART
	v_dot2_f32_f16 v68, v5, v1, v68
	;;#ASMEND
	s_nop 0
	;; [unrolled: 4-line block ×3, first 2 shown]
	;;#ASMSTART
	v_dot2_f32_f16 v68, v7, v3, v68
	;;#ASMEND
	s_waitcnt lgkmcnt(0)
	;;#ASMSTART
	v_dot2_f32_f16 v67, v4, v76, v67
	;;#ASMEND
	s_nop 0
	;;#ASMSTART
	v_dot2_f32_f16 v67, v5, v77, v67
	;;#ASMEND
	s_nop 0
	;;#ASMSTART
	v_dot2_f32_f16 v67, v6, v78, v67
	;;#ASMEND
	s_nop 0
	;;#ASMSTART
	v_dot2_f32_f16 v67, v7, v79, v67
	;;#ASMEND
	;;#ASMSTART
	v_dot2_f32_f16 v70, v72, v0, v70
	;;#ASMEND
	s_nop 0
	;;#ASMSTART
	v_dot2_f32_f16 v70, v73, v1, v70
	;;#ASMEND
	s_nop 0
	;;#ASMSTART
	v_dot2_f32_f16 v70, v74, v2, v70
	;;#ASMEND
	s_nop 0
	;;#ASMSTART
	v_dot2_f32_f16 v70, v75, v3, v70
	;;#ASMEND
	;; [unrolled: 15-line block ×3, first 2 shown]
	ds_read_b128 v[0:3], v45 offset:176
	ds_read_b128 v[4:7], v46 offset:176
	;; [unrolled: 1-line block ×4, first 2 shown]
	s_waitcnt lgkmcnt(2)
	;;#ASMSTART
	v_dot2_f32_f16 v68, v4, v0, v68
	;;#ASMEND
	s_nop 0
	;;#ASMSTART
	v_dot2_f32_f16 v68, v5, v1, v68
	;;#ASMEND
	s_nop 0
	;; [unrolled: 4-line block ×3, first 2 shown]
	;;#ASMSTART
	v_dot2_f32_f16 v68, v7, v3, v68
	;;#ASMEND
	s_waitcnt lgkmcnt(0)
	;;#ASMSTART
	v_dot2_f32_f16 v67, v4, v76, v67
	;;#ASMEND
	s_nop 0
	;;#ASMSTART
	v_dot2_f32_f16 v67, v5, v77, v67
	;;#ASMEND
	s_nop 0
	;;#ASMSTART
	v_dot2_f32_f16 v67, v6, v78, v67
	;;#ASMEND
	s_nop 0
	;;#ASMSTART
	v_dot2_f32_f16 v67, v7, v79, v67
	;;#ASMEND
	;;#ASMSTART
	v_dot2_f32_f16 v70, v72, v0, v70
	;;#ASMEND
	s_nop 0
	;;#ASMSTART
	v_dot2_f32_f16 v70, v73, v1, v70
	;;#ASMEND
	s_nop 0
	;;#ASMSTART
	v_dot2_f32_f16 v70, v74, v2, v70
	;;#ASMEND
	s_nop 0
	;;#ASMSTART
	v_dot2_f32_f16 v70, v75, v3, v70
	;;#ASMEND
	;; [unrolled: 15-line block ×3, first 2 shown]
	ds_read_b128 v[0:3], v45 offset:192
	ds_read_b128 v[4:7], v46 offset:192
	ds_read_b128 v[72:75], v46 offset:8896
	ds_read_b128 v[76:79], v45 offset:448
	s_waitcnt lgkmcnt(2)
	;;#ASMSTART
	v_dot2_f32_f16 v68, v4, v0, v68
	;;#ASMEND
	s_nop 0
	;;#ASMSTART
	v_dot2_f32_f16 v68, v5, v1, v68
	;;#ASMEND
	s_nop 0
	;; [unrolled: 4-line block ×3, first 2 shown]
	;;#ASMSTART
	v_dot2_f32_f16 v68, v7, v3, v68
	;;#ASMEND
	s_waitcnt lgkmcnt(0)
	;;#ASMSTART
	v_dot2_f32_f16 v67, v4, v76, v67
	;;#ASMEND
	s_nop 0
	;;#ASMSTART
	v_dot2_f32_f16 v67, v5, v77, v67
	;;#ASMEND
	s_nop 0
	;;#ASMSTART
	v_dot2_f32_f16 v67, v6, v78, v67
	;;#ASMEND
	s_nop 0
	;;#ASMSTART
	v_dot2_f32_f16 v67, v7, v79, v67
	;;#ASMEND
	;;#ASMSTART
	v_dot2_f32_f16 v70, v72, v0, v70
	;;#ASMEND
	s_nop 0
	;;#ASMSTART
	v_dot2_f32_f16 v70, v73, v1, v70
	;;#ASMEND
	s_nop 0
	;;#ASMSTART
	v_dot2_f32_f16 v70, v74, v2, v70
	;;#ASMEND
	s_nop 0
	;;#ASMSTART
	v_dot2_f32_f16 v70, v75, v3, v70
	;;#ASMEND
	;; [unrolled: 15-line block ×3, first 2 shown]
	ds_read_b128 v[0:3], v45 offset:208
	ds_read_b128 v[4:7], v46 offset:208
	;; [unrolled: 1-line block ×4, first 2 shown]
	s_waitcnt lgkmcnt(2)
	;;#ASMSTART
	v_dot2_f32_f16 v68, v4, v0, v68
	;;#ASMEND
	s_nop 0
	;;#ASMSTART
	v_dot2_f32_f16 v68, v5, v1, v68
	;;#ASMEND
	s_nop 0
	;; [unrolled: 4-line block ×3, first 2 shown]
	;;#ASMSTART
	v_dot2_f32_f16 v68, v7, v3, v68
	;;#ASMEND
	s_waitcnt lgkmcnt(0)
	;;#ASMSTART
	v_dot2_f32_f16 v67, v4, v76, v67
	;;#ASMEND
	s_nop 0
	;;#ASMSTART
	v_dot2_f32_f16 v67, v5, v77, v67
	;;#ASMEND
	s_nop 0
	;;#ASMSTART
	v_dot2_f32_f16 v67, v6, v78, v67
	;;#ASMEND
	s_nop 0
	;;#ASMSTART
	v_dot2_f32_f16 v67, v7, v79, v67
	;;#ASMEND
	;;#ASMSTART
	v_dot2_f32_f16 v70, v72, v0, v70
	;;#ASMEND
	s_nop 0
	;;#ASMSTART
	v_dot2_f32_f16 v70, v73, v1, v70
	;;#ASMEND
	s_nop 0
	;;#ASMSTART
	v_dot2_f32_f16 v70, v74, v2, v70
	;;#ASMEND
	s_nop 0
	;;#ASMSTART
	v_dot2_f32_f16 v70, v75, v3, v70
	;;#ASMEND
	;; [unrolled: 15-line block ×3, first 2 shown]
	ds_read_b128 v[0:3], v45 offset:224
	ds_read_b128 v[4:7], v46 offset:224
	ds_read_b128 v[72:75], v46 offset:8928
	ds_read_b128 v[76:79], v45 offset:480
	s_waitcnt lgkmcnt(2)
	;;#ASMSTART
	v_dot2_f32_f16 v68, v4, v0, v68
	;;#ASMEND
	s_nop 0
	;;#ASMSTART
	v_dot2_f32_f16 v68, v5, v1, v68
	;;#ASMEND
	s_nop 0
	;; [unrolled: 4-line block ×3, first 2 shown]
	;;#ASMSTART
	v_dot2_f32_f16 v68, v7, v3, v68
	;;#ASMEND
	s_waitcnt lgkmcnt(0)
	;;#ASMSTART
	v_dot2_f32_f16 v67, v4, v76, v67
	;;#ASMEND
	s_nop 0
	;;#ASMSTART
	v_dot2_f32_f16 v67, v5, v77, v67
	;;#ASMEND
	s_nop 0
	;;#ASMSTART
	v_dot2_f32_f16 v67, v6, v78, v67
	;;#ASMEND
	s_nop 0
	;;#ASMSTART
	v_dot2_f32_f16 v67, v7, v79, v67
	;;#ASMEND
	;;#ASMSTART
	v_dot2_f32_f16 v70, v72, v0, v70
	;;#ASMEND
	s_nop 0
	;;#ASMSTART
	v_dot2_f32_f16 v70, v73, v1, v70
	;;#ASMEND
	s_nop 0
	;;#ASMSTART
	v_dot2_f32_f16 v70, v74, v2, v70
	;;#ASMEND
	s_nop 0
	;;#ASMSTART
	v_dot2_f32_f16 v70, v75, v3, v70
	;;#ASMEND
	;; [unrolled: 15-line block ×3, first 2 shown]
	ds_read_b128 v[72:75], v45 offset:240
	ds_read_b128 v[76:79], v46 offset:240
	;; [unrolled: 1-line block ×4, first 2 shown]
	s_waitcnt lgkmcnt(2)
	;;#ASMSTART
	v_dot2_f32_f16 v68, v76, v72, v68
	;;#ASMEND
	s_nop 0
	;;#ASMSTART
	v_dot2_f32_f16 v68, v77, v73, v68
	;;#ASMEND
	s_nop 0
	;; [unrolled: 4-line block ×3, first 2 shown]
	;;#ASMSTART
	v_dot2_f32_f16 v68, v79, v75, v68
	;;#ASMEND
	s_waitcnt lgkmcnt(0)
	;;#ASMSTART
	v_dot2_f32_f16 v67, v76, v4, v67
	;;#ASMEND
	v_add_u32_e32 v76, s2, v22
	;;#ASMSTART
	v_dot2_f32_f16 v67, v77, v5, v67
	;;#ASMEND
	v_cndmask_b32_e32 v77, v23, v39, vcc
	;;#ASMSTART
	v_dot2_f32_f16 v67, v78, v6, v67
	;;#ASMEND
	v_cmp_lt_i32_e32 vcc, v38, v35
	;;#ASMSTART
	v_dot2_f32_f16 v67, v79, v7, v67
	;;#ASMEND
	;;#ASMSTART
	v_dot2_f32_f16 v70, v0, v72, v70
	;;#ASMEND
	s_nop 0
	;;#ASMSTART
	v_dot2_f32_f16 v70, v1, v73, v70
	;;#ASMEND
	s_nop 0
	;;#ASMSTART
	v_dot2_f32_f16 v70, v2, v74, v70
	;;#ASMEND
	v_cndmask_b32_e32 v72, v23, v38, vcc
	;;#ASMSTART
	v_dot2_f32_f16 v70, v3, v75, v70
	;;#ASMEND
	v_cmp_lt_i32_e32 vcc, v37, v35
	;;#ASMSTART
	v_dot2_f32_f16 v69, v0, v4, v69
	;;#ASMEND
	v_lshlrev_b32_e32 v75, 2, v77
	v_ashrrev_i32_e32 v77, 31, v76
	v_cndmask_b32_e32 v73, v23, v37, vcc
	;;#ASMSTART
	v_dot2_f32_f16 v69, v1, v5, v69
	;;#ASMEND
	v_lshlrev_b32_e32 v78, 2, v72
	v_lshlrev_b32_e32 v79, 2, v73
	v_lshl_add_u64 v[72:73], v[76:77], 1, s[30:31]
	;;#ASMSTART
	v_dot2_f32_f16 v69, v2, v6, v69
	;;#ASMEND
	v_cmp_lt_i32_e32 vcc, v36, v35
	;;#ASMSTART
	v_dot2_f32_f16 v69, v3, v7, v69
	;;#ASMEND
	global_load_ushort v0, v[72:73], off
	global_load_ushort v1, v[72:73], off offset:64
	v_cndmask_b32_e32 v74, v23, v36, vcc
	v_lshlrev_b32_e32 v74, 2, v74
	s_barrier
	s_waitcnt vmcnt(1)
	v_cvt_f32_f16_e32 v0, v0
	s_waitcnt vmcnt(0)
	v_cvt_f32_f16_e32 v1, v1
	v_add_f32_e32 v2, v68, v0
	v_add_f32_e32 v3, v70, v1
	;; [unrolled: 1-line block ×8, first 2 shown]
	v_max3_f32 v4, v66, v4, v5
	v_max3_f32 v5, v65, v6, v7
	ds_bpermute_b32 v6, v71, v4
	ds_bpermute_b32 v7, v71, v5
	s_waitcnt lgkmcnt(1)
	v_max_f32_e32 v6, v6, v6
	s_waitcnt lgkmcnt(0)
	v_max_f32_e32 v7, v7, v7
	v_max_f32_e32 v4, v4, v6
	v_max_f32_e32 v5, v5, v7
	ds_bpermute_b32 v6, v75, v4
	ds_bpermute_b32 v7, v75, v5
	s_waitcnt lgkmcnt(1)
	v_max_f32_e32 v6, v6, v6
	s_waitcnt lgkmcnt(0)
	v_max_f32_e32 v7, v7, v7
	v_max_f32_e32 v4, v4, v6
	v_max_f32_e32 v5, v5, v7
	;; [unrolled: 8-line block ×5, first 2 shown]
	v_sub_f32_e32 v72, v3, v4
	v_sub_f32_e32 v70, v66, v4
	;; [unrolled: 1-line block ×4, first 2 shown]
	v_mul_f32_e32 v1, 0x3fb8aa3b, v72
	v_sub_f32_e32 v73, v0, v5
	v_mul_f32_e32 v0, 0x3fb8aa3b, v71
	v_mul_f32_e32 v2, 0x3fb8aa3b, v70
	v_fma_f32 v68, v72, s36, -v1
	v_rndne_f32_e32 v69, v1
	v_sub_f32_e32 v65, v65, v5
	v_mul_f32_e32 v3, 0x3fb8aa3b, v73
	v_fma_f32 v66, v71, s36, -v0
	v_rndne_f32_e32 v67, v0
	v_fma_f32 v74, v70, s36, -v2
	v_rndne_f32_e32 v75, v2
	v_fmac_f32_e32 v68, 0x32a5705f, v72
	v_sub_f32_e32 v1, v1, v69
	v_mul_f32_e32 v6, 0x3fb8aa3b, v76
	v_mul_f32_e32 v7, 0x3fb8aa3b, v65
	v_fma_f32 v77, v73, s36, -v3
	v_rndne_f32_e32 v78, v3
	v_fmac_f32_e32 v66, 0x32a5705f, v71
	v_sub_f32_e32 v0, v0, v67
	v_add_f32_e32 v68, v1, v68
	v_fmac_f32_e32 v74, 0x32a5705f, v70
	v_sub_f32_e32 v1, v2, v75
	v_add_f32_e32 v66, v0, v66
	v_fma_f32 v0, v76, s36, -v6
	v_rndne_f32_e32 v79, v6
	v_add_f32_e32 v74, v1, v74
	v_fma_f32 v1, v65, s36, -v7
	v_fmac_f32_e32 v77, 0x32a5705f, v73
	v_sub_f32_e32 v2, v3, v78
	v_rndne_f32_e32 v80, v7
	v_add_f32_e32 v77, v2, v77
	v_fmac_f32_e32 v0, 0x32a5705f, v76
	v_sub_f32_e32 v2, v6, v79
	v_fmac_f32_e32 v1, 0x32a5705f, v65
	v_sub_f32_e32 v3, v7, v80
	v_add_f32_e32 v81, v2, v0
	v_add_f32_e32 v82, v3, v1
	v_cvt_i32_f32_e32 v2, v67
	v_cvt_i32_f32_e32 v3, v69
	v_exp_f32_e32 v6, v66
	v_exp_f32_e32 v7, v68
	;; [unrolled: 1-line block ×4, first 2 shown]
	v_ldexp_f32 v83, v6, v2
	v_ldexp_f32 v84, v7, v3
	v_cvt_i32_f32_e32 v6, v75
	v_cvt_i32_f32_e32 v7, v78
	v_exp_f32_e32 v68, v81
	v_exp_f32_e32 v69, v82
	v_ldexp_f32 v77, v66, v6
	v_ldexp_f32 v78, v67, v7
	v_cvt_i32_f32_e32 v66, v79
	v_cvt_i32_f32_e32 v67, v80
	v_lshl_add_u64 v[0:1], v[24:25], 2, s[4:5]
	v_lshl_add_u64 v[2:3], v[26:27], 2, s[4:5]
	;; [unrolled: 1-line block ×3, first 2 shown]
	v_ldexp_f32 v79, v68, v66
	v_ldexp_f32 v80, v69, v67
	v_lshl_add_u64 v[66:67], v[30:31], 2, s[4:5]
	v_cmp_ngt_f32_e32 vcc, s37, v70
	v_cmp_ngt_f32_e64 s[4:5], s37, v72
	v_cmp_ngt_f32_e64 s[6:7], s37, v76
	;; [unrolled: 1-line block ×4, first 2 shown]
	v_lshl_add_u64 v[0:1], v[0:1], 0, v[10:11]
	v_cndmask_b32_e64 v81, 0, v84, s[4:5]
	v_cmp_nlt_f32_e64 s[4:5], s38, v72
	v_cndmask_b32_e32 v72, 0, v77, vcc
	v_cmp_nlt_f32_e32 vcc, s38, v70
	v_cndmask_b32_e64 v70, 0, v78, s[8:9]
	v_cmp_nlt_f32_e64 s[8:9], s38, v73
	v_cndmask_b32_e64 v73, 0, v79, s[6:7]
	v_cmp_nlt_f32_e64 s[6:7], s38, v76
	v_cmp_ngt_f32_e64 s[10:11], s37, v65
	v_cndmask_b32_e64 v76, 0, v83, s[12:13]
	v_cmp_nlt_f32_e64 s[12:13], s38, v71
	v_lshl_add_u64 v[68:69], v[2:3], 0, v[10:11]
	global_load_dwordx4 v[0:3], v[0:1], off
	v_cndmask_b32_e64 v80, 0, v80, s[10:11]
	v_cmp_nlt_f32_e64 s[10:11], s38, v65
	v_cndmask_b32_e64 v76, v52, v76, s[12:13]
	v_cndmask_b32_e64 v78, v52, v81, s[4:5]
	;; [unrolled: 1-line block ×4, first 2 shown]
	v_lshl_add_u64 v[6:7], v[6:7], 0, v[10:11]
	v_lshl_add_u64 v[74:75], v[66:67], 0, v[10:11]
	global_load_dwordx4 v[66:69], v[68:69], off
	v_cndmask_b32_e32 v70, v52, v72, vcc
	v_cndmask_b32_e64 v71, v52, v80, s[10:11]
	v_pk_add_f32 v[72:73], v[76:77], v[78:79]
	v_cvt_f16_f32_e32 v65, v70
	v_pk_fma_f32 v[14:15], v[14:15], v[70:71], v[72:73]
	v_cvt_f16_f32_e32 v80, v71
	global_load_dwordx4 v[70:73], v[6:7], off
	v_cvt_pk_f16_f32 v6, v76, v77
	global_load_dwordx4 v[74:77], v[74:75], off
	v_cvt_pk_f16_f32 v7, v78, v79
	ds_write2_b32 v53, v6, v7 offset1:32
	s_waitcnt vmcnt(3)
	ds_write_b128 v48, v[0:3]
	s_waitcnt vmcnt(2)
	ds_write_b128 v49, v[66:69]
	s_waitcnt vmcnt(1)
	ds_write_b128 v50, v[70:73]
	s_waitcnt vmcnt(0)
	ds_write_b128 v51, v[74:77]
	s_waitcnt lgkmcnt(0)
	s_barrier
	ds_read2_b64 v[0:3], v34 offset1:32
	ds_read_b128 v[66:69], v47
	ds_read_b128 v[70:73], v47 offset:16
	ds_read_b128 v[74:77], v47 offset:32
	v_mul_u32_u24_e32 v6, 0x10001, v65
	v_mul_u32_u24_e32 v7, 0x10001, v80
	s_waitcnt lgkmcnt(2)
	v_mul_u32_u24_sdwa v65, v66, s39 dst_sel:DWORD dst_unused:UNUSED_PAD src0_sel:WORD_0 src1_sel:DWORD
	v_pk_mul_f16 v78, v0, v65
	v_pk_mul_f16 v64, v64, v6
	v_pk_fma_f16 v6, v63, v6, v78
	v_mul_u32_u24_sdwa v63, v66, s39 dst_sel:DWORD dst_unused:UNUSED_PAD src0_sel:WORD_1 src1_sel:DWORD
	v_pk_mul_f16 v62, v62, v7
	v_pk_mul_f16 v0, v0, v63
	v_mul_u32_u24_sdwa v66, v67, s39 dst_sel:DWORD dst_unused:UNUSED_PAD src0_sel:WORD_0 src1_sel:DWORD
	v_pk_fma_f16 v64, v1, v65, v64
	v_mul_u32_u24_sdwa v65, v67, s39 dst_sel:DWORD dst_unused:UNUSED_PAD src0_sel:WORD_1 src1_sel:DWORD
	v_pk_fma_f16 v1, v1, v63, v62
	v_pk_fma_f16 v0, v61, v7, v0
	v_pk_fma_f16 v7, v3, v66, v64
	v_pk_fma_f16 v61, v3, v65, v1
	v_pk_fma_f16 v6, v2, v66, v6
	v_pk_fma_f16 v66, v2, v65, v0
	ds_read2_b64 v[62:65], v34 offset0:64 offset1:96
	v_mul_u32_u24_sdwa v67, v68, s39 dst_sel:DWORD dst_unused:UNUSED_PAD src0_sel:WORD_0 src1_sel:DWORD
	v_mul_u32_u24_sdwa v68, v68, s39 dst_sel:DWORD dst_unused:UNUSED_PAD src0_sel:WORD_1 src1_sel:DWORD
	v_mul_u32_u24_sdwa v78, v69, s39 dst_sel:DWORD dst_unused:UNUSED_PAD src0_sel:WORD_0 src1_sel:DWORD
	v_mul_u32_u24_sdwa v69, v69, s39 dst_sel:DWORD dst_unused:UNUSED_PAD src0_sel:WORD_1 src1_sel:DWORD
	s_waitcnt lgkmcnt(0)
	v_pk_fma_f16 v7, v63, v67, v7
	v_pk_fma_f16 v61, v63, v68, v61
	;; [unrolled: 1-line block ×8, first 2 shown]
	ds_read2_b64 v[62:65], v34 offset0:128 offset1:160
	v_mul_u32_u24_sdwa v67, v70, s39 dst_sel:DWORD dst_unused:UNUSED_PAD src0_sel:WORD_0 src1_sel:DWORD
	v_mul_u32_u24_sdwa v68, v70, s39 dst_sel:DWORD dst_unused:UNUSED_PAD src0_sel:WORD_1 src1_sel:DWORD
	v_mul_u32_u24_sdwa v69, v71, s39 dst_sel:DWORD dst_unused:UNUSED_PAD src0_sel:WORD_0 src1_sel:DWORD
	v_mul_u32_u24_sdwa v70, v71, s39 dst_sel:DWORD dst_unused:UNUSED_PAD src0_sel:WORD_1 src1_sel:DWORD
	s_waitcnt lgkmcnt(0)
	v_pk_fma_f16 v7, v63, v67, v7
	v_pk_fma_f16 v61, v63, v68, v61
	;; [unrolled: 1-line block ×8, first 2 shown]
	ds_read2_b64 v[62:65], v34 offset0:192 offset1:224
	ds_read2_b64 v[66:69], v54 offset1:32
	v_mul_u32_u24_sdwa v71, v72, s39 dst_sel:DWORD dst_unused:UNUSED_PAD src0_sel:WORD_0 src1_sel:DWORD
	v_mul_u32_u24_sdwa v72, v72, s39 dst_sel:DWORD dst_unused:UNUSED_PAD src0_sel:WORD_1 src1_sel:DWORD
	v_mul_u32_u24_sdwa v78, v73, s39 dst_sel:DWORD dst_unused:UNUSED_PAD src0_sel:WORD_0 src1_sel:DWORD
	v_mul_u32_u24_sdwa v73, v73, s39 dst_sel:DWORD dst_unused:UNUSED_PAD src0_sel:WORD_1 src1_sel:DWORD
	s_waitcnt lgkmcnt(1)
	v_pk_fma_f16 v7, v63, v71, v7
	v_pk_fma_f16 v61, v63, v72, v61
	;; [unrolled: 1-line block ×8, first 2 shown]
	ds_read2_b64 v[62:65], v54 offset0:64 offset1:96
	v_mul_u32_u24_sdwa v71, v74, s39 dst_sel:DWORD dst_unused:UNUSED_PAD src0_sel:WORD_0 src1_sel:DWORD
	v_mul_u32_u24_sdwa v72, v74, s39 dst_sel:DWORD dst_unused:UNUSED_PAD src0_sel:WORD_1 src1_sel:DWORD
	ds_read_b128 v[0:3], v47 offset:48
	v_mul_u32_u24_sdwa v73, v75, s39 dst_sel:DWORD dst_unused:UNUSED_PAD src0_sel:WORD_0 src1_sel:DWORD
	v_mul_u32_u24_sdwa v74, v75, s39 dst_sel:DWORD dst_unused:UNUSED_PAD src0_sel:WORD_1 src1_sel:DWORD
	s_waitcnt lgkmcnt(2)
	v_pk_fma_f16 v7, v67, v71, v7
	v_pk_fma_f16 v61, v67, v72, v61
	v_pk_fma_f16 v6, v66, v71, v6
	v_pk_fma_f16 v66, v66, v72, v70
	v_pk_fma_f16 v7, v69, v73, v7
	v_pk_fma_f16 v61, v69, v74, v61
	v_pk_fma_f16 v6, v68, v73, v6
	v_pk_fma_f16 v74, v68, v74, v66
	ds_read2_b64 v[66:69], v54 offset0:128 offset1:160
	v_mul_u32_u24_sdwa v75, v76, s39 dst_sel:DWORD dst_unused:UNUSED_PAD src0_sel:WORD_0 src1_sel:DWORD
	v_mul_u32_u24_sdwa v76, v76, s39 dst_sel:DWORD dst_unused:UNUSED_PAD src0_sel:WORD_1 src1_sel:DWORD
	v_mul_u32_u24_sdwa v78, v77, s39 dst_sel:DWORD dst_unused:UNUSED_PAD src0_sel:WORD_0 src1_sel:DWORD
	v_mul_u32_u24_sdwa v77, v77, s39 dst_sel:DWORD dst_unused:UNUSED_PAD src0_sel:WORD_1 src1_sel:DWORD
	s_waitcnt lgkmcnt(2)
	v_pk_fma_f16 v7, v63, v75, v7
	v_pk_fma_f16 v61, v63, v76, v61
	v_pk_fma_f16 v6, v62, v75, v6
	v_pk_fma_f16 v62, v62, v76, v74
	v_pk_fma_f16 v7, v65, v78, v7
	v_pk_fma_f16 v61, v65, v77, v61
	v_pk_fma_f16 v6, v64, v78, v6
	v_pk_fma_f16 v74, v64, v77, v62
	s_waitcnt lgkmcnt(1)
	v_mul_u32_u24_sdwa v75, v0, s39 dst_sel:DWORD dst_unused:UNUSED_PAD src0_sel:WORD_0 src1_sel:DWORD
	v_mul_u32_u24_sdwa v0, v0, s39 dst_sel:DWORD dst_unused:UNUSED_PAD src0_sel:WORD_1 src1_sel:DWORD
	ds_read2_b64 v[70:73], v54 offset0:192 offset1:224
	v_mul_u32_u24_sdwa v76, v1, s39 dst_sel:DWORD dst_unused:UNUSED_PAD src0_sel:WORD_0 src1_sel:DWORD
	v_mul_u32_u24_sdwa v1, v1, s39 dst_sel:DWORD dst_unused:UNUSED_PAD src0_sel:WORD_1 src1_sel:DWORD
	s_waitcnt lgkmcnt(1)
	v_pk_fma_f16 v7, v67, v75, v7
	v_pk_fma_f16 v61, v67, v0, v61
	v_pk_fma_f16 v6, v66, v75, v6
	v_pk_fma_f16 v0, v66, v0, v74
	v_pk_fma_f16 v7, v69, v76, v7
	v_pk_fma_f16 v61, v69, v1, v61
	v_pk_fma_f16 v6, v68, v76, v6
	v_pk_fma_f16 v74, v68, v1, v0
	ds_read_b128 v[66:69], v47 offset:64
	ds_read2_b64 v[62:65], v55 offset1:32
	v_mul_u32_u24_sdwa v75, v2, s39 dst_sel:DWORD dst_unused:UNUSED_PAD src0_sel:WORD_0 src1_sel:DWORD
	v_mul_u32_u24_sdwa v76, v2, s39 dst_sel:DWORD dst_unused:UNUSED_PAD src0_sel:WORD_1 src1_sel:DWORD
	v_mul_u32_u24_sdwa v77, v3, s39 dst_sel:DWORD dst_unused:UNUSED_PAD src0_sel:WORD_0 src1_sel:DWORD
	v_mul_u32_u24_sdwa v78, v3, s39 dst_sel:DWORD dst_unused:UNUSED_PAD src0_sel:WORD_1 src1_sel:DWORD
	s_waitcnt lgkmcnt(2)
	v_pk_fma_f16 v7, v71, v75, v7
	v_pk_fma_f16 v61, v71, v76, v61
	v_pk_fma_f16 v6, v70, v75, v6
	v_pk_fma_f16 v70, v70, v76, v74
	ds_read2_b64 v[0:3], v55 offset0:64 offset1:96
	v_pk_fma_f16 v7, v73, v77, v7
	v_pk_fma_f16 v61, v73, v78, v61
	v_pk_fma_f16 v6, v72, v77, v6
	v_pk_fma_f16 v74, v72, v78, v70
	ds_read_b128 v[70:73], v47 offset:80
	s_waitcnt lgkmcnt(3)
	v_mul_u32_u24_sdwa v75, v66, s39 dst_sel:DWORD dst_unused:UNUSED_PAD src0_sel:WORD_0 src1_sel:DWORD
	v_mul_u32_u24_sdwa v66, v66, s39 dst_sel:DWORD dst_unused:UNUSED_PAD src0_sel:WORD_1 src1_sel:DWORD
	v_mul_u32_u24_sdwa v76, v67, s39 dst_sel:DWORD dst_unused:UNUSED_PAD src0_sel:WORD_0 src1_sel:DWORD
	v_mul_u32_u24_sdwa v67, v67, s39 dst_sel:DWORD dst_unused:UNUSED_PAD src0_sel:WORD_1 src1_sel:DWORD
	s_waitcnt lgkmcnt(2)
	v_pk_fma_f16 v7, v63, v75, v7
	v_pk_fma_f16 v61, v63, v66, v61
	v_pk_fma_f16 v6, v62, v75, v6
	v_pk_fma_f16 v62, v62, v66, v74
	v_pk_fma_f16 v7, v65, v76, v7
	v_pk_fma_f16 v61, v65, v67, v61
	v_pk_fma_f16 v6, v64, v76, v6
	v_pk_fma_f16 v74, v64, v67, v62
	ds_read2_b64 v[62:65], v55 offset0:128 offset1:160
	v_mul_u32_u24_sdwa v75, v68, s39 dst_sel:DWORD dst_unused:UNUSED_PAD src0_sel:WORD_0 src1_sel:DWORD
	v_mul_u32_u24_sdwa v76, v68, s39 dst_sel:DWORD dst_unused:UNUSED_PAD src0_sel:WORD_1 src1_sel:DWORD
	v_mul_u32_u24_sdwa v77, v69, s39 dst_sel:DWORD dst_unused:UNUSED_PAD src0_sel:WORD_0 src1_sel:DWORD
	v_mul_u32_u24_sdwa v78, v69, s39 dst_sel:DWORD dst_unused:UNUSED_PAD src0_sel:WORD_1 src1_sel:DWORD
	s_waitcnt lgkmcnt(2)
	v_pk_fma_f16 v7, v1, v75, v7
	v_pk_fma_f16 v1, v1, v76, v61
	v_pk_fma_f16 v6, v0, v75, v6
	v_pk_fma_f16 v0, v0, v76, v74
	v_pk_fma_f16 v7, v3, v77, v7
	v_pk_fma_f16 v61, v3, v78, v1
	v_pk_fma_f16 v6, v2, v77, v6
	v_pk_fma_f16 v74, v2, v78, v0
	s_waitcnt lgkmcnt(1)
	v_mul_u32_u24_sdwa v75, v70, s39 dst_sel:DWORD dst_unused:UNUSED_PAD src0_sel:WORD_0 src1_sel:DWORD
	v_mul_u32_u24_sdwa v70, v70, s39 dst_sel:DWORD dst_unused:UNUSED_PAD src0_sel:WORD_1 src1_sel:DWORD
	ds_read2_b64 v[66:69], v55 offset0:192 offset1:224
	v_mul_u32_u24_sdwa v76, v71, s39 dst_sel:DWORD dst_unused:UNUSED_PAD src0_sel:WORD_0 src1_sel:DWORD
	v_mul_u32_u24_sdwa v71, v71, s39 dst_sel:DWORD dst_unused:UNUSED_PAD src0_sel:WORD_1 src1_sel:DWORD
	s_waitcnt lgkmcnt(1)
	v_pk_fma_f16 v7, v63, v75, v7
	v_pk_fma_f16 v61, v63, v70, v61
	v_pk_fma_f16 v6, v62, v75, v6
	v_pk_fma_f16 v62, v62, v70, v74
	v_pk_fma_f16 v7, v65, v76, v7
	v_pk_fma_f16 v61, v65, v71, v61
	v_pk_fma_f16 v6, v64, v76, v6
	v_pk_fma_f16 v74, v64, v71, v62
	ds_read_b128 v[62:65], v47 offset:96
	ds_read2_b64 v[0:3], v56 offset1:32
	v_mul_u32_u24_sdwa v75, v72, s39 dst_sel:DWORD dst_unused:UNUSED_PAD src0_sel:WORD_0 src1_sel:DWORD
	v_mul_u32_u24_sdwa v76, v72, s39 dst_sel:DWORD dst_unused:UNUSED_PAD src0_sel:WORD_1 src1_sel:DWORD
	v_mul_u32_u24_sdwa v77, v73, s39 dst_sel:DWORD dst_unused:UNUSED_PAD src0_sel:WORD_0 src1_sel:DWORD
	v_mul_u32_u24_sdwa v78, v73, s39 dst_sel:DWORD dst_unused:UNUSED_PAD src0_sel:WORD_1 src1_sel:DWORD
	s_waitcnt lgkmcnt(2)
	v_pk_fma_f16 v7, v67, v75, v7
	v_pk_fma_f16 v61, v67, v76, v61
	v_pk_fma_f16 v6, v66, v75, v6
	v_pk_fma_f16 v66, v66, v76, v74
	ds_read2_b64 v[70:73], v56 offset0:64 offset1:96
	v_pk_fma_f16 v7, v69, v77, v7
	v_pk_fma_f16 v61, v69, v78, v61
	v_pk_fma_f16 v6, v68, v77, v6
	v_pk_fma_f16 v74, v68, v78, v66
	ds_read_b128 v[66:69], v47 offset:112
	s_waitcnt lgkmcnt(3)
	v_mul_u32_u24_sdwa v75, v62, s39 dst_sel:DWORD dst_unused:UNUSED_PAD src0_sel:WORD_0 src1_sel:DWORD
	v_mul_u32_u24_sdwa v62, v62, s39 dst_sel:DWORD dst_unused:UNUSED_PAD src0_sel:WORD_1 src1_sel:DWORD
	;; [unrolled: 60-line block ×6, first 2 shown]
	v_mul_u32_u24_sdwa v76, v63, s39 dst_sel:DWORD dst_unused:UNUSED_PAD src0_sel:WORD_0 src1_sel:DWORD
	v_mul_u32_u24_sdwa v63, v63, s39 dst_sel:DWORD dst_unused:UNUSED_PAD src0_sel:WORD_1 src1_sel:DWORD
	s_waitcnt lgkmcnt(2)
	v_pk_fma_f16 v7, v1, v75, v7
	v_pk_fma_f16 v1, v1, v62, v61
	v_pk_fma_f16 v6, v0, v75, v6
	v_pk_fma_f16 v0, v0, v62, v74
	v_pk_fma_f16 v7, v3, v76, v7
	v_pk_fma_f16 v61, v3, v63, v1
	v_pk_fma_f16 v6, v2, v76, v6
	v_pk_fma_f16 v62, v2, v63, v0
	ds_read2_b64 v[0:3], v60 offset0:128 offset1:160
	ds_read2_b64 v[74:77], v60 offset0:192 offset1:224
	s_waitcnt lgkmcnt(0)
	s_barrier
	s_load_dword s4, s[14:15], 0x4
	v_mul_u32_u24_sdwa v63, v64, s39 dst_sel:DWORD dst_unused:UNUSED_PAD src0_sel:WORD_0 src1_sel:DWORD
	v_mul_u32_u24_sdwa v64, v64, s39 dst_sel:DWORD dst_unused:UNUSED_PAD src0_sel:WORD_1 src1_sel:DWORD
	v_mul_u32_u24_sdwa v78, v65, s39 dst_sel:DWORD dst_unused:UNUSED_PAD src0_sel:WORD_0 src1_sel:DWORD
	v_mul_u32_u24_sdwa v65, v65, s39 dst_sel:DWORD dst_unused:UNUSED_PAD src0_sel:WORD_1 src1_sel:DWORD
	v_pk_fma_f16 v7, v71, v63, v7
	v_pk_fma_f16 v6, v70, v63, v6
	v_pk_fma_f16 v61, v71, v64, v61
	v_pk_fma_f16 v62, v70, v64, v62
	v_mul_u32_u24_sdwa v63, v66, s39 dst_sel:DWORD dst_unused:UNUSED_PAD src0_sel:WORD_0 src1_sel:DWORD
	v_mul_u32_u24_sdwa v64, v66, s39 dst_sel:DWORD dst_unused:UNUSED_PAD src0_sel:WORD_1 src1_sel:DWORD
	v_pk_fma_f16 v7, v73, v78, v7
	v_pk_fma_f16 v6, v72, v78, v6
	v_pk_fma_f16 v61, v73, v65, v61
	v_pk_fma_f16 v62, v72, v65, v62
	;; [unrolled: 6-line block ×3, first 2 shown]
	v_mul_u32_u24_sdwa v67, v68, s39 dst_sel:DWORD dst_unused:UNUSED_PAD src0_sel:WORD_0 src1_sel:DWORD
	v_mul_u32_u24_sdwa v68, v68, s39 dst_sel:DWORD dst_unused:UNUSED_PAD src0_sel:WORD_1 src1_sel:DWORD
	s_waitcnt lgkmcnt(0)
	s_lshl_b32 s4, s4, 6
	v_pk_fma_f16 v7, v3, v66, v7
	v_pk_fma_f16 v1, v3, v65, v1
	;; [unrolled: 1-line block ×4, first 2 shown]
	v_mul_u32_u24_sdwa v70, v69, s39 dst_sel:DWORD dst_unused:UNUSED_PAD src0_sel:WORD_0 src1_sel:DWORD
	v_mul_u32_u24_sdwa v69, v69, s39 dst_sel:DWORD dst_unused:UNUSED_PAD src0_sel:WORD_1 src1_sel:DWORD
	s_add_i32 s2, s4, s2
	v_pk_fma_f16 v2, v75, v67, v7
	v_pk_fma_f16 v1, v75, v68, v1
	;; [unrolled: 1-line block ×4, first 2 shown]
	s_cmp_ge_i32 s2, s28
	v_pk_fma_f16 v64, v77, v70, v2
	v_pk_fma_f16 v62, v77, v69, v1
	v_pk_fma_f16 v63, v76, v70, v3
	v_pk_fma_f16 v61, v76, v69, v0
	s_cbranch_scc0 .LBB9_9
.LBB9_10:
	v_cmp_lt_i32_e32 vcc, v40, v35
	s_cmp_lg_u64 s[16:17], 0
	s_cselect_b64 s[4:5], -1, 0
	v_cndmask_b32_e32 v0, v23, v40, vcc
	v_lshlrev_b32_e32 v1, 2, v0
	ds_bpermute_b32 v0, v1, v14
	ds_bpermute_b32 v1, v1, v15
	v_cmp_lt_i32_e32 vcc, v39, v35
	s_cmp_eq_u32 s3, 0
	s_cselect_b64 s[6:7], -1, 0
	v_cndmask_b32_e32 v2, v23, v39, vcc
	v_lshlrev_b32_e32 v3, 2, v2
	s_waitcnt lgkmcnt(0)
	v_pk_add_f32 v[0:1], v[14:15], v[0:1]
	ds_bpermute_b32 v2, v3, v0
	ds_bpermute_b32 v3, v3, v1
	v_cmp_lt_i32_e32 vcc, v38, v35
	s_and_b64 s[4:5], s[6:7], s[4:5]
	s_waitcnt lgkmcnt(0)
	v_pk_add_f32 v[0:1], v[0:1], v[2:3]
	v_cndmask_b32_e32 v6, v23, v38, vcc
	v_lshlrev_b32_e32 v6, 2, v6
	ds_bpermute_b32 v2, v6, v0
	ds_bpermute_b32 v3, v6, v1
	v_cmp_lt_i32_e32 vcc, v37, v35
	s_waitcnt lgkmcnt(0)
	v_pk_add_f32 v[0:1], v[0:1], v[2:3]
	v_cndmask_b32_e32 v6, v23, v37, vcc
	v_lshlrev_b32_e32 v6, 2, v6
	ds_bpermute_b32 v2, v6, v0
	ds_bpermute_b32 v3, v6, v1
	v_cmp_lt_i32_e32 vcc, v36, v35
	s_waitcnt lgkmcnt(0)
	v_pk_add_f32 v[0:1], v[0:1], v[2:3]
	v_cndmask_b32_e32 v6, v23, v36, vcc
	v_lshlrev_b32_e32 v6, 2, v6
	ds_bpermute_b32 v2, v6, v0
	ds_bpermute_b32 v3, v6, v1
	s_and_b64 vcc, exec, s[4:5]
	s_waitcnt lgkmcnt(0)
	v_pk_add_f32 v[0:1], v[0:1], v[2:3]
	s_cbranch_vccz .LBB9_12
; %bb.11:
	v_add_u32_e32 v2, s29, v32
	v_ashrrev_i32_e32 v3, 31, v2
	v_lshl_add_u64 v[2:3], v[2:3], 2, s[16:17]
	global_load_dwordx2 v[2:3], v[2:3], off
	v_max_f32_e32 v6, v4, v4
	v_max_f32_e32 v7, v5, v5
	s_mov_b32 s2, 0x3fb8aa3b
	s_mov_b32 s4, 0xc2ce8ed0
	;; [unrolled: 1-line block ×3, first 2 shown]
	v_mov_b32_e32 v10, 0x7f800000
	s_waitcnt vmcnt(0)
	v_max_f32_e32 v11, v2, v2
	v_max_f32_e32 v6, v6, v11
	;; [unrolled: 1-line block ×3, first 2 shown]
	v_sub_f32_e32 v4, v4, v6
	v_max_f32_e32 v7, v7, v12
	v_sub_f32_e32 v11, v2, v6
	v_mul_f32_e32 v2, 0x3fb8aa3b, v4
	v_sub_f32_e32 v5, v5, v7
	v_sub_f32_e32 v12, v3, v7
	v_mul_f32_e32 v3, 0x3fb8aa3b, v11
	v_fma_f32 v15, v4, s2, -v2
	v_rndne_f32_e32 v16, v2
	v_mul_f32_e32 v13, 0x3fb8aa3b, v5
	v_fma_f32 v17, v11, s2, -v3
	v_rndne_f32_e32 v18, v3
	v_fmac_f32_e32 v15, 0x32a5705f, v4
	v_sub_f32_e32 v2, v2, v16
	v_mul_f32_e32 v14, 0x3fb8aa3b, v12
	v_fma_f32 v19, v5, s2, -v13
	v_rndne_f32_e32 v20, v13
	v_fmac_f32_e32 v17, 0x32a5705f, v11
	v_sub_f32_e32 v3, v3, v18
	v_add_f32_e32 v2, v2, v15
	v_fma_f32 v21, v12, s2, -v14
	v_rndne_f32_e32 v22, v14
	v_cvt_i32_f32_e32 v16, v16
	v_fmac_f32_e32 v19, 0x32a5705f, v5
	v_sub_f32_e32 v13, v13, v20
	v_add_f32_e32 v3, v3, v17
	v_exp_f32_e32 v2, v2
	v_cvt_i32_f32_e32 v18, v18
	v_fmac_f32_e32 v21, 0x32a5705f, v12
	v_sub_f32_e32 v14, v14, v22
	v_add_f32_e32 v13, v13, v19
	v_exp_f32_e32 v3, v3
	v_cvt_i32_f32_e32 v20, v20
	v_add_f32_e32 v14, v14, v21
	v_exp_f32_e32 v13, v13
	v_cvt_i32_f32_e32 v22, v22
	v_exp_f32_e32 v14, v14
	v_ldexp_f32 v2, v2, v16
	v_cmp_ngt_f32_e32 vcc, s4, v4
	v_ldexp_f32 v3, v3, v18
	v_ldexp_f32 v13, v13, v20
	v_cndmask_b32_e32 v2, 0, v2, vcc
	v_cmp_ngt_f32_e32 vcc, s4, v11
	v_ldexp_f32 v14, v14, v22
	s_nop 0
	v_cndmask_b32_e32 v3, 0, v3, vcc
	v_cmp_ngt_f32_e32 vcc, s4, v5
	s_nop 1
	v_cndmask_b32_e32 v13, 0, v13, vcc
	v_cmp_ngt_f32_e32 vcc, s4, v12
	s_nop 1
	v_cndmask_b32_e32 v14, 0, v14, vcc
	v_cmp_nlt_f32_e32 vcc, s5, v4
	s_nop 1
	v_cndmask_b32_e32 v2, v10, v2, vcc
	v_cmp_nlt_f32_e32 vcc, s5, v11
	v_cvt_f16_f32_e32 v11, v2
	s_nop 0
	v_cndmask_b32_e32 v4, v10, v3, vcc
	v_cmp_nlt_f32_e32 vcc, s5, v5
	s_nop 1
	v_cndmask_b32_e32 v3, v10, v13, vcc
	v_cvt_f16_f32_e32 v13, v3
	v_cmp_nlt_f32_e32 vcc, s5, v12
	s_nop 1
	v_cndmask_b32_e32 v5, v10, v14, vcc
	v_pk_fma_f32 v[0:1], v[0:1], v[2:3], v[4:5]
	v_mul_u32_u24_e32 v2, 0x10001, v11
	v_mul_u32_u24_e32 v3, 0x10001, v13
	v_pk_mul_f16 v63, v63, v2
	v_pk_mul_f16 v64, v64, v2
	;; [unrolled: 1-line block ×4, first 2 shown]
	v_mov_b64_e32 v[4:5], v[6:7]
.LBB9_12:
	v_cmp_gt_i32_e32 vcc, s26, v9
	s_and_saveexec_b64 s[4:5], vcc
	s_cbranch_execz .LBB9_21
; %bb.13:
	s_load_dword s6, s[0:1], 0xd4
	v_mov_b32_e32 v6, 1.0
	s_waitcnt lgkmcnt(0)
	s_cmp_lg_u32 s6, 1
	s_cselect_b64 s[0:1], -1, 0
	s_cmp_eq_u32 s6, 1
	s_cselect_b64 s[4:5], -1, 0
	s_and_b64 vcc, exec, s[0:1]
	s_cbranch_vccnz .LBB9_15
; %bb.14:
	v_div_scale_f32 v2, s[8:9], v0, v0, 1.0
	v_rcp_f32_e32 v3, v2
	v_div_scale_f32 v6, vcc, 1.0, v0, 1.0
	v_fma_f32 v7, -v2, v3, 1.0
	v_fmac_f32_e32 v3, v7, v3
	v_mul_f32_e32 v7, v6, v3
	v_fma_f32 v10, -v2, v7, v6
	v_fmac_f32_e32 v7, v10, v3
	v_fma_f32 v2, -v2, v7, v6
	v_div_fmas_f32 v2, v2, v3, v7
	v_div_fixup_f32 v6, v2, v0, 1.0
.LBB9_15:
	s_mul_i32 s33, s33, s26
	v_add_u32_e32 v2, s33, v9
	v_mul_lo_u32 v2, v2, s27
	v_add3_u32 v2, s29, v32, v2
	v_cvt_f32_f16_sdwa v11, v63 dst_sel:DWORD dst_unused:UNUSED_PAD src0_sel:WORD_1
	v_cvt_f32_f16_e32 v10, v63
	v_cvt_f32_f16_sdwa v13, v64 dst_sel:DWORD dst_unused:UNUSED_PAD src0_sel:WORD_1
	v_cvt_f32_f16_e32 v12, v64
	v_mul_lo_u32 v2, s6, v2
	v_add_u32_e32 v2, s3, v2
	v_cmp_eq_u32_e32 vcc, 0, v8
	v_lshl_add_u32 v8, v2, 7, v33
	v_mov_b32_e32 v9, 0
	s_and_b64 s[0:1], vcc, s[0:1]
	v_lshl_add_u64 v[14:15], v[8:9], 2, s[20:21]
	v_pk_mul_f32 v[8:9], v[6:7], v[10:11] op_sel_hi:[0,1]
	v_pk_mul_f32 v[10:11], v[6:7], v[12:13] op_sel_hi:[0,1]
	global_store_dwordx4 v[14:15], v[8:11], off
	s_and_saveexec_b64 s[2:3], s[0:1]
	s_cbranch_execz .LBB9_17
; %bb.16:
	v_ashrrev_i32_e32 v3, 31, v2
	v_lshl_add_u64 v[6:7], v[2:3], 3, s[22:23]
	v_mov_b32_e32 v8, v4
	v_mov_b32_e32 v9, v0
	global_store_dwordx2 v[6:7], v[8:9], off
.LBB9_17:
	s_or_b64 exec, exec, s[2:3]
	s_andn2_b64 vcc, exec, s[4:5]
	v_mov_b32_e32 v0, 1.0
	s_cbranch_vccnz .LBB9_19
; %bb.18:
	v_div_scale_f32 v0, s[2:3], v1, v1, 1.0
	v_rcp_f32_e32 v3, v0
	v_div_scale_f32 v4, vcc, 1.0, v1, 1.0
	v_fma_f32 v6, -v0, v3, 1.0
	v_fmac_f32_e32 v3, v6, v3
	v_mul_f32_e32 v6, v4, v3
	v_fma_f32 v7, -v0, v6, v4
	v_fmac_f32_e32 v6, v7, v3
	v_fma_f32 v0, -v0, v6, v4
	v_div_fmas_f32 v0, v0, v3, v6
	v_div_fixup_f32 v0, v0, v1, 1.0
.LBB9_19:
	v_cvt_f32_f16_sdwa v9, v61 dst_sel:DWORD dst_unused:UNUSED_PAD src0_sel:WORD_1
	v_cvt_f32_f16_e32 v8, v61
	v_cvt_f32_f16_sdwa v11, v62 dst_sel:DWORD dst_unused:UNUSED_PAD src0_sel:WORD_1
	v_cvt_f32_f16_e32 v10, v62
	v_add_u32_e32 v2, s6, v2
	v_lshl_add_u32 v6, v2, 7, v33
	v_mov_b32_e32 v7, 0
	v_lshl_add_u64 v[12:13], v[6:7], 2, s[20:21]
	v_pk_mul_f32 v[6:7], v[0:1], v[8:9] op_sel_hi:[0,1]
	v_pk_mul_f32 v[8:9], v[0:1], v[10:11] op_sel_hi:[0,1]
	global_store_dwordx4 v[12:13], v[6:9], off
	s_and_b64 exec, exec, s[0:1]
	s_cbranch_execz .LBB9_21
; %bb.20:
	v_ashrrev_i32_e32 v3, 31, v2
	v_lshl_add_u64 v[2:3], v[2:3], 3, s[22:23]
	v_mov_b32_e32 v0, v5
	global_store_dwordx2 v[2:3], v[0:1], off
.LBB9_21:
	s_endpgm
	.section	.rodata,"a",@progbits
	.p2align	6, 0x0
	.amdhsa_kernel _ZL15flash_attn_tileILi128ELi128ELi2ELi8ELb0EEvPKcS1_S1_S1_S1_PKiPfP15HIP_vector_typeIfLj2EEffffjfiS5_IjLj3EEiiiiiiiiiiiliiliiiiil
		.amdhsa_group_segment_fixed_size 23552
		.amdhsa_private_segment_fixed_size 0
		.amdhsa_kernarg_size 464
		.amdhsa_user_sgpr_count 2
		.amdhsa_user_sgpr_dispatch_ptr 0
		.amdhsa_user_sgpr_queue_ptr 0
		.amdhsa_user_sgpr_kernarg_segment_ptr 1
		.amdhsa_user_sgpr_dispatch_id 0
		.amdhsa_user_sgpr_kernarg_preload_length 0
		.amdhsa_user_sgpr_kernarg_preload_offset 0
		.amdhsa_user_sgpr_private_segment_size 0
		.amdhsa_uses_dynamic_stack 0
		.amdhsa_enable_private_segment 0
		.amdhsa_system_sgpr_workgroup_id_x 1
		.amdhsa_system_sgpr_workgroup_id_y 1
		.amdhsa_system_sgpr_workgroup_id_z 1
		.amdhsa_system_sgpr_workgroup_info 0
		.amdhsa_system_vgpr_workitem_id 1
		.amdhsa_next_free_vgpr 88
		.amdhsa_next_free_sgpr 91
		.amdhsa_accum_offset 88
		.amdhsa_reserve_vcc 1
		.amdhsa_float_round_mode_32 0
		.amdhsa_float_round_mode_16_64 0
		.amdhsa_float_denorm_mode_32 3
		.amdhsa_float_denorm_mode_16_64 3
		.amdhsa_dx10_clamp 1
		.amdhsa_ieee_mode 1
		.amdhsa_fp16_overflow 0
		.amdhsa_tg_split 0
		.amdhsa_exception_fp_ieee_invalid_op 0
		.amdhsa_exception_fp_denorm_src 0
		.amdhsa_exception_fp_ieee_div_zero 0
		.amdhsa_exception_fp_ieee_overflow 0
		.amdhsa_exception_fp_ieee_underflow 0
		.amdhsa_exception_fp_ieee_inexact 0
		.amdhsa_exception_int_div_zero 0
	.end_amdhsa_kernel
	.section	.text._ZL15flash_attn_tileILi128ELi128ELi2ELi8ELb0EEvPKcS1_S1_S1_S1_PKiPfP15HIP_vector_typeIfLj2EEffffjfiS5_IjLj3EEiiiiiiiiiiiliiliiiiil,"axG",@progbits,_ZL15flash_attn_tileILi128ELi128ELi2ELi8ELb0EEvPKcS1_S1_S1_S1_PKiPfP15HIP_vector_typeIfLj2EEffffjfiS5_IjLj3EEiiiiiiiiiiiliiliiiiil,comdat
.Lfunc_end9:
	.size	_ZL15flash_attn_tileILi128ELi128ELi2ELi8ELb0EEvPKcS1_S1_S1_S1_PKiPfP15HIP_vector_typeIfLj2EEffffjfiS5_IjLj3EEiiiiiiiiiiiliiliiiiil, .Lfunc_end9-_ZL15flash_attn_tileILi128ELi128ELi2ELi8ELb0EEvPKcS1_S1_S1_S1_PKiPfP15HIP_vector_typeIfLj2EEffffjfiS5_IjLj3EEiiiiiiiiiiiliiliiiiil
                                        ; -- End function
	.set _ZL15flash_attn_tileILi128ELi128ELi2ELi8ELb0EEvPKcS1_S1_S1_S1_PKiPfP15HIP_vector_typeIfLj2EEffffjfiS5_IjLj3EEiiiiiiiiiiiliiliiiiil.num_vgpr, 88
	.set _ZL15flash_attn_tileILi128ELi128ELi2ELi8ELb0EEvPKcS1_S1_S1_S1_PKiPfP15HIP_vector_typeIfLj2EEffffjfiS5_IjLj3EEiiiiiiiiiiiliiliiiiil.num_agpr, 0
	.set _ZL15flash_attn_tileILi128ELi128ELi2ELi8ELb0EEvPKcS1_S1_S1_S1_PKiPfP15HIP_vector_typeIfLj2EEffffjfiS5_IjLj3EEiiiiiiiiiiiliiliiiiil.numbered_sgpr, 44
	.set _ZL15flash_attn_tileILi128ELi128ELi2ELi8ELb0EEvPKcS1_S1_S1_S1_PKiPfP15HIP_vector_typeIfLj2EEffffjfiS5_IjLj3EEiiiiiiiiiiiliiliiiiil.num_named_barrier, 0
	.set _ZL15flash_attn_tileILi128ELi128ELi2ELi8ELb0EEvPKcS1_S1_S1_S1_PKiPfP15HIP_vector_typeIfLj2EEffffjfiS5_IjLj3EEiiiiiiiiiiiliiliiiiil.private_seg_size, 0
	.set _ZL15flash_attn_tileILi128ELi128ELi2ELi8ELb0EEvPKcS1_S1_S1_S1_PKiPfP15HIP_vector_typeIfLj2EEffffjfiS5_IjLj3EEiiiiiiiiiiiliiliiiiil.uses_vcc, 1
	.set _ZL15flash_attn_tileILi128ELi128ELi2ELi8ELb0EEvPKcS1_S1_S1_S1_PKiPfP15HIP_vector_typeIfLj2EEffffjfiS5_IjLj3EEiiiiiiiiiiiliiliiiiil.uses_flat_scratch, 0
	.set _ZL15flash_attn_tileILi128ELi128ELi2ELi8ELb0EEvPKcS1_S1_S1_S1_PKiPfP15HIP_vector_typeIfLj2EEffffjfiS5_IjLj3EEiiiiiiiiiiiliiliiiiil.has_dyn_sized_stack, 0
	.set _ZL15flash_attn_tileILi128ELi128ELi2ELi8ELb0EEvPKcS1_S1_S1_S1_PKiPfP15HIP_vector_typeIfLj2EEffffjfiS5_IjLj3EEiiiiiiiiiiiliiliiiiil.has_recursion, 0
	.set _ZL15flash_attn_tileILi128ELi128ELi2ELi8ELb0EEvPKcS1_S1_S1_S1_PKiPfP15HIP_vector_typeIfLj2EEffffjfiS5_IjLj3EEiiiiiiiiiiiliiliiiiil.has_indirect_call, 0
	.section	.AMDGPU.csdata,"",@progbits
; Kernel info:
; codeLenInByte = 13408
; TotalNumSgprs: 50
; NumVgprs: 88
; NumAgprs: 0
; TotalNumVgprs: 88
; ScratchSize: 0
; MemoryBound: 0
; FloatMode: 240
; IeeeMode: 1
; LDSByteSize: 23552 bytes/workgroup (compile time only)
; SGPRBlocks: 12
; VGPRBlocks: 10
; NumSGPRsForWavesPerEU: 97
; NumVGPRsForWavesPerEU: 88
; AccumOffset: 88
; Occupancy: 5
; WaveLimiterHint : 1
; COMPUTE_PGM_RSRC2:SCRATCH_EN: 0
; COMPUTE_PGM_RSRC2:USER_SGPR: 2
; COMPUTE_PGM_RSRC2:TRAP_HANDLER: 0
; COMPUTE_PGM_RSRC2:TGID_X_EN: 1
; COMPUTE_PGM_RSRC2:TGID_Y_EN: 1
; COMPUTE_PGM_RSRC2:TGID_Z_EN: 1
; COMPUTE_PGM_RSRC2:TIDIG_COMP_CNT: 1
; COMPUTE_PGM_RSRC3_GFX90A:ACCUM_OFFSET: 21
; COMPUTE_PGM_RSRC3_GFX90A:TG_SPLIT: 0
	.section	.text._ZL25flash_attn_mask_to_KV_maxILi2EEvPK7__half2Piiii,"axG",@progbits,_ZL25flash_attn_mask_to_KV_maxILi2EEvPK7__half2Piiii,comdat
	.globl	_ZL25flash_attn_mask_to_KV_maxILi2EEvPK7__half2Piiii ; -- Begin function _ZL25flash_attn_mask_to_KV_maxILi2EEvPK7__half2Piiii
	.p2align	8
	.type	_ZL25flash_attn_mask_to_KV_maxILi2EEvPK7__half2Piiii,@function
_ZL25flash_attn_mask_to_KV_maxILi2EEvPK7__half2Piiii: ; @_ZL25flash_attn_mask_to_KV_maxILi2EEvPK7__half2Piiii
; %bb.0:
	s_load_dwordx4 s[4:7], s[0:1], 0x0
	v_cmp_gt_u32_e32 vcc, 32, v0
	s_and_saveexec_b64 s[8:9], vcc
; %bb.1:
	v_lshlrev_b32_e32 v1, 2, v0
	v_mov_b32_e32 v2, 1
	ds_write_b32 v1, v2
; %bb.2:
	s_or_b64 exec, exec, s[8:9]
	s_load_dwordx4 s[8:11], s[0:1], 0x10
	s_load_dword s16, s[0:1], 0x20
	v_and_b32_e32 v2, 31, v0
	v_lshlrev_b32_e32 v4, 2, v2
	v_lshrrev_b32_e32 v1, 3, v0
	s_waitcnt lgkmcnt(0)
	s_mul_i32 s1, s2, s9
	s_mul_i32 s0, s10, s3
	s_lshl_b32 s1, s1, 1
	s_add_i32 s0, s0, s1
	s_ashr_i32 s1, s0, 31
	s_lshl_b64 s[0:1], s[0:1], 2
	s_add_u32 s10, s4, s0
	s_addc_u32 s11, s5, s1
	v_cmp_eq_u32_e64 s[0:1], 0, v2
	v_mbcnt_lo_u32_b32 v2, -1, 0
	v_mbcnt_hi_u32_b32 v5, -1, v2
	v_and_b32_e32 v2, 0x60, v5
	s_lshl_b32 s8, s8, 8
	s_mov_b64 s[12:13], 0
	v_mov_b32_e32 v3, 0
	s_movk_i32 s17, 0x204
	v_add_u32_e32 v6, 32, v2
	v_xor_b32_e32 v7, 16, v5
	v_xor_b32_e32 v8, 8, v5
	;; [unrolled: 1-line block ×5, first 2 shown]
	s_barrier
                                        ; implicit-def: $sgpr4_sgpr5
	s_branch .LBB10_5
.LBB10_3:                               ;   in Loop: Header=BB10_5 Depth=1
	s_or_b64 exec, exec, s[14:15]
	s_waitcnt lgkmcnt(0)
	s_barrier
	ds_read_b32 v16, v4
	s_waitcnt lgkmcnt(0)
	s_barrier
	ds_bpermute_b32 v2, v2, v16
	v_cmp_ne_u32_e32 vcc, 0, v16
	s_waitcnt lgkmcnt(0)
	v_cmp_ne_u32_e64 s[4:5], 0, v2
	s_and_b64 s[4:5], vcc, s[4:5]
	s_nop 0
	v_cndmask_b32_e64 v2, 0, 1, s[4:5]
	ds_bpermute_b32 v2, v12, v2
	s_waitcnt lgkmcnt(0)
	v_cmp_ne_u32_e32 vcc, 0, v2
	s_and_b64 s[4:5], vcc, s[4:5]
	v_cndmask_b32_e64 v2, 0, 1, s[4:5]
	ds_bpermute_b32 v2, v13, v2
	s_waitcnt lgkmcnt(0)
	v_cmp_ne_u32_e32 vcc, 0, v2
	s_and_b64 s[4:5], vcc, s[4:5]
	;; [unrolled: 5-line block ×3, first 2 shown]
	v_cndmask_b32_e64 v2, 0, 1, s[4:5]
	ds_bpermute_b32 v2, v15, v2
	s_xor_b64 s[4:5], s[4:5], -1
	s_waitcnt lgkmcnt(0)
	v_cmp_eq_u32_e32 vcc, 0, v2
	s_or_b64 s[4:5], vcc, s[4:5]
.LBB10_4:                               ;   in Loop: Header=BB10_5 Depth=1
	s_and_b64 s[14:15], exec, s[4:5]
	s_or_b64 s[12:13], s[14:15], s[12:13]
	v_mov_b32_e32 v2, s8
	s_mov_b32 s8, s18
	s_andn2_b64 exec, exec, s[12:13]
	s_cbranch_execz .LBB10_12
.LBB10_5:                               ; =>This Inner Loop Header: Depth=1
	s_add_i32 s18, s8, 0xffffff00
	s_or_b64 s[4:5], s[4:5], exec
	s_cmp_lt_i32 s18, 0
	s_cbranch_scc1 .LBB10_4
; %bb.6:                                ;   in Loop: Header=BB10_5 Depth=1
	s_lshr_b32 s4, s18, 1
	v_add_u32_e32 v2, s4, v0
	v_lshl_add_u64 v[12:13], v[2:3], 2, s[10:11]
	global_load_dword v12, v[12:13], off
	s_waitcnt vmcnt(0)
	v_cmp_class_f16_e64 s[4:5], v12, s17
	v_cmp_class_f16_sdwa s[14:15], v12, s17 src0_sel:WORD_1 src1_sel:DWORD
	s_and_b64 s[14:15], s[4:5], s[14:15]
	v_mov_b32_e32 v12, 0
	s_and_saveexec_b64 s[4:5], s[14:15]
	s_cbranch_execz .LBB10_10
; %bb.7:                                ;   in Loop: Header=BB10_5 Depth=1
	v_add_u32_e32 v12, s9, v2
	v_ashrrev_i32_e32 v13, 31, v12
	v_lshl_add_u64 v[12:13], v[12:13], 2, s[10:11]
	global_load_dword v2, v[12:13], off
	v_mov_b32_e32 v12, 0
	s_waitcnt vmcnt(0)
	v_cmp_class_f16_e64 s[20:21], v2, s17
	s_and_saveexec_b64 s[14:15], s[20:21]
; %bb.8:                                ;   in Loop: Header=BB10_5 Depth=1
	v_cmp_class_f16_sdwa s[20:21], v2, s17 src0_sel:WORD_1 src1_sel:DWORD
	s_nop 1
	v_cndmask_b32_e64 v12, 0, 1, s[20:21]
; %bb.9:                                ;   in Loop: Header=BB10_5 Depth=1
	s_or_b64 exec, exec, s[14:15]
.LBB10_10:                              ;   in Loop: Header=BB10_5 Depth=1
	s_or_b64 exec, exec, s[4:5]
	v_cmp_lt_i32_e32 vcc, v7, v6
	s_nop 1
	v_cndmask_b32_e32 v2, v5, v7, vcc
	v_lshlrev_b32_e32 v2, 2, v2
	ds_bpermute_b32 v13, v2, v12
	v_cmp_ne_u32_e32 vcc, 0, v12
	s_waitcnt lgkmcnt(0)
	v_cmp_ne_u32_e64 s[4:5], 0, v13
	s_and_b64 s[4:5], vcc, s[4:5]
	v_cmp_lt_i32_e32 vcc, v8, v6
	v_cndmask_b32_e64 v13, 0, 1, s[4:5]
	s_nop 0
	v_cndmask_b32_e32 v12, v5, v8, vcc
	v_lshlrev_b32_e32 v12, 2, v12
	ds_bpermute_b32 v13, v12, v13
	s_waitcnt lgkmcnt(0)
	v_cmp_ne_u32_e32 vcc, 0, v13
	s_and_b64 s[4:5], vcc, s[4:5]
	v_cmp_lt_i32_e32 vcc, v9, v6
	v_cndmask_b32_e64 v14, 0, 1, s[4:5]
	s_nop 0
	v_cndmask_b32_e32 v13, v5, v9, vcc
	v_lshlrev_b32_e32 v13, 2, v13
	ds_bpermute_b32 v14, v13, v14
	s_waitcnt lgkmcnt(0)
	v_cmp_ne_u32_e32 vcc, 0, v14
	;; [unrolled: 9-line block ×3, first 2 shown]
	s_and_b64 s[4:5], vcc, s[4:5]
	v_cmp_lt_i32_e32 vcc, v11, v6
	v_cndmask_b32_e64 v16, 0, 1, s[4:5]
	s_nop 0
	v_cndmask_b32_e32 v15, v5, v11, vcc
	v_lshlrev_b32_e32 v15, 2, v15
	ds_bpermute_b32 v16, v15, v16
	s_and_saveexec_b64 s[14:15], s[0:1]
	s_cbranch_execz .LBB10_3
; %bb.11:                               ;   in Loop: Header=BB10_5 Depth=1
	s_waitcnt lgkmcnt(0)
	v_cmp_ne_u32_e32 vcc, 0, v16
	s_and_b64 s[4:5], vcc, s[4:5]
	v_cndmask_b32_e64 v16, 0, 1, s[4:5]
	ds_write_b32 v1, v16
	s_branch .LBB10_3
.LBB10_12:
	s_or_b64 exec, exec, s[12:13]
	v_cmp_eq_u32_e32 vcc, 0, v0
	s_and_saveexec_b64 s[0:1], vcc
	s_cbranch_execz .LBB10_14
; %bb.13:
	s_mul_i32 s0, s16, s3
	s_add_i32 s0, s0, s2
	s_ashr_i32 s1, s0, 31
	s_lshl_b64 s[0:1], s[0:1], 2
	s_add_u32 s0, s6, s0
	s_addc_u32 s1, s7, s1
	v_mov_b32_e32 v0, 0
	global_store_dword v0, v2, s[0:1]
.LBB10_14:
	s_endpgm
	.section	.rodata,"a",@progbits
	.p2align	6, 0x0
	.amdhsa_kernel _ZL25flash_attn_mask_to_KV_maxILi2EEvPK7__half2Piiii
		.amdhsa_group_segment_fixed_size 128
		.amdhsa_private_segment_fixed_size 0
		.amdhsa_kernarg_size 288
		.amdhsa_user_sgpr_count 2
		.amdhsa_user_sgpr_dispatch_ptr 0
		.amdhsa_user_sgpr_queue_ptr 0
		.amdhsa_user_sgpr_kernarg_segment_ptr 1
		.amdhsa_user_sgpr_dispatch_id 0
		.amdhsa_user_sgpr_kernarg_preload_length 0
		.amdhsa_user_sgpr_kernarg_preload_offset 0
		.amdhsa_user_sgpr_private_segment_size 0
		.amdhsa_uses_dynamic_stack 0
		.amdhsa_enable_private_segment 0
		.amdhsa_system_sgpr_workgroup_id_x 1
		.amdhsa_system_sgpr_workgroup_id_y 1
		.amdhsa_system_sgpr_workgroup_id_z 0
		.amdhsa_system_sgpr_workgroup_info 0
		.amdhsa_system_vgpr_workitem_id 0
		.amdhsa_next_free_vgpr 17
		.amdhsa_next_free_sgpr 22
		.amdhsa_accum_offset 20
		.amdhsa_reserve_vcc 1
		.amdhsa_float_round_mode_32 0
		.amdhsa_float_round_mode_16_64 0
		.amdhsa_float_denorm_mode_32 3
		.amdhsa_float_denorm_mode_16_64 3
		.amdhsa_dx10_clamp 1
		.amdhsa_ieee_mode 1
		.amdhsa_fp16_overflow 0
		.amdhsa_tg_split 0
		.amdhsa_exception_fp_ieee_invalid_op 0
		.amdhsa_exception_fp_denorm_src 0
		.amdhsa_exception_fp_ieee_div_zero 0
		.amdhsa_exception_fp_ieee_overflow 0
		.amdhsa_exception_fp_ieee_underflow 0
		.amdhsa_exception_fp_ieee_inexact 0
		.amdhsa_exception_int_div_zero 0
	.end_amdhsa_kernel
	.section	.text._ZL25flash_attn_mask_to_KV_maxILi2EEvPK7__half2Piiii,"axG",@progbits,_ZL25flash_attn_mask_to_KV_maxILi2EEvPK7__half2Piiii,comdat
.Lfunc_end10:
	.size	_ZL25flash_attn_mask_to_KV_maxILi2EEvPK7__half2Piiii, .Lfunc_end10-_ZL25flash_attn_mask_to_KV_maxILi2EEvPK7__half2Piiii
                                        ; -- End function
	.set _ZL25flash_attn_mask_to_KV_maxILi2EEvPK7__half2Piiii.num_vgpr, 17
	.set _ZL25flash_attn_mask_to_KV_maxILi2EEvPK7__half2Piiii.num_agpr, 0
	.set _ZL25flash_attn_mask_to_KV_maxILi2EEvPK7__half2Piiii.numbered_sgpr, 22
	.set _ZL25flash_attn_mask_to_KV_maxILi2EEvPK7__half2Piiii.num_named_barrier, 0
	.set _ZL25flash_attn_mask_to_KV_maxILi2EEvPK7__half2Piiii.private_seg_size, 0
	.set _ZL25flash_attn_mask_to_KV_maxILi2EEvPK7__half2Piiii.uses_vcc, 1
	.set _ZL25flash_attn_mask_to_KV_maxILi2EEvPK7__half2Piiii.uses_flat_scratch, 0
	.set _ZL25flash_attn_mask_to_KV_maxILi2EEvPK7__half2Piiii.has_dyn_sized_stack, 0
	.set _ZL25flash_attn_mask_to_KV_maxILi2EEvPK7__half2Piiii.has_recursion, 0
	.set _ZL25flash_attn_mask_to_KV_maxILi2EEvPK7__half2Piiii.has_indirect_call, 0
	.section	.AMDGPU.csdata,"",@progbits
; Kernel info:
; codeLenInByte = 836
; TotalNumSgprs: 28
; NumVgprs: 17
; NumAgprs: 0
; TotalNumVgprs: 17
; ScratchSize: 0
; MemoryBound: 0
; FloatMode: 240
; IeeeMode: 1
; LDSByteSize: 128 bytes/workgroup (compile time only)
; SGPRBlocks: 3
; VGPRBlocks: 2
; NumSGPRsForWavesPerEU: 28
; NumVGPRsForWavesPerEU: 17
; AccumOffset: 20
; Occupancy: 8
; WaveLimiterHint : 0
; COMPUTE_PGM_RSRC2:SCRATCH_EN: 0
; COMPUTE_PGM_RSRC2:USER_SGPR: 2
; COMPUTE_PGM_RSRC2:TRAP_HANDLER: 0
; COMPUTE_PGM_RSRC2:TGID_X_EN: 1
; COMPUTE_PGM_RSRC2:TGID_Y_EN: 1
; COMPUTE_PGM_RSRC2:TGID_Z_EN: 0
; COMPUTE_PGM_RSRC2:TIDIG_COMP_CNT: 0
; COMPUTE_PGM_RSRC3_GFX90A:ACCUM_OFFSET: 4
; COMPUTE_PGM_RSRC3_GFX90A:TG_SPLIT: 0
	.section	.text._ZL33flash_attn_stream_k_fixup_uniformILi128ELi2ELi8EEvPfPK15HIP_vector_typeIfLj2EEiiiiiiS1_IjLj3EES5_S5_,"axG",@progbits,_ZL33flash_attn_stream_k_fixup_uniformILi128ELi2ELi8EEvPfPK15HIP_vector_typeIfLj2EEiiiiiiS1_IjLj3EES5_S5_,comdat
	.globl	_ZL33flash_attn_stream_k_fixup_uniformILi128ELi2ELi8EEvPfPK15HIP_vector_typeIfLj2EEiiiiiiS1_IjLj3EES5_S5_ ; -- Begin function _ZL33flash_attn_stream_k_fixup_uniformILi128ELi2ELi8EEvPfPK15HIP_vector_typeIfLj2EEiiiiiiS1_IjLj3EES5_S5_
	.p2align	8
	.type	_ZL33flash_attn_stream_k_fixup_uniformILi128ELi2ELi8EEvPfPK15HIP_vector_typeIfLj2EEiiiiiiS1_IjLj3EES5_S5_,@function
_ZL33flash_attn_stream_k_fixup_uniformILi128ELi2ELi8EEvPfPK15HIP_vector_typeIfLj2EEiiiiiiS1_IjLj3EES5_S5_: ; @_ZL33flash_attn_stream_k_fixup_uniformILi128ELi2ELi8EEvPfPK15HIP_vector_typeIfLj2EEiiiiiiS1_IjLj3EES5_S5_
; %bb.0:
	s_load_dwordx8 s[8:15], s[0:1], 0x1c
	s_load_dwordx2 s[6:7], s[0:1], 0x10
	s_load_dwordx4 s[20:23], s[0:1], 0x3c
	s_waitcnt lgkmcnt(0)
	s_mul_hi_u32 s5, s11, s2
	s_add_i32 s5, s2, s5
	s_lshr_b32 s5, s5, s12
	s_mul_i32 s11, s5, s13
	s_sub_i32 s11, s2, s11
	s_mul_hi_u32 s12, s11, s14
	s_add_i32 s12, s11, s12
	s_lshr_b32 s16, s12, s15
	s_mul_i32 s12, s16, s20
	s_sub_i32 s11, s11, s12
	;; [unrolled: 5-line block ×3, first 2 shown]
	s_lshl_b32 s11, s12, 3
	s_lshl_b32 s12, s17, 1
	s_add_i32 s12, s12, s3
	s_cmp_lt_i32 s12, s6
	s_cselect_b64 s[12:13], -1, 0
	s_add_i32 s14, s11, s4
	s_cmp_lt_i32 s14, s9
	s_cselect_b64 s[14:15], -1, 0
	s_and_b64 s[12:13], s[12:13], s[14:15]
	s_andn2_b64 vcc, exec, s[12:13]
	s_cbranch_vccnz .LBB11_6
; %bb.1:
	s_load_dwordx4 s[12:15], s[0:1], 0x0
	s_mul_i32 s0, s5, s6
	s_add_i32 s0, s0, s3
	s_mul_i32 s0, s0, s7
	s_mul_i32 s16, s16, s9
	s_add_i32 s0, s0, s4
	s_add_i32 s0, s0, s16
	s_mul_i32 s1, s7, s17
	s_add_i32 s0, s0, s11
	s_lshl_b32 s1, s1, 8
	s_lshl_b32 s0, s0, 7
	s_add_i32 s1, s1, s0
	v_or_b32_e32 v4, s1, v0
	s_waitcnt lgkmcnt(0)
	v_mov_b32_e32 v2, s12
	v_mov_b32_e32 v3, s13
	v_ashrrev_i32_e32 v5, 31, v4
	v_lshl_add_u64 v[2:3], v[4:5], 2, v[2:3]
	global_load_dword v5, v[2:3], off
	s_mul_i32 s5, s10, s2
	s_lshl_b32 s11, s3, 3
	s_add_i32 s9, s5, s10
	s_add_i32 s0, s11, s4
	s_lshl_b32 s1, s9, 4
	s_add_i32 s0, s0, s1
	s_add_i32 s0, s0, -16
	s_ashr_i32 s1, s0, 31
	s_lshl_b64 s[0:1], s[0:1], 3
	s_add_u32 s0, s14, s0
	s_addc_u32 s1, s15, s1
	s_load_dword s12, s[0:1], 0x4
	s_add_i32 s6, s9, -2
	s_cmp_lt_i32 s6, s5
	s_cbranch_scc1 .LBB11_4
; %bb.2:
	s_lshl_b32 s6, s8, 6
	s_ashr_i32 s7, s6, 31
	s_lshl_b64 s[6:7], s[6:7], 2
	s_add_u32 s6, s14, s6
	s_addc_u32 s7, s15, s7
	s_add_i32 s2, s2, 1
	s_load_dword s0, s[0:1], 0x0
	s_mul_i32 s1, s10, s2
	s_lshl_b32 s3, s3, 10
	s_lshl_b32 s10, s4, 7
	;; [unrolled: 1-line block ×3, first 2 shown]
	s_add_i32 s3, s10, s3
	s_lshl_b32 s1, s1, 4
	s_add_i32 s3, s3, s2
	s_add_i32 s1, s4, s1
	s_lshl_b32 s2, s8, 4
	s_add_i32 s1, s1, s2
	v_or_b32_e32 v0, s3, v0
	s_add_i32 s1, s1, s11
	s_add_i32 s9, s9, -1
	v_add_u32_e32 v0, 0xfffff000, v0
	s_sub_i32 s2, s1, 32
	s_waitcnt lgkmcnt(0)
	v_mov_b32_e32 v7, s0
	v_mov_b32_e32 v4, s12
	s_mov_b32 s4, 0x3fb8aa3b
	s_mov_b32 s8, 0xc2ce8ed0
	;; [unrolled: 1-line block ×3, first 2 shown]
	v_mov_b32_e32 v6, 0x7f800000
	s_mov_b32 s11, 0xc1a00000
.LBB11_3:                               ; =>This Inner Loop Header: Depth=1
	v_ashrrev_i32_e32 v1, 31, v0
	v_lshl_add_u64 v[8:9], v[0:1], 2, s[6:7]
	global_load_dword v9, v[8:9], off
	s_ashr_i32 s3, s2, 31
	s_lshl_b64 s[0:1], s[2:3], 3
	s_add_u32 s0, s14, s0
	s_addc_u32 s1, s15, s1
	s_load_dwordx2 s[0:1], s[0:1], 0x0
	v_max_f32_e32 v1, v7, v7
	s_add_i32 s9, s9, -1
	s_add_i32 s2, s2, -16
	v_add_u32_e32 v0, 0xfffff800, v0
	s_waitcnt lgkmcnt(0)
	v_max_f32_e64 v10, s0, s0
	v_max_f32_e32 v1, v1, v10
	v_sub_f32_e32 v11, s0, v1
	v_sub_f32_e32 v10, v7, v1
	v_mul_f32_e32 v12, 0x3fb8aa3b, v11
	v_mov_b32_e32 v7, v1
	v_mul_f32_e32 v1, 0x3fb8aa3b, v10
	v_fma_f32 v15, v11, s4, -v12
	v_rndne_f32_e32 v16, v12
	v_fma_f32 v13, v10, s4, -v1
	v_rndne_f32_e32 v14, v1
	v_fmac_f32_e32 v15, 0x32a5705f, v11
	v_sub_f32_e32 v12, v12, v16
	v_fmac_f32_e32 v13, 0x32a5705f, v10
	v_sub_f32_e32 v1, v1, v14
	v_add_f32_e32 v12, v12, v15
	v_cvt_i32_f32_e32 v16, v16
	v_add_f32_e32 v1, v1, v13
	v_exp_f32_e32 v12, v12
	v_cvt_i32_f32_e32 v14, v14
	v_exp_f32_e32 v1, v1
	v_cmp_ngt_f32_e32 vcc, s8, v11
	v_ldexp_f32 v12, v12, v16
	v_mov_b32_e32 v8, s1
	v_ldexp_f32 v1, v1, v14
	v_cmp_ngt_f32_e64 s[0:1], s8, v10
	v_cndmask_b32_e32 v12, 0, v12, vcc
	v_cmp_nlt_f32_e32 vcc, s10, v11
	v_cndmask_b32_e64 v1, 0, v1, s[0:1]
	v_cmp_nlt_f32_e64 s[0:1], s10, v10
	v_cndmask_b32_e32 v12, v6, v12, vcc
	v_cmp_le_f32_e32 vcc, s11, v11
	v_cndmask_b32_e64 v1, v6, v1, s[0:1]
	v_cmp_le_f32_e64 s[0:1], s11, v10
	v_cndmask_b32_e32 v12, 0, v12, vcc
	s_cmp_le_i32 s9, s5
	v_cndmask_b32_e64 v10, 0, v1, s[0:1]
	s_waitcnt vmcnt(0)
	v_pk_mul_f32 v[8:9], v[8:9], v[12:13] op_sel_hi:[1,0]
	s_nop 0
	v_pk_fma_f32 v[4:5], v[4:5], v[10:11], v[8:9] op_sel_hi:[1,0,1]
	s_cbranch_scc0 .LBB11_3
	s_branch .LBB11_5
.LBB11_4:
	s_waitcnt lgkmcnt(0)
	v_mov_b32_e32 v4, s12
.LBB11_5:
	s_waitcnt vmcnt(0)
	v_div_scale_f32 v0, s[0:1], v4, v4, v5
	v_rcp_f32_e32 v1, v0
	v_div_scale_f32 v6, vcc, v5, v4, v5
	v_fma_f32 v7, -v0, v1, 1.0
	v_fmac_f32_e32 v1, v7, v1
	v_mul_f32_e32 v7, v6, v1
	v_fma_f32 v8, -v0, v7, v6
	v_fmac_f32_e32 v7, v8, v1
	v_fma_f32 v0, -v0, v7, v6
	v_div_fmas_f32 v0, v0, v1, v7
	v_div_fixup_f32 v0, v0, v4, v5
	global_store_dword v[2:3], v0, off
.LBB11_6:
	s_endpgm
	.section	.rodata,"a",@progbits
	.p2align	6, 0x0
	.amdhsa_kernel _ZL33flash_attn_stream_k_fixup_uniformILi128ELi2ELi8EEvPfPK15HIP_vector_typeIfLj2EEiiiiiiS1_IjLj3EES5_S5_
		.amdhsa_group_segment_fixed_size 0
		.amdhsa_private_segment_fixed_size 0
		.amdhsa_kernarg_size 76
		.amdhsa_user_sgpr_count 2
		.amdhsa_user_sgpr_dispatch_ptr 0
		.amdhsa_user_sgpr_queue_ptr 0
		.amdhsa_user_sgpr_kernarg_segment_ptr 1
		.amdhsa_user_sgpr_dispatch_id 0
		.amdhsa_user_sgpr_kernarg_preload_length 0
		.amdhsa_user_sgpr_kernarg_preload_offset 0
		.amdhsa_user_sgpr_private_segment_size 0
		.amdhsa_uses_dynamic_stack 0
		.amdhsa_enable_private_segment 0
		.amdhsa_system_sgpr_workgroup_id_x 1
		.amdhsa_system_sgpr_workgroup_id_y 1
		.amdhsa_system_sgpr_workgroup_id_z 1
		.amdhsa_system_sgpr_workgroup_info 0
		.amdhsa_system_vgpr_workitem_id 0
		.amdhsa_next_free_vgpr 17
		.amdhsa_next_free_sgpr 24
		.amdhsa_accum_offset 20
		.amdhsa_reserve_vcc 1
		.amdhsa_float_round_mode_32 0
		.amdhsa_float_round_mode_16_64 0
		.amdhsa_float_denorm_mode_32 3
		.amdhsa_float_denorm_mode_16_64 3
		.amdhsa_dx10_clamp 1
		.amdhsa_ieee_mode 1
		.amdhsa_fp16_overflow 0
		.amdhsa_tg_split 0
		.amdhsa_exception_fp_ieee_invalid_op 0
		.amdhsa_exception_fp_denorm_src 0
		.amdhsa_exception_fp_ieee_div_zero 0
		.amdhsa_exception_fp_ieee_overflow 0
		.amdhsa_exception_fp_ieee_underflow 0
		.amdhsa_exception_fp_ieee_inexact 0
		.amdhsa_exception_int_div_zero 0
	.end_amdhsa_kernel
	.section	.text._ZL33flash_attn_stream_k_fixup_uniformILi128ELi2ELi8EEvPfPK15HIP_vector_typeIfLj2EEiiiiiiS1_IjLj3EES5_S5_,"axG",@progbits,_ZL33flash_attn_stream_k_fixup_uniformILi128ELi2ELi8EEvPfPK15HIP_vector_typeIfLj2EEiiiiiiS1_IjLj3EES5_S5_,comdat
.Lfunc_end11:
	.size	_ZL33flash_attn_stream_k_fixup_uniformILi128ELi2ELi8EEvPfPK15HIP_vector_typeIfLj2EEiiiiiiS1_IjLj3EES5_S5_, .Lfunc_end11-_ZL33flash_attn_stream_k_fixup_uniformILi128ELi2ELi8EEvPfPK15HIP_vector_typeIfLj2EEiiiiiiS1_IjLj3EES5_S5_
                                        ; -- End function
	.set _ZL33flash_attn_stream_k_fixup_uniformILi128ELi2ELi8EEvPfPK15HIP_vector_typeIfLj2EEiiiiiiS1_IjLj3EES5_S5_.num_vgpr, 17
	.set _ZL33flash_attn_stream_k_fixup_uniformILi128ELi2ELi8EEvPfPK15HIP_vector_typeIfLj2EEiiiiiiS1_IjLj3EES5_S5_.num_agpr, 0
	.set _ZL33flash_attn_stream_k_fixup_uniformILi128ELi2ELi8EEvPfPK15HIP_vector_typeIfLj2EEiiiiiiS1_IjLj3EES5_S5_.numbered_sgpr, 24
	.set _ZL33flash_attn_stream_k_fixup_uniformILi128ELi2ELi8EEvPfPK15HIP_vector_typeIfLj2EEiiiiiiS1_IjLj3EES5_S5_.num_named_barrier, 0
	.set _ZL33flash_attn_stream_k_fixup_uniformILi128ELi2ELi8EEvPfPK15HIP_vector_typeIfLj2EEiiiiiiS1_IjLj3EES5_S5_.private_seg_size, 0
	.set _ZL33flash_attn_stream_k_fixup_uniformILi128ELi2ELi8EEvPfPK15HIP_vector_typeIfLj2EEiiiiiiS1_IjLj3EES5_S5_.uses_vcc, 1
	.set _ZL33flash_attn_stream_k_fixup_uniformILi128ELi2ELi8EEvPfPK15HIP_vector_typeIfLj2EEiiiiiiS1_IjLj3EES5_S5_.uses_flat_scratch, 0
	.set _ZL33flash_attn_stream_k_fixup_uniformILi128ELi2ELi8EEvPfPK15HIP_vector_typeIfLj2EEiiiiiiS1_IjLj3EES5_S5_.has_dyn_sized_stack, 0
	.set _ZL33flash_attn_stream_k_fixup_uniformILi128ELi2ELi8EEvPfPK15HIP_vector_typeIfLj2EEiiiiiiS1_IjLj3EES5_S5_.has_recursion, 0
	.set _ZL33flash_attn_stream_k_fixup_uniformILi128ELi2ELi8EEvPfPK15HIP_vector_typeIfLj2EEiiiiiiS1_IjLj3EES5_S5_.has_indirect_call, 0
	.section	.AMDGPU.csdata,"",@progbits
; Kernel info:
; codeLenInByte = 836
; TotalNumSgprs: 30
; NumVgprs: 17
; NumAgprs: 0
; TotalNumVgprs: 17
; ScratchSize: 0
; MemoryBound: 0
; FloatMode: 240
; IeeeMode: 1
; LDSByteSize: 0 bytes/workgroup (compile time only)
; SGPRBlocks: 3
; VGPRBlocks: 2
; NumSGPRsForWavesPerEU: 30
; NumVGPRsForWavesPerEU: 17
; AccumOffset: 20
; Occupancy: 8
; WaveLimiterHint : 0
; COMPUTE_PGM_RSRC2:SCRATCH_EN: 0
; COMPUTE_PGM_RSRC2:USER_SGPR: 2
; COMPUTE_PGM_RSRC2:TRAP_HANDLER: 0
; COMPUTE_PGM_RSRC2:TGID_X_EN: 1
; COMPUTE_PGM_RSRC2:TGID_Y_EN: 1
; COMPUTE_PGM_RSRC2:TGID_Z_EN: 1
; COMPUTE_PGM_RSRC2:TIDIG_COMP_CNT: 0
; COMPUTE_PGM_RSRC3_GFX90A:ACCUM_OFFSET: 4
; COMPUTE_PGM_RSRC3_GFX90A:TG_SPLIT: 0
	.section	.text._ZL33flash_attn_stream_k_fixup_generalILi128ELi2ELi8EEvPfPK15HIP_vector_typeIfLj2EEiiiiS1_IjLj3EES5_S5_S5_,"axG",@progbits,_ZL33flash_attn_stream_k_fixup_generalILi128ELi2ELi8EEvPfPK15HIP_vector_typeIfLj2EEiiiiS1_IjLj3EES5_S5_S5_,comdat
	.globl	_ZL33flash_attn_stream_k_fixup_generalILi128ELi2ELi8EEvPfPK15HIP_vector_typeIfLj2EEiiiiS1_IjLj3EES5_S5_S5_ ; -- Begin function _ZL33flash_attn_stream_k_fixup_generalILi128ELi2ELi8EEvPfPK15HIP_vector_typeIfLj2EEiiiiS1_IjLj3EES5_S5_S5_
	.p2align	8
	.type	_ZL33flash_attn_stream_k_fixup_generalILi128ELi2ELi8EEvPfPK15HIP_vector_typeIfLj2EEiiiiS1_IjLj3EES5_S5_S5_,@function
_ZL33flash_attn_stream_k_fixup_generalILi128ELi2ELi8EEvPfPK15HIP_vector_typeIfLj2EEiiiiS1_IjLj3EES5_S5_S5_: ; @_ZL33flash_attn_stream_k_fixup_generalILi128ELi2ELi8EEvPfPK15HIP_vector_typeIfLj2EEiiiiS1_IjLj3EES5_S5_S5_
; %bb.0:
	s_load_dwordx4 s[8:11], s[0:1], 0x10
	s_load_dword s22, s[0:1], 0x50
	s_mov_b32 s12, 0
	s_waitcnt lgkmcnt(0)
	s_mul_hi_i32 s13, s11, s2
	s_cmp_lg_u64 s[12:13], 0
	s_mul_i32 s5, s11, s2
	s_cbranch_scc0 .LBB12_20
; %bb.1:
	s_add_u32 s6, s22, 0
	s_addc_u32 s7, 0, 0
	s_xor_b64 s[6:7], s[6:7], 0
	v_cvt_f32_u32_e32 v1, s6
	v_cvt_f32_u32_e32 v2, s7
	s_sub_u32 s12, 0, s6
	s_subb_u32 s18, 0, s7
	v_fmamk_f32 v1, v2, 0x4f800000, v1
	v_rcp_f32_e32 v1, v1
	s_nop 0
	v_mul_f32_e32 v1, 0x5f7ffffc, v1
	v_mul_f32_e32 v2, 0x2f800000, v1
	v_trunc_f32_e32 v2, v2
	v_fmamk_f32 v1, v2, 0xcf800000, v1
	v_cvt_u32_f32_e32 v2, v2
	v_cvt_u32_f32_e32 v1, v1
	v_readfirstlane_b32 s19, v2
	v_readfirstlane_b32 s14, v1
	s_mul_i32 s15, s12, s19
	s_mul_hi_u32 s21, s12, s14
	s_mul_i32 s20, s18, s14
	s_add_i32 s15, s21, s15
	s_add_i32 s15, s15, s20
	s_mul_i32 s23, s12, s14
	s_mul_i32 s21, s14, s15
	s_mul_hi_u32 s24, s14, s23
	s_mul_hi_u32 s20, s14, s15
	s_add_u32 s21, s24, s21
	s_addc_u32 s20, 0, s20
	s_mul_hi_u32 s25, s19, s23
	s_mul_i32 s23, s19, s23
	s_add_u32 s21, s21, s23
	s_mul_hi_u32 s24, s19, s15
	s_addc_u32 s20, s20, s25
	s_addc_u32 s21, s24, 0
	s_mul_i32 s15, s19, s15
	s_add_u32 s15, s20, s15
	s_addc_u32 s20, 0, s21
	s_add_u32 s21, s14, s15
	s_cselect_b64 s[14:15], -1, 0
	s_cmp_lg_u64 s[14:15], 0
	s_addc_u32 s19, s19, s20
	s_mul_i32 s14, s12, s19
	s_mul_hi_u32 s15, s12, s21
	s_add_i32 s14, s15, s14
	s_mul_i32 s18, s18, s21
	s_add_i32 s14, s14, s18
	s_mul_i32 s12, s12, s21
	s_mul_hi_u32 s18, s19, s12
	s_mul_i32 s20, s19, s12
	s_mul_i32 s24, s21, s14
	s_mul_hi_u32 s12, s21, s12
	s_mul_hi_u32 s23, s21, s14
	s_add_u32 s12, s12, s24
	s_addc_u32 s23, 0, s23
	s_add_u32 s12, s12, s20
	s_mul_hi_u32 s15, s19, s14
	s_addc_u32 s12, s23, s18
	s_addc_u32 s15, s15, 0
	s_mul_i32 s14, s19, s14
	s_add_u32 s12, s12, s14
	s_addc_u32 s18, 0, s15
	s_add_u32 s20, s21, s12
	s_cselect_b64 s[14:15], -1, 0
	s_cmp_lg_u64 s[14:15], 0
	s_addc_u32 s18, s19, s18
	s_ashr_i32 s14, s13, 31
	s_add_u32 s12, s5, s14
	s_mov_b32 s15, s14
	s_addc_u32 s13, s13, s14
	s_xor_b64 s[12:13], s[12:13], s[14:15]
	s_mul_i32 s21, s12, s18
	s_mul_hi_u32 s23, s12, s20
	s_mul_hi_u32 s19, s12, s18
	s_add_u32 s21, s23, s21
	s_addc_u32 s19, 0, s19
	s_mul_hi_u32 s24, s13, s20
	s_mul_i32 s20, s13, s20
	s_add_u32 s20, s21, s20
	s_mul_hi_u32 s23, s13, s18
	s_addc_u32 s19, s19, s24
	s_addc_u32 s20, s23, 0
	s_mul_i32 s18, s13, s18
	s_add_u32 s23, s19, s18
	s_addc_u32 s24, 0, s20
	s_mul_i32 s18, s6, s24
	s_mul_hi_u32 s19, s6, s23
	s_add_i32 s18, s19, s18
	s_mul_i32 s19, s7, s23
	s_add_i32 s25, s18, s19
	s_sub_i32 s20, s13, s25
	s_mul_i32 s18, s6, s23
	s_sub_u32 s12, s12, s18
	s_cselect_b64 s[18:19], -1, 0
	s_cmp_lg_u64 s[18:19], 0
	s_subb_u32 s26, s20, s7
	s_sub_u32 s27, s12, s6
	s_cselect_b64 s[20:21], -1, 0
	s_cmp_lg_u64 s[20:21], 0
	s_subb_u32 s20, s26, 0
	s_cmp_ge_u32 s20, s7
	s_cselect_b32 s21, -1, 0
	s_cmp_ge_u32 s27, s6
	s_cselect_b32 s26, -1, 0
	s_cmp_eq_u32 s20, s7
	s_cselect_b32 s20, s26, s21
	s_add_u32 s21, s23, 1
	s_addc_u32 s26, s24, 0
	s_add_u32 s27, s23, 2
	s_addc_u32 s28, s24, 0
	s_cmp_lg_u32 s20, 0
	s_cselect_b32 s20, s27, s21
	s_cselect_b32 s21, s28, s26
	s_cmp_lg_u64 s[18:19], 0
	s_subb_u32 s13, s13, s25
	s_cmp_ge_u32 s13, s7
	s_cselect_b32 s18, -1, 0
	s_cmp_ge_u32 s12, s6
	s_cselect_b32 s6, -1, 0
	s_cmp_eq_u32 s13, s7
	s_cselect_b32 s6, s6, s18
	s_cmp_lg_u32 s6, 0
	s_cselect_b32 s7, s21, s24
	s_cselect_b32 s6, s20, s23
	s_xor_b64 s[12:13], s[14:15], 0
	s_xor_b64 s[6:7], s[6:7], s[12:13]
	s_sub_u32 s6, s6, s12
	s_load_dwordx4 s[12:15], s[0:1], 0x44
	s_cbranch_execnz .LBB12_3
.LBB12_2:
	v_cvt_f32_u32_e32 v1, s22
	s_sub_i32 s6, 0, s22
	v_rcp_iflag_f32_e32 v1, v1
	s_nop 0
	v_mul_f32_e32 v1, 0x4f7ffffe, v1
	v_cvt_u32_f32_e32 v1, v1
	s_nop 0
	v_readfirstlane_b32 s7, v1
	s_mul_i32 s6, s6, s7
	s_mul_hi_u32 s6, s7, s6
	s_add_i32 s7, s7, s6
	s_mul_hi_u32 s6, s5, s7
	s_waitcnt lgkmcnt(0)
	s_mul_i32 s15, s6, s22
	s_sub_i32 s5, s5, s15
	s_add_i32 s7, s6, 1
	s_sub_i32 s15, s5, s22
	s_cmp_ge_u32 s5, s22
	s_cselect_b32 s6, s7, s6
	s_cselect_b32 s5, s15, s5
	s_add_i32 s7, s6, 1
	s_cmp_ge_u32 s5, s22
	s_cselect_b32 s6, s7, s6
.LBB12_3:
	s_add_i32 s5, s2, 1
	s_mul_hi_i32 s21, s11, s5
	s_mov_b32 s20, 0
	s_cmp_lg_u64 s[20:21], 0
	s_mul_i32 s5, s11, s5
	s_cbranch_scc0 .LBB12_21
; %bb.4:
	s_add_u32 s16, s22, 0
	s_addc_u32 s17, 0, 0
	s_xor_b64 s[18:19], s[16:17], 0
	v_cvt_f32_u32_e32 v1, s18
	v_cvt_f32_u32_e32 v2, s19
	s_sub_u32 s7, 0, s18
	s_waitcnt lgkmcnt(0)
	s_subb_u32 s15, 0, s19
	v_fmamk_f32 v1, v2, 0x4f800000, v1
	v_rcp_f32_e32 v1, v1
	s_nop 0
	v_mul_f32_e32 v1, 0x5f7ffffc, v1
	v_mul_f32_e32 v2, 0x2f800000, v1
	v_trunc_f32_e32 v2, v2
	v_fmamk_f32 v1, v2, 0xcf800000, v1
	v_cvt_u32_f32_e32 v2, v2
	v_cvt_u32_f32_e32 v1, v1
	v_readfirstlane_b32 s20, v2
	v_readfirstlane_b32 s23, v1
	s_mul_i32 s24, s7, s20
	s_mul_hi_u32 s26, s7, s23
	s_mul_i32 s25, s15, s23
	s_add_i32 s24, s26, s24
	s_add_i32 s24, s24, s25
	s_mul_i32 s27, s7, s23
	s_mul_i32 s26, s23, s24
	s_mul_hi_u32 s28, s23, s27
	s_mul_hi_u32 s25, s23, s24
	s_add_u32 s26, s28, s26
	s_addc_u32 s25, 0, s25
	s_mul_hi_u32 s29, s20, s27
	s_mul_i32 s27, s20, s27
	s_add_u32 s26, s26, s27
	s_mul_hi_u32 s28, s20, s24
	s_addc_u32 s25, s25, s29
	s_addc_u32 s26, s28, 0
	s_mul_i32 s24, s20, s24
	s_add_u32 s24, s25, s24
	s_addc_u32 s26, 0, s26
	s_add_u32 s23, s23, s24
	s_cselect_b64 s[24:25], -1, 0
	s_cmp_lg_u64 s[24:25], 0
	s_addc_u32 s20, s20, s26
	s_mul_i32 s24, s7, s20
	s_mul_hi_u32 s25, s7, s23
	s_add_i32 s24, s25, s24
	s_mul_i32 s15, s15, s23
	s_add_i32 s24, s24, s15
	s_mul_i32 s7, s7, s23
	s_mul_hi_u32 s25, s20, s7
	s_mul_i32 s26, s20, s7
	s_mul_i32 s28, s23, s24
	s_mul_hi_u32 s7, s23, s7
	s_mul_hi_u32 s27, s23, s24
	s_add_u32 s7, s7, s28
	s_addc_u32 s27, 0, s27
	s_add_u32 s7, s7, s26
	s_mul_hi_u32 s15, s20, s24
	s_addc_u32 s7, s27, s25
	s_addc_u32 s15, s15, 0
	s_mul_i32 s24, s20, s24
	s_add_u32 s7, s7, s24
	s_addc_u32 s15, 0, s15
	s_add_u32 s7, s23, s7
	s_cselect_b64 s[24:25], -1, 0
	s_cmp_lg_u64 s[24:25], 0
	s_addc_u32 s15, s20, s15
	s_ashr_i32 s24, s21, 31
	s_add_u32 s20, s5, s24
	s_mov_b32 s25, s24
	s_addc_u32 s21, s21, s24
	s_xor_b64 s[20:21], s[20:21], s[24:25]
	s_mul_i32 s26, s20, s15
	s_mul_hi_u32 s27, s20, s7
	s_mul_hi_u32 s23, s20, s15
	s_add_u32 s26, s27, s26
	s_addc_u32 s23, 0, s23
	s_mul_hi_u32 s28, s21, s7
	s_mul_i32 s7, s21, s7
	s_add_u32 s7, s26, s7
	s_mul_hi_u32 s27, s21, s15
	s_addc_u32 s7, s23, s28
	s_addc_u32 s23, s27, 0
	s_mul_i32 s15, s21, s15
	s_add_u32 s7, s7, s15
	s_addc_u32 s15, 0, s23
	s_mul_i32 s23, s18, s15
	s_mul_hi_u32 s26, s18, s7
	s_add_i32 s23, s26, s23
	s_mul_i32 s26, s19, s7
	s_add_i32 s23, s23, s26
	s_sub_i32 s28, s21, s23
	s_mul_i32 s26, s18, s7
	s_sub_u32 s20, s20, s26
	s_cselect_b64 s[26:27], -1, 0
	s_cmp_lg_u64 s[26:27], 0
	s_subb_u32 s30, s28, s19
	s_sub_u32 s31, s20, s18
	s_cselect_b64 s[28:29], -1, 0
	s_cmp_lg_u64 s[28:29], 0
	s_subb_u32 s28, s30, 0
	s_cmp_ge_u32 s28, s19
	s_cselect_b32 s29, -1, 0
	s_cmp_ge_u32 s31, s18
	s_cselect_b32 s30, -1, 0
	s_cmp_eq_u32 s28, s19
	s_cselect_b32 s28, s30, s29
	s_add_u32 s29, s7, 1
	s_addc_u32 s30, s15, 0
	s_add_u32 s31, s7, 2
	s_addc_u32 s33, s15, 0
	s_cmp_lg_u32 s28, 0
	s_cselect_b32 s28, s31, s29
	s_cselect_b32 s29, s33, s30
	s_cmp_lg_u64 s[26:27], 0
	s_subb_u32 s21, s21, s23
	s_cmp_ge_u32 s21, s19
	s_cselect_b32 s23, -1, 0
	s_cmp_ge_u32 s20, s18
	s_cselect_b32 s18, -1, 0
	s_cmp_eq_u32 s21, s19
	s_cselect_b32 s18, s18, s23
	s_cmp_lg_u32 s18, 0
	s_cselect_b32 s19, s29, s15
	s_cselect_b32 s18, s28, s7
	s_xor_b64 s[20:21], s[24:25], 0
	s_xor_b64 s[18:19], s[18:19], s[20:21]
	s_sub_u32 s18, s18, s20
	s_cbranch_execnz .LBB12_6
.LBB12_5:
	v_cvt_f32_u32_e32 v1, s22
	s_sub_i32 s7, 0, s22
	v_rcp_iflag_f32_e32 v1, v1
	s_nop 0
	v_mul_f32_e32 v1, 0x4f7ffffe, v1
	v_cvt_u32_f32_e32 v1, v1
	s_waitcnt lgkmcnt(0)
	v_readfirstlane_b32 s15, v1
	s_mul_i32 s7, s7, s15
	s_mul_hi_u32 s7, s15, s7
	s_add_i32 s15, s15, s7
	s_mul_hi_u32 s7, s5, s15
	s_mul_i32 s16, s7, s22
	s_sub_i32 s5, s5, s16
	s_add_i32 s15, s7, 1
	s_sub_i32 s16, s5, s22
	s_cmp_ge_u32 s5, s22
	s_cselect_b32 s7, s15, s7
	s_cselect_b32 s5, s16, s5
	s_add_i32 s15, s7, 1
	s_cmp_ge_u32 s5, s22
	s_cselect_b32 s18, s15, s7
.LBB12_6:
	s_cmp_eq_u32 s6, s18
	s_waitcnt lgkmcnt(0)
	s_mul_hi_u32 s5, s6, s12
	s_cselect_b64 s[16:17], -1, 0
	s_add_i32 s5, s5, s6
	s_lshr_b32 s7, s5, s13
	s_mul_i32 s5, s7, s14
	s_cmp_eq_u32 s5, s6
	s_mul_hi_u32 s5, s18, s12
	s_cselect_b64 s[20:21], -1, 0
	s_add_i32 s5, s5, s18
	s_lshr_b32 s5, s5, s13
	s_cmp_eq_u32 s7, s5
	s_mul_i32 s5, s5, s14
	s_cselect_b64 s[24:25], -1, 0
	s_cmp_lg_u32 s5, s18
	s_cselect_b64 s[18:19], -1, 0
	s_and_b64 s[18:19], s[24:25], s[18:19]
	s_or_b64 s[16:17], s[16:17], s[20:21]
	s_or_b64 s[16:17], s[16:17], s[18:19]
	s_and_b64 vcc, exec, s[16:17]
	s_cbranch_vccnz .LBB12_23
; %bb.7:
	s_load_dwordx8 s[24:31], s[0:1], 0x20
	s_load_dword s15, s[0:1], 0x40
	s_waitcnt lgkmcnt(0)
	s_mul_hi_u32 s5, s6, s24
	s_add_i32 s5, s5, s6
	s_lshr_b32 s5, s5, s25
	s_mul_i32 s16, s5, s26
	s_sub_i32 s16, s6, s16
	s_mul_hi_u32 s17, s16, s27
	s_add_i32 s17, s16, s17
	s_lshr_b32 s20, s17, s28
	s_mul_i32 s17, s20, s29
	s_sub_i32 s16, s16, s17
	s_mul_hi_u32 s17, s16, s30
	s_add_i32 s17, s16, s17
	s_lshr_b32 s17, s17, s31
	s_mul_i32 s15, s17, s15
	s_sub_i32 s15, s16, s15
	s_mul_hi_u32 s16, s15, s12
	s_add_i32 s15, s15, s16
	s_lshr_b32 s23, s15, s13
	s_lshl_b32 s15, s23, 1
	s_lshl_b32 s21, s17, 3
	s_add_i32 s15, s15, s3
	s_cmp_lt_i32 s15, s8
	s_cselect_b64 s[16:17], -1, 0
	s_add_i32 s15, s21, s4
	s_cmp_lt_i32 s15, s10
	s_cselect_b64 s[18:19], -1, 0
	s_and_b64 s[16:17], s[16:17], s[18:19]
	s_andn2_b64 vcc, exec, s[16:17]
	s_cbranch_vccnz .LBB12_23
; %bb.8:
	s_load_dwordx4 s[16:19], s[0:1], 0x0
	s_mov_b32 s0, 0
	s_lshl_b32 s15, s3, 3
	s_lshl_b32 s24, s22, 6
	s_mov_b32 s25, s0
	s_add_i32 s15, s15, s4
	s_waitcnt lgkmcnt(0)
	v_mov_b32_e32 v2, s16
	v_mov_b32_e32 v3, s17
	s_lshl_b64 s[16:17], s[24:25], 2
	s_add_u32 s16, s18, s16
	s_mul_i32 s1, s5, s8
	s_addc_u32 s17, s19, s17
	s_add_i32 s1, s1, s3
	s_mul_i32 s1, s1, s9
	s_mul_i32 s20, s20, s10
	s_add_i32 s1, s1, s4
	s_add_i32 s1, s1, s20
	s_mul_i32 s5, s9, s23
	s_add_i32 s1, s1, s21
	s_lshl_b32 s5, s5, 8
	s_lshl_b32 s1, s1, 7
	s_add_i32 s5, s5, s1
	v_or_b32_e32 v4, s5, v0
	v_ashrrev_i32_e32 v5, 31, v4
	v_lshl_add_u64 v[2:3], v[4:5], 2, v[2:3]
	global_load_dword v1, v[2:3], off
	v_cvt_f32_u32_e32 v4, s22
	s_lshl_b32 s1, s2, 4
	s_add_i32 s4, s15, s1
	s_ashr_i32 s5, s4, 31
	s_lshl_b64 s[4:5], s[4:5], 3
	v_rcp_iflag_f32_e32 v4, v4
	s_add_u32 s4, s18, s4
	s_addc_u32 s5, s19, s5
	s_load_dwordx2 s[4:5], s[4:5], 0x0
	v_mul_f32_e32 v4, 0x4f7ffffe, v4
	v_cvt_u32_f32_e32 v7, v4
	s_add_i32 s24, s2, -1
	v_lshl_or_b32 v6, s15, 7, v0
	s_waitcnt lgkmcnt(0)
	v_mov_b32_e32 v0, s5
	v_mov_b32_e32 v9, s4
	s_mov_b32 s10, 0x3fb8aa3b
	s_mov_b32 s20, 0xc2ce8ed0
	;; [unrolled: 1-line block ×4, first 2 shown]
	v_mov_b32_e32 v8, 0x7f800000
	s_mul_hi_i32 s1, s24, s11
	s_cmp_lg_u64 s[0:1], 0
	s_mul_i32 s8, s24, s11
	s_cbranch_scc0 .LBB12_19
.LBB12_9:
	s_add_u32 s2, s22, 0
	s_addc_u32 s3, 0, 0
	s_xor_b64 s[2:3], s[2:3], 0
	v_cvt_f32_u32_e32 v4, s2
	v_cvt_f32_u32_e32 v5, s3
	s_sub_u32 s9, 0, s2
	s_subb_u32 s25, 0, s3
	v_fmac_f32_e32 v4, 0x4f800000, v5
	v_rcp_f32_e32 v4, v4
	s_nop 0
	v_mul_f32_e32 v4, 0x5f7ffffc, v4
	v_mul_f32_e32 v5, 0x2f800000, v4
	v_trunc_f32_e32 v5, v5
	v_fmac_f32_e32 v4, 0xcf800000, v5
	v_cvt_u32_f32_e32 v5, v5
	v_cvt_u32_f32_e32 v4, v4
	v_readfirstlane_b32 s26, v5
	v_readfirstlane_b32 s4, v4
	s_mul_i32 s5, s9, s26
	s_mul_hi_u32 s28, s9, s4
	s_mul_i32 s27, s25, s4
	s_add_i32 s5, s28, s5
	s_mul_i32 s29, s9, s4
	s_add_i32 s5, s5, s27
	s_mul_i32 s28, s4, s5
	s_mul_hi_u32 s30, s4, s29
	s_mul_hi_u32 s27, s4, s5
	s_add_u32 s28, s30, s28
	s_addc_u32 s27, 0, s27
	s_mul_hi_u32 s31, s26, s29
	s_mul_i32 s29, s26, s29
	s_add_u32 s28, s28, s29
	s_mul_hi_u32 s30, s26, s5
	s_addc_u32 s27, s27, s31
	s_addc_u32 s28, s30, 0
	s_mul_i32 s5, s26, s5
	s_add_u32 s5, s27, s5
	s_addc_u32 s27, 0, s28
	s_add_u32 s28, s4, s5
	s_cselect_b64 s[4:5], -1, 0
	s_cmp_lg_u64 s[4:5], 0
	s_addc_u32 s26, s26, s27
	s_mul_i32 s4, s9, s26
	s_mul_hi_u32 s5, s9, s28
	s_add_i32 s4, s5, s4
	s_mul_i32 s25, s25, s28
	s_add_i32 s4, s4, s25
	s_mul_i32 s9, s9, s28
	s_mul_hi_u32 s25, s26, s9
	s_mul_i32 s27, s26, s9
	s_mul_i32 s30, s28, s4
	s_mul_hi_u32 s9, s28, s9
	s_mul_hi_u32 s29, s28, s4
	s_add_u32 s9, s9, s30
	s_addc_u32 s29, 0, s29
	s_add_u32 s9, s9, s27
	s_mul_hi_u32 s5, s26, s4
	s_addc_u32 s9, s29, s25
	s_addc_u32 s5, s5, 0
	s_mul_i32 s4, s26, s4
	s_add_u32 s4, s9, s4
	s_addc_u32 s9, 0, s5
	s_add_u32 s25, s28, s4
	s_cselect_b64 s[4:5], -1, 0
	s_cmp_lg_u64 s[4:5], 0
	s_addc_u32 s9, s26, s9
	s_ashr_i32 s4, s1, 31
	s_add_u32 s26, s8, s4
	s_mov_b32 s5, s4
	s_addc_u32 s27, s1, s4
	s_xor_b64 s[26:27], s[26:27], s[4:5]
	s_mul_i32 s28, s26, s9
	s_mul_hi_u32 s29, s26, s25
	s_mul_hi_u32 s1, s26, s9
	s_add_u32 s28, s29, s28
	s_addc_u32 s1, 0, s1
	s_mul_hi_u32 s30, s27, s25
	s_mul_i32 s25, s27, s25
	s_add_u32 s25, s28, s25
	s_mul_hi_u32 s29, s27, s9
	s_addc_u32 s1, s1, s30
	s_addc_u32 s25, s29, 0
	s_mul_i32 s9, s27, s9
	s_add_u32 s1, s1, s9
	s_addc_u32 s9, 0, s25
	s_mul_i32 s25, s2, s9
	s_mul_hi_u32 s28, s2, s1
	s_add_i32 s25, s28, s25
	s_mul_i32 s28, s3, s1
	s_add_i32 s25, s25, s28
	s_sub_i32 s30, s27, s25
	s_mul_i32 s28, s2, s1
	s_sub_u32 s26, s26, s28
	s_cselect_b64 s[28:29], -1, 0
	s_cmp_lg_u64 s[28:29], 0
	s_subb_u32 s33, s30, s3
	s_sub_u32 s34, s26, s2
	s_cselect_b64 s[30:31], -1, 0
	s_cmp_lg_u64 s[30:31], 0
	s_subb_u32 s30, s33, 0
	s_cmp_ge_u32 s30, s3
	s_cselect_b32 s31, -1, 0
	s_cmp_ge_u32 s34, s2
	s_cselect_b32 s33, -1, 0
	s_cmp_eq_u32 s30, s3
	s_cselect_b32 s30, s33, s31
	s_add_u32 s31, s1, 1
	s_addc_u32 s33, s9, 0
	s_add_u32 s34, s1, 2
	s_addc_u32 s35, s9, 0
	s_cmp_lg_u32 s30, 0
	s_cselect_b32 s30, s34, s31
	s_cselect_b32 s31, s35, s33
	s_cmp_lg_u64 s[28:29], 0
	s_subb_u32 s25, s27, s25
	s_cmp_ge_u32 s25, s3
	s_cselect_b32 s27, -1, 0
	s_cmp_ge_u32 s26, s2
	s_cselect_b32 s2, -1, 0
	s_cmp_eq_u32 s25, s3
	s_cselect_b32 s2, s2, s27
	s_cmp_lg_u32 s2, 0
	s_cselect_b32 s3, s31, s9
	s_cselect_b32 s2, s30, s1
	s_xor_b64 s[4:5], s[4:5], 0
	s_xor_b64 s[2:3], s[2:3], s[4:5]
	s_sub_u32 s4, s2, s4
	s_cbranch_execnz .LBB12_11
.LBB12_10:
	s_sub_i32 s1, 0, s22
	v_readfirstlane_b32 s2, v7
	s_mul_i32 s1, s1, s2
	s_mul_hi_u32 s1, s2, s1
	s_add_i32 s2, s2, s1
	s_mul_hi_u32 s1, s8, s2
	s_mul_i32 s3, s1, s22
	s_sub_i32 s3, s8, s3
	s_add_i32 s2, s1, 1
	s_sub_i32 s4, s3, s22
	s_cmp_ge_u32 s3, s22
	s_cselect_b32 s1, s2, s1
	s_cselect_b32 s3, s4, s3
	s_add_i32 s2, s1, 1
	s_cmp_ge_u32 s3, s22
	s_cselect_b32 s4, s2, s1
.LBB12_11:
	s_cmp_lg_u32 s6, s4
	s_cbranch_scc0 .LBB12_15
; %bb.12:
	s_add_i32 s1, s24, s22
	s_lshl_b32 s1, s1, 4
	s_add_i32 s2, s1, s15
	s_mov_b32 s3, s0
	s_lshl_b64 s[2:3], s[2:3], 3
	s_add_u32 s8, s18, s2
	s_mul_hi_u32 s1, s4, s12
	s_addc_u32 s9, s19, s3
	s_add_i32 s1, s1, s4
	s_lshr_b32 s1, s1, s13
	s_mul_i32 s2, s1, s14
	s_cmp_eq_u32 s2, s4
	s_cselect_b64 s[2:3], -1, 0
	s_cmp_lt_u32 s1, s7
	s_cselect_b64 s[26:27], -1, 0
	s_or_b64 s[26:27], s[26:27], s[2:3]
	s_mov_b64 s[2:3], -1
	s_and_b64 vcc, exec, s[26:27]
	s_mov_b32 s1, s24
	s_mov_b32 s25, s6
	s_cbranch_vccnz .LBB12_14
; %bb.13:
	s_add_i32 s1, s24, -1
	s_mov_b64 s[2:3], 0
	s_mov_b32 s25, s4
.LBB12_14:
	v_lshl_add_u32 v4, s24, 11, v6
	v_ashrrev_i32_e32 v5, 31, v4
	v_lshl_add_u64 v[4:5], v[4:5], 2, s[16:17]
	global_load_dword v5, v[4:5], off
	s_load_dwordx2 s[4:5], s[8:9], 0x0
	v_max_f32_e32 v4, v9, v9
	s_waitcnt lgkmcnt(0)
	v_max_f32_e64 v10, s4, s4
	v_max_f32_e32 v10, v4, v10
	v_sub_f32_e32 v11, v9, v10
	v_sub_f32_e32 v13, s4, v10
	v_mul_f32_e32 v4, 0x3fb8aa3b, v11
	v_mul_f32_e32 v12, 0x3fb8aa3b, v13
	v_fma_f32 v14, v11, s10, -v4
	v_rndne_f32_e32 v15, v4
	v_fma_f32 v16, v13, s10, -v12
	v_rndne_f32_e32 v17, v12
	v_fmac_f32_e32 v14, 0x32a5705f, v11
	v_sub_f32_e32 v4, v4, v15
	v_fmac_f32_e32 v16, 0x32a5705f, v13
	v_sub_f32_e32 v12, v12, v17
	v_add_f32_e32 v4, v4, v14
	v_cvt_i32_f32_e32 v15, v15
	v_add_f32_e32 v12, v12, v16
	v_exp_f32_e32 v14, v4
	v_cvt_i32_f32_e32 v17, v17
	v_exp_f32_e32 v12, v12
	v_cmp_ngt_f32_e32 vcc, s20, v11
	v_ldexp_f32 v14, v14, v15
	v_mov_b32_e32 v4, s5
	v_ldexp_f32 v12, v12, v17
	v_cndmask_b32_e32 v14, 0, v14, vcc
	v_cmp_ngt_f32_e32 vcc, s20, v13
	s_nop 1
	v_cndmask_b32_e32 v12, 0, v12, vcc
	v_cmp_nlt_f32_e32 vcc, s21, v11
	s_nop 1
	v_cndmask_b32_e32 v14, v8, v14, vcc
	v_cmp_nlt_f32_e32 vcc, s21, v13
	s_nop 1
	v_cndmask_b32_e32 v15, v8, v12, vcc
	v_cmp_le_f32_e32 vcc, s23, v11
	s_nop 1
	v_cndmask_b32_e32 v12, 0, v14, vcc
	v_cmp_le_f32_e32 vcc, s23, v13
	s_nop 1
	v_cndmask_b32_e32 v14, 0, v15, vcc
	s_waitcnt vmcnt(0)
	v_pk_mul_f32 v[4:5], v[4:5], v[14:15] op_sel_hi:[1,0]
	s_nop 0
	v_pk_fma_f32 v[4:5], v[0:1], v[12:13], v[4:5] op_sel_hi:[1,0,1]
	s_cbranch_execz .LBB12_16
	s_branch .LBB12_17
.LBB12_15:
                                        ; implicit-def: $vgpr4_vgpr5
                                        ; implicit-def: $sgpr2_sgpr3
                                        ; implicit-def: $vgpr10
                                        ; implicit-def: $sgpr1
                                        ; implicit-def: $sgpr25
.LBB12_16:
	s_add_i32 s1, s24, -1
	s_mov_b64 s[2:3], 0
	s_mov_b32 s25, s6
	v_mov_b32_e32 v10, v9
	s_waitcnt vmcnt(0)
	v_mov_b64_e32 v[4:5], v[0:1]
.LBB12_17:
	s_andn2_b64 vcc, exec, s[2:3]
	s_cbranch_vccz .LBB12_22
; %bb.18:
	s_mov_b32 s6, s25
	s_mov_b32 s24, s1
	v_mov_b32_e32 v9, v10
	s_waitcnt vmcnt(0)
	v_mov_b64_e32 v[0:1], v[4:5]
	s_mul_hi_i32 s1, s24, s11
	s_cmp_lg_u64 s[0:1], 0
	s_mul_i32 s8, s24, s11
	s_cbranch_scc1 .LBB12_9
.LBB12_19:
                                        ; implicit-def: $sgpr4_sgpr5
	s_branch .LBB12_10
.LBB12_20:
                                        ; implicit-def: $sgpr6_sgpr7
	s_load_dwordx4 s[12:15], s[0:1], 0x44
	s_branch .LBB12_2
.LBB12_21:
                                        ; implicit-def: $sgpr18_sgpr19
	s_branch .LBB12_5
.LBB12_22:
	v_div_scale_f32 v0, s[0:1], v4, v4, v5
	s_waitcnt vmcnt(0)
	v_rcp_f32_e32 v1, v0
	v_div_scale_f32 v6, vcc, v5, v4, v5
	v_fma_f32 v7, -v0, v1, 1.0
	v_fmac_f32_e32 v1, v7, v1
	v_mul_f32_e32 v7, v6, v1
	v_fma_f32 v8, -v0, v7, v6
	v_fmac_f32_e32 v7, v8, v1
	v_fma_f32 v0, -v0, v7, v6
	v_div_fmas_f32 v0, v0, v1, v7
	v_div_fixup_f32 v0, v0, v4, v5
	global_store_dword v[2:3], v0, off
.LBB12_23:
	s_endpgm
	.section	.rodata,"a",@progbits
	.p2align	6, 0x0
	.amdhsa_kernel _ZL33flash_attn_stream_k_fixup_generalILi128ELi2ELi8EEvPfPK15HIP_vector_typeIfLj2EEiiiiS1_IjLj3EES5_S5_S5_
		.amdhsa_group_segment_fixed_size 0
		.amdhsa_private_segment_fixed_size 0
		.amdhsa_kernarg_size 336
		.amdhsa_user_sgpr_count 2
		.amdhsa_user_sgpr_dispatch_ptr 0
		.amdhsa_user_sgpr_queue_ptr 0
		.amdhsa_user_sgpr_kernarg_segment_ptr 1
		.amdhsa_user_sgpr_dispatch_id 0
		.amdhsa_user_sgpr_kernarg_preload_length 0
		.amdhsa_user_sgpr_kernarg_preload_offset 0
		.amdhsa_user_sgpr_private_segment_size 0
		.amdhsa_uses_dynamic_stack 0
		.amdhsa_enable_private_segment 0
		.amdhsa_system_sgpr_workgroup_id_x 1
		.amdhsa_system_sgpr_workgroup_id_y 1
		.amdhsa_system_sgpr_workgroup_id_z 1
		.amdhsa_system_sgpr_workgroup_info 0
		.amdhsa_system_vgpr_workitem_id 0
		.amdhsa_next_free_vgpr 18
		.amdhsa_next_free_sgpr 36
		.amdhsa_accum_offset 20
		.amdhsa_reserve_vcc 1
		.amdhsa_float_round_mode_32 0
		.amdhsa_float_round_mode_16_64 0
		.amdhsa_float_denorm_mode_32 3
		.amdhsa_float_denorm_mode_16_64 3
		.amdhsa_dx10_clamp 1
		.amdhsa_ieee_mode 1
		.amdhsa_fp16_overflow 0
		.amdhsa_tg_split 0
		.amdhsa_exception_fp_ieee_invalid_op 0
		.amdhsa_exception_fp_denorm_src 0
		.amdhsa_exception_fp_ieee_div_zero 0
		.amdhsa_exception_fp_ieee_overflow 0
		.amdhsa_exception_fp_ieee_underflow 0
		.amdhsa_exception_fp_ieee_inexact 0
		.amdhsa_exception_int_div_zero 0
	.end_amdhsa_kernel
	.section	.text._ZL33flash_attn_stream_k_fixup_generalILi128ELi2ELi8EEvPfPK15HIP_vector_typeIfLj2EEiiiiS1_IjLj3EES5_S5_S5_,"axG",@progbits,_ZL33flash_attn_stream_k_fixup_generalILi128ELi2ELi8EEvPfPK15HIP_vector_typeIfLj2EEiiiiS1_IjLj3EES5_S5_S5_,comdat
.Lfunc_end12:
	.size	_ZL33flash_attn_stream_k_fixup_generalILi128ELi2ELi8EEvPfPK15HIP_vector_typeIfLj2EEiiiiS1_IjLj3EES5_S5_S5_, .Lfunc_end12-_ZL33flash_attn_stream_k_fixup_generalILi128ELi2ELi8EEvPfPK15HIP_vector_typeIfLj2EEiiiiS1_IjLj3EES5_S5_S5_
                                        ; -- End function
	.set _ZL33flash_attn_stream_k_fixup_generalILi128ELi2ELi8EEvPfPK15HIP_vector_typeIfLj2EEiiiiS1_IjLj3EES5_S5_S5_.num_vgpr, 18
	.set _ZL33flash_attn_stream_k_fixup_generalILi128ELi2ELi8EEvPfPK15HIP_vector_typeIfLj2EEiiiiS1_IjLj3EES5_S5_S5_.num_agpr, 0
	.set _ZL33flash_attn_stream_k_fixup_generalILi128ELi2ELi8EEvPfPK15HIP_vector_typeIfLj2EEiiiiS1_IjLj3EES5_S5_S5_.numbered_sgpr, 36
	.set _ZL33flash_attn_stream_k_fixup_generalILi128ELi2ELi8EEvPfPK15HIP_vector_typeIfLj2EEiiiiS1_IjLj3EES5_S5_S5_.num_named_barrier, 0
	.set _ZL33flash_attn_stream_k_fixup_generalILi128ELi2ELi8EEvPfPK15HIP_vector_typeIfLj2EEiiiiS1_IjLj3EES5_S5_S5_.private_seg_size, 0
	.set _ZL33flash_attn_stream_k_fixup_generalILi128ELi2ELi8EEvPfPK15HIP_vector_typeIfLj2EEiiiiS1_IjLj3EES5_S5_S5_.uses_vcc, 1
	.set _ZL33flash_attn_stream_k_fixup_generalILi128ELi2ELi8EEvPfPK15HIP_vector_typeIfLj2EEiiiiS1_IjLj3EES5_S5_S5_.uses_flat_scratch, 0
	.set _ZL33flash_attn_stream_k_fixup_generalILi128ELi2ELi8EEvPfPK15HIP_vector_typeIfLj2EEiiiiS1_IjLj3EES5_S5_S5_.has_dyn_sized_stack, 0
	.set _ZL33flash_attn_stream_k_fixup_generalILi128ELi2ELi8EEvPfPK15HIP_vector_typeIfLj2EEiiiiS1_IjLj3EES5_S5_S5_.has_recursion, 0
	.set _ZL33flash_attn_stream_k_fixup_generalILi128ELi2ELi8EEvPfPK15HIP_vector_typeIfLj2EEiiiiS1_IjLj3EES5_S5_S5_.has_indirect_call, 0
	.section	.AMDGPU.csdata,"",@progbits
; Kernel info:
; codeLenInByte = 2940
; TotalNumSgprs: 42
; NumVgprs: 18
; NumAgprs: 0
; TotalNumVgprs: 18
; ScratchSize: 0
; MemoryBound: 0
; FloatMode: 240
; IeeeMode: 1
; LDSByteSize: 0 bytes/workgroup (compile time only)
; SGPRBlocks: 5
; VGPRBlocks: 2
; NumSGPRsForWavesPerEU: 42
; NumVGPRsForWavesPerEU: 18
; AccumOffset: 20
; Occupancy: 8
; WaveLimiterHint : 0
; COMPUTE_PGM_RSRC2:SCRATCH_EN: 0
; COMPUTE_PGM_RSRC2:USER_SGPR: 2
; COMPUTE_PGM_RSRC2:TRAP_HANDLER: 0
; COMPUTE_PGM_RSRC2:TGID_X_EN: 1
; COMPUTE_PGM_RSRC2:TGID_Y_EN: 1
; COMPUTE_PGM_RSRC2:TGID_Z_EN: 1
; COMPUTE_PGM_RSRC2:TIDIG_COMP_CNT: 0
; COMPUTE_PGM_RSRC3_GFX90A:ACCUM_OFFSET: 4
; COMPUTE_PGM_RSRC3_GFX90A:TG_SPLIT: 0
	.section	.text._ZL15flash_attn_tileILi128ELi128ELi1ELi8ELb0EEvPKcS1_S1_S1_S1_PKiPfP15HIP_vector_typeIfLj2EEffffjfiS5_IjLj3EEiiiiiiiiiiiliiliiiiil,"axG",@progbits,_ZL15flash_attn_tileILi128ELi128ELi1ELi8ELb0EEvPKcS1_S1_S1_S1_PKiPfP15HIP_vector_typeIfLj2EEffffjfiS5_IjLj3EEiiiiiiiiiiiliiliiiiil,comdat
	.globl	_ZL15flash_attn_tileILi128ELi128ELi1ELi8ELb0EEvPKcS1_S1_S1_S1_PKiPfP15HIP_vector_typeIfLj2EEffffjfiS5_IjLj3EEiiiiiiiiiiiliiliiiiil ; -- Begin function _ZL15flash_attn_tileILi128ELi128ELi1ELi8ELb0EEvPKcS1_S1_S1_S1_PKiPfP15HIP_vector_typeIfLj2EEffffjfiS5_IjLj3EEiiiiiiiiiiiliiliiiiil
	.p2align	8
	.type	_ZL15flash_attn_tileILi128ELi128ELi1ELi8ELb0EEvPKcS1_S1_S1_S1_PKiPfP15HIP_vector_typeIfLj2EEffffjfiS5_IjLj3EEiiiiiiiiiiiliiliiiiil,@function
_ZL15flash_attn_tileILi128ELi128ELi1ELi8ELb0EEvPKcS1_S1_S1_S1_PKiPfP15HIP_vector_typeIfLj2EEffffjfiS5_IjLj3EEiiiiiiiiiiiliiliiiiil: ; @_ZL15flash_attn_tileILi128ELi128ELi1ELi8ELb0EEvPKcS1_S1_S1_S1_PKiPfP15HIP_vector_typeIfLj2EEffffjfiS5_IjLj3EEiiiiiiiiiiiliiliiiiil
; %bb.0:
	s_load_dwordx4 s[20:23], s[0:1], 0x5c
	s_load_dwordx2 s[28:29], s[0:1], 0x80
	s_load_dwordx2 s[34:35], s[0:1], 0xb8
	s_mov_b64 s[30:31], 0
	s_waitcnt lgkmcnt(0)
	s_ashr_i32 s5, s23, 31
	s_lshr_b32 s5, s5, 29
	s_add_i32 s5, s23, s5
	s_ashr_i32 s5, s5, 3
	v_cvt_f32_u32_e32 v1, s5
	s_sub_i32 s6, 0, s5
	v_rcp_iflag_f32_e32 v1, v1
	s_nop 0
	v_mul_f32_e32 v1, 0x4f7ffffe, v1
	v_cvt_u32_f32_e32 v1, v1
	s_nop 0
	v_readfirstlane_b32 s7, v1
	s_mul_i32 s6, s6, s7
	s_mul_hi_u32 s6, s7, s6
	s_add_i32 s7, s7, s6
	s_mul_hi_u32 s6, s4, s7
	s_mul_i32 s7, s6, s5
	s_sub_i32 s7, s4, s7
	s_add_i32 s8, s6, 1
	s_sub_i32 s9, s7, s5
	s_cmp_ge_u32 s7, s5
	s_cselect_b32 s6, s8, s6
	s_cselect_b32 s7, s9, s7
	s_add_i32 s8, s6, 1
	s_cmp_ge_u32 s7, s5
	s_cselect_b32 s33, s8, s6
	s_abs_i32 s5, s29
	v_cvt_f32_u32_e32 v1, s5
	s_lshl_b32 s4, s4, 3
	s_mul_i32 s8, s33, s23
	s_xor_b32 s6, s23, s29
	v_rcp_iflag_f32_e32 v1, v1
	s_sub_i32 s9, 0, s5
	s_sub_i32 s29, s4, s8
	s_abs_i32 s7, s23
	v_mul_f32_e32 v1, 0x4f7ffffe, v1
	v_cvt_u32_f32_e32 v1, v1
	s_ashr_i32 s6, s6, 31
	v_readfirstlane_b32 s4, v1
	s_mul_i32 s9, s9, s4
	s_mul_hi_u32 s8, s4, s9
	s_add_i32 s4, s4, s8
	s_mul_hi_u32 s4, s7, s4
	s_mul_i32 s8, s4, s5
	s_sub_i32 s7, s7, s8
	s_add_i32 s9, s4, 1
	s_sub_i32 s8, s7, s5
	s_cmp_ge_u32 s7, s5
	s_cselect_b32 s4, s9, s4
	s_cselect_b32 s7, s8, s7
	s_add_i32 s8, s4, 1
	s_cmp_ge_u32 s7, s5
	s_cselect_b32 s4, s8, s4
	s_xor_b32 s4, s4, s6
	s_sub_i32 s37, s4, s6
	s_abs_i32 s36, s37
	v_cvt_f32_u32_e32 v1, s36
	s_load_dwordx16 s[4:19], s[0:1], 0x0
	v_rcp_iflag_f32_e32 v1, v1
	s_waitcnt lgkmcnt(0)
	s_cmp_eq_u64 s[10:11], 0
	v_mul_f32_e32 v1, 0x4f7ffffe, v1
	v_cvt_u32_f32_e32 v1, v1
	s_nop 0
	v_readfirstlane_b32 s38, v1
	s_cbranch_scc1 .LBB13_2
; %bb.1:
	s_abs_i32 s26, s34
	v_cvt_f32_u32_e32 v1, s26
	s_sub_i32 s31, 0, s26
	s_abs_i32 s30, s33
	s_ashr_i32 s27, s33, 31
	v_rcp_iflag_f32_e32 v1, v1
	s_load_dwordx2 s[24:25], s[0:1], 0xc8
	v_mul_f32_e32 v1, 0x4f7ffffe, v1
	v_cvt_u32_f32_e32 v1, v1
	s_nop 0
	v_readfirstlane_b32 s34, v1
	s_mul_i32 s31, s31, s34
	s_mul_hi_u32 s31, s34, s31
	s_add_i32 s34, s34, s31
	s_mul_hi_u32 s31, s30, s34
	s_mul_i32 s31, s31, s26
	s_sub_i32 s30, s30, s31
	s_sub_i32 s31, s30, s26
	s_cmp_ge_u32 s30, s26
	s_cselect_b32 s30, s31, s30
	s_sub_i32 s31, s30, s26
	s_cmp_ge_u32 s30, s26
	s_cselect_b32 s26, s31, s30
	s_xor_b32 s26, s26, s27
	s_sub_i32 s26, s26, s27
	s_ashr_i32 s27, s26, 31
	s_waitcnt lgkmcnt(0)
	s_mul_hi_u32 s30, s24, s26
	s_mul_i32 s27, s24, s27
	s_mul_i32 s25, s25, s26
	s_add_i32 s27, s30, s27
	s_add_i32 s27, s27, s25
	s_mul_i32 s24, s24, s26
	s_add_u32 s30, s10, s24
	s_addc_u32 s31, s11, s27
.LBB13_2:
	s_load_dwordx4 s[24:27], s[0:1], 0x70
	v_bfe_u32 v24, v0, 10, 3
	v_lshrrev_b32_e32 v1, 10, v0
	v_bfe_u32 v1, v1, 3, 7
	s_waitcnt lgkmcnt(0)
	s_mul_i32 s10, s33, s26
	s_ashr_i32 s26, s10, 31
	s_mul_i32 s11, s29, s25
	s_add_u32 s4, s4, s10
	s_addc_u32 s5, s5, s26
	s_ashr_i32 s10, s11, 31
	s_add_u32 s4, s4, s11
	s_addc_u32 s5, s5, s10
	s_ashr_i32 s11, s25, 31
	s_mov_b32 s10, s25
	s_lshr_b64 s[26:27], s[10:11], 2
	s_lshr_b32 s25, s11, 2
	v_mad_u64_u32 v[4:5], s[10:11], s26, v24, 0
	v_mov_b32_e32 v2, v5
	v_mad_u64_u32 v[2:3], s[10:11], s25, v24, v[2:3]
	v_add_u32_e32 v3, s2, v1
	v_mul_hi_u32 v1, s20, v3
	v_add_u32_e32 v1, v3, v1
	v_lshrrev_b32_e32 v1, s21, v1
	v_mul_lo_u32 v1, v1, s22
	s_ashr_i32 s25, s24, 31
	v_sub_u32_e32 v12, v3, v1
	s_lshr_b64 s[10:11], s[24:25], 2
	v_mad_u64_u32 v[6:7], s[10:11], s10, v12, 0
	v_mov_b32_e32 v5, v2
	v_mov_b32_e32 v2, v7
	s_lshr_b32 s10, s25, 2
	v_mad_u64_u32 v[8:9], s[10:11], s10, v12, v[2:3]
	v_mov_b32_e32 v7, v8
	v_and_b32_e32 v2, 0x3ff, v0
	v_lshl_add_u64 v[4:5], v[4:5], 2, s[4:5]
	v_lshl_add_u64 v[4:5], v[6:7], 2, v[4:5]
	v_lshlrev_b32_e32 v6, 4, v2
	v_mov_b32_e32 v7, 0
	v_lshl_add_u64 v[4:5], v[4:5], 0, v[6:7]
	global_load_dwordx4 v[4:7], v[4:5], off
	s_load_dword s4, s[0:1], 0x40
	v_bfe_u32 v0, v0, 10, 10
	v_mov_b32_e32 v1, 0x4400
	v_lshlrev_b32_e32 v26, 3, v2
	v_lshl_add_u32 v27, v0, 8, v1
	v_add_u32_e32 v1, v27, v26
	s_cmp_eq_u64 s[14:15], 0
	s_waitcnt vmcnt(0) lgkmcnt(0)
	v_fma_mixlo_f16 v8, s4, v4, 0
	v_mov_b32_e32 v4, v7
	v_pk_mul_f32 v[4:5], s[4:5], v[4:5] op_sel_hi:[0,1]
	v_cvt_pk_f16_f32 v4, v4, v5
	v_fma_mixlo_f16 v6, s4, v6, 0
	v_and_b32_e32 v7, 0xffff, v8
	v_lshlrev_b32_e32 v5, 16, v4
	v_and_b32_e32 v4, 0xffff0000, v4
	v_and_b32_e32 v6, 0xffff, v6
	v_or_b32_e32 v4, v4, v7
	v_or3_b32 v5, v5, v6, 0
	v_or3_b32 v4, 0, 0, v4
	ds_write_b64 v1, v[4:5]
	s_waitcnt lgkmcnt(0)
	s_barrier
	s_cbranch_scc1 .LBB13_4
; %bb.3:
	s_load_dword s4, s[0:1], 0xd0
	s_mov_b32 s5, 0
	s_waitcnt lgkmcnt(0)
	s_mul_i32 s4, s4, s33
	s_add_i32 s4, s4, s2
	s_lshl_b64 s[4:5], s[4:5], 2
	s_add_u32 s4, s14, s4
	s_addc_u32 s5, s15, s5
	s_load_dword s28, s[4:5], 0x0
.LBB13_4:
	s_lshl_b32 s2, s3, 6
	s_waitcnt lgkmcnt(0)
	s_cmp_lt_i32 s2, s28
	v_mbcnt_lo_u32_b32 v23, -1, 0
	s_cbranch_scc1 .LBB13_7
; %bb.5:
	v_mbcnt_hi_u32_b32 v13, -1, v23
	v_and_b32_e32 v1, 0x60, v13
	v_add_u32_e32 v28, 32, v1
	v_xor_b32_e32 v33, 16, v13
	v_xor_b32_e32 v32, 8, v13
	;; [unrolled: 1-line block ×5, first 2 shown]
	v_lshlrev_b32_e32 v25, 2, v2
	s_cbranch_execz .LBB13_8
; %bb.6:
	v_mov_b32_e32 v49, 0
	v_mov_b32_e32 v23, 0
	;; [unrolled: 1-line block ×4, first 2 shown]
	s_branch .LBB13_10
.LBB13_7:
                                        ; implicit-def: $vgpr13
                                        ; implicit-def: $vgpr28
                                        ; implicit-def: $vgpr33
                                        ; implicit-def: $vgpr32
                                        ; implicit-def: $vgpr31
                                        ; implicit-def: $vgpr29
                                        ; implicit-def: $vgpr30
	v_lshlrev_b32_e32 v25, 2, v2
.LBB13_8:
	s_sub_i32 s4, 0, s36
	s_mul_i32 s4, s4, s38
	s_mul_hi_u32 s4, s38, s4
	s_add_i32 s38, s38, s4
	s_load_dwordx2 s[4:5], s[0:1], 0x8c
	s_load_dwordx4 s[24:27], s[0:1], 0x98
	s_abs_i32 s20, s29
	s_mul_hi_u32 s21, s20, s38
	s_ashr_i32 s34, s29, 31
	s_waitcnt lgkmcnt(0)
	s_ashr_i32 s15, s4, 2
	s_ashr_i32 s4, s33, 31
	;; [unrolled: 1-line block ×4, first 2 shown]
	s_mul_hi_u32 s35, s24, s33
	s_mul_i32 s38, s24, s4
	s_add_i32 s35, s35, s38
	s_mul_i32 s25, s25, s33
	s_ashr_i32 s37, s37, 31
	s_add_i32 s35, s35, s25
	s_mul_i32 s24, s24, s33
	s_add_u32 s6, s6, s24
	s_mul_i32 s25, s21, s36
	s_addc_u32 s7, s7, s35
	s_sub_i32 s20, s20, s25
	s_xor_b32 s24, s34, s37
	s_add_i32 s25, s21, 1
	s_sub_i32 s34, s20, s36
	s_cmp_ge_u32 s20, s36
	s_cselect_b32 s21, s25, s21
	s_cselect_b32 s20, s34, s20
	s_add_i32 s25, s21, 1
	s_cmp_ge_u32 s20, s36
	s_load_dwordx2 s[10:11], s[0:1], 0xa8
	s_cselect_b32 s20, s25, s21
	s_xor_b32 s20, s20, s24
	s_sub_i32 s24, s20, s24
	s_mul_i32 s5, s24, s5
	s_ashr_i32 s21, s5, 31
	s_add_u32 s20, s6, s5
	s_waitcnt lgkmcnt(0)
	s_mul_hi_u32 s5, s10, s33
	s_mul_i32 s4, s10, s4
	s_addc_u32 s21, s7, s21
	s_add_i32 s4, s5, s4
	s_mul_i32 s5, s11, s33
	s_add_i32 s4, s4, s5
	s_mul_i32 s5, s10, s33
	s_add_u32 s5, s8, s5
	s_mul_i32 s24, s24, s27
	s_addc_u32 s4, s9, s4
	s_ashr_i32 s6, s24, 31
	s_add_u32 s24, s5, s24
	v_lshrrev_b32_e32 v1, 4, v2
	v_and_b32_e32 v28, 60, v25
	s_addc_u32 s25, s4, s6
	v_lshl_add_u32 v14, v0, 1, v1
	v_lshlrev_b32_e32 v15, 2, v28
	s_movk_i32 s4, 0x110
	v_mad_u32_u24 v34, v14, s4, v15
	v_mul_lo_u32 v4, s15, v14
	s_lshl_b32 s4, s15, 4
	v_add_u32_e32 v6, s4, v4
	v_add_u32_e32 v8, s4, v6
	;; [unrolled: 1-line block ×3, first 2 shown]
	v_mad_u64_u32 v[12:13], s[4:5], v12, s26, v[2:3]
	v_lshl_or_b32 v41, v14, 8, v15
	v_mul_lo_u32 v14, s14, v14
	s_lshl_b32 s4, s14, 4
	v_mov_b32_e32 v13, 0x4c00
	v_add_u32_e32 v16, s4, v14
	v_lshl_add_u32 v39, v0, 7, v13
	v_add_u32_e32 v18, s4, v16
	v_mbcnt_hi_u32_b32 v13, -1, v23
	v_mov_b32_e32 v1, 0
	v_add_u32_e32 v20, s4, v18
	s_add_u32 s6, s0, 0xd0
	v_and_b32_e32 v23, 0x60, v13
	v_ashrrev_i32_e32 v5, 31, v4
	v_add_u32_e32 v35, 0x1100, v34
	v_ashrrev_i32_e32 v7, 31, v6
	v_add_u32_e32 v36, 0x2200, v34
	;; [unrolled: 2-line block ×3, first 2 shown]
	v_ashrrev_i32_e32 v11, 31, v10
	v_mul_u32_u24_e32 v38, 0x110, v2
	v_lshl_add_u32 v40, v2, 1, v39
	v_ashrrev_i32_e32 v15, 31, v14
	v_add_u32_e32 v42, 0x1000, v41
	v_ashrrev_i32_e32 v17, 31, v16
	v_add_u32_e32 v43, 0x2000, v41
	;; [unrolled: 2-line block ×3, first 2 shown]
	v_ashrrev_i32_e32 v21, 31, v20
	s_addc_u32 s7, s1, 0
	v_mov_b32_e32 v22, 0xfeffffff
	v_lshlrev_b32_e32 v0, 2, v28
	v_add_u32_e32 v28, 32, v23
	v_xor_b32_e32 v33, 16, v13
	v_xor_b32_e32 v32, 8, v13
	;; [unrolled: 1-line block ×5, first 2 shown]
	s_mov_b32 s26, 0x3fb8aa3b
	s_mov_b32 s27, 0xc2ce8ed0
	;; [unrolled: 1-line block ×3, first 2 shown]
	v_mov_b32_e32 v45, 0x7f800000
	s_mov_b32 s35, 0x10001
	v_add_u32_e32 v46, 0x800, v26
	v_add_u32_e32 v47, 0x1000, v26
	;; [unrolled: 1-line block ×7, first 2 shown]
	v_mov_b32_e32 v54, v1
	v_mov_b32_e32 v49, v1
	;; [unrolled: 1-line block ×3, first 2 shown]
.LBB13_9:                               ; =>This Inner Loop Header: Depth=1
	s_mul_hi_i32 s11, s2, s15
	s_mul_i32 s10, s2, s15
	s_lshl_b64 s[10:11], s[10:11], 2
	s_add_u32 s10, s20, s10
	s_addc_u32 s11, s21, s11
	v_lshl_add_u64 v[58:59], v[4:5], 2, s[10:11]
	v_lshl_add_u64 v[60:61], v[6:7], 2, s[10:11]
	;; [unrolled: 1-line block ×8, first 2 shown]
	global_load_dwordx4 v[58:61], v[66:67], off
	global_load_dwordx4 v[62:65], v[68:69], off
	v_mov_b32_e32 v55, 0
	v_mov_b32_e32 v56, 0
	;; [unrolled: 1-line block ×3, first 2 shown]
	v_add_u32_e32 v22, s2, v12
	v_cmp_lt_i32_e32 vcc, v33, v28
	v_cmp_lt_i32_e64 s[4:5], v30, v28
	s_mul_hi_i32 s9, s2, s14
	s_mul_i32 s8, s2, s14
	s_waitcnt vmcnt(1)
	ds_write_b128 v34, v[58:61]
	global_load_dwordx4 v[58:61], v[70:71], off
	global_load_dwordx4 v[66:69], v[72:73], off
	v_mov_b32_e32 v72, v23
	v_ashrrev_i32_e32 v23, 31, v22
	v_lshl_add_u64 v[22:23], v[22:23], 1, s[30:31]
	s_waitcnt vmcnt(2)
	ds_write_b128 v35, v[62:65]
	s_waitcnt vmcnt(1)
	ds_write_b128 v36, v[58:61]
	;; [unrolled: 2-line block ×3, first 2 shown]
	s_waitcnt lgkmcnt(0)
	s_barrier
	ds_read_b128 v[58:61], v38
	ds_read_b128 v[62:65], v27
	ds_read_b128 v[66:69], v38 offset:8704
	s_waitcnt lgkmcnt(1)
	;;#ASMSTART
	v_dot2_f32_f16 v55, v58, v62, v55
	;;#ASMEND
	s_nop 0
	;;#ASMSTART
	v_dot2_f32_f16 v55, v59, v63, v55
	;;#ASMEND
	s_nop 0
	;;#ASMSTART
	v_dot2_f32_f16 v55, v60, v64, v55
	;;#ASMEND
	s_nop 0
	;;#ASMSTART
	v_dot2_f32_f16 v55, v61, v65, v55
	;;#ASMEND
	s_waitcnt lgkmcnt(0)
	;;#ASMSTART
	v_dot2_f32_f16 v56, v66, v62, v56
	;;#ASMEND
	s_nop 0
	;;#ASMSTART
	v_dot2_f32_f16 v56, v67, v63, v56
	;;#ASMEND
	s_nop 0
	;;#ASMSTART
	v_dot2_f32_f16 v56, v68, v64, v56
	;;#ASMEND
	s_nop 0
	;;#ASMSTART
	v_dot2_f32_f16 v56, v69, v65, v56
	;;#ASMEND
	ds_read_b128 v[58:61], v38 offset:16
	ds_read_b128 v[62:65], v27 offset:16
	ds_read_b128 v[66:69], v38 offset:8720
	s_waitcnt lgkmcnt(1)
	;;#ASMSTART
	v_dot2_f32_f16 v55, v58, v62, v55
	;;#ASMEND
	s_nop 0
	;;#ASMSTART
	v_dot2_f32_f16 v55, v59, v63, v55
	;;#ASMEND
	s_nop 0
	;;#ASMSTART
	v_dot2_f32_f16 v55, v60, v64, v55
	;;#ASMEND
	s_nop 0
	;;#ASMSTART
	v_dot2_f32_f16 v55, v61, v65, v55
	;;#ASMEND
	s_waitcnt lgkmcnt(0)
	;;#ASMSTART
	v_dot2_f32_f16 v56, v66, v62, v56
	;;#ASMEND
	s_nop 0
	;;#ASMSTART
	v_dot2_f32_f16 v56, v67, v63, v56
	;;#ASMEND
	s_nop 0
	;;#ASMSTART
	v_dot2_f32_f16 v56, v68, v64, v56
	;;#ASMEND
	s_nop 0
	;;#ASMSTART
	v_dot2_f32_f16 v56, v69, v65, v56
	;;#ASMEND
	ds_read_b128 v[58:61], v38 offset:32
	ds_read_b128 v[62:65], v27 offset:32
	;; [unrolled: 35-line block ×15, first 2 shown]
	ds_read_b128 v[66:69], v38 offset:8944
	s_waitcnt lgkmcnt(1)
	;;#ASMSTART
	v_dot2_f32_f16 v55, v58, v62, v55
	;;#ASMEND
	s_nop 0
	;;#ASMSTART
	v_dot2_f32_f16 v55, v59, v63, v55
	;;#ASMEND
	v_cndmask_b32_e32 v58, v13, v33, vcc
	;;#ASMSTART
	v_dot2_f32_f16 v55, v60, v64, v55
	;;#ASMEND
	v_cmp_lt_i32_e32 vcc, v32, v28
	;;#ASMSTART
	v_dot2_f32_f16 v55, v61, v65, v55
	;;#ASMEND
	s_waitcnt lgkmcnt(0)
	;;#ASMSTART
	v_dot2_f32_f16 v56, v66, v62, v56
	;;#ASMEND
	v_cndmask_b32_e64 v62, v13, v30, s[4:5]
	;;#ASMSTART
	v_dot2_f32_f16 v56, v67, v63, v56
	;;#ASMEND
	s_lshl_b64 s[4:5], s[8:9], 2
	;;#ASMSTART
	v_dot2_f32_f16 v56, v68, v64, v56
	;;#ASMEND
	v_lshlrev_b32_e32 v64, 2, v58
	;;#ASMSTART
	v_dot2_f32_f16 v56, v69, v65, v56
	;;#ASMEND
	global_load_ushort v69, v[22:23], off
	global_load_ushort v70, v[22:23], off offset:64
	v_cndmask_b32_e32 v59, v13, v32, vcc
	v_lshlrev_b32_e32 v65, 2, v59
	v_cmp_lt_i32_e32 vcc, v31, v28
	v_lshlrev_b32_e32 v68, 2, v62
	s_add_u32 s4, s24, s4
	v_cndmask_b32_e32 v60, v13, v31, vcc
	v_lshlrev_b32_e32 v66, 2, v60
	v_cmp_lt_i32_e32 vcc, v29, v28
	s_addc_u32 s5, s25, s5
	v_lshl_add_u64 v[62:63], v[18:19], 2, s[4:5]
	v_cndmask_b32_e32 v61, v13, v29, vcc
	v_lshlrev_b32_e32 v67, 2, v61
	v_lshl_add_u64 v[60:61], v[16:17], 2, s[4:5]
	v_lshl_add_u64 v[58:59], v[14:15], 2, s[4:5]
	;; [unrolled: 1-line block ×3, first 2 shown]
	s_barrier
	s_waitcnt vmcnt(1)
	v_cvt_f32_f16_e32 v22, v69
	s_waitcnt vmcnt(0)
	v_cvt_f32_f16_e32 v23, v70
	v_add_f32_e32 v55, v55, v22
	v_add_f32_e32 v23, v56, v23
	;; [unrolled: 1-line block ×4, first 2 shown]
	v_max3_f32 v22, v57, v22, v56
	ds_bpermute_b32 v56, v64, v22
	s_waitcnt lgkmcnt(0)
	v_max_f32_e32 v56, v56, v56
	v_max_f32_e32 v22, v22, v56
	ds_bpermute_b32 v56, v65, v22
	s_waitcnt lgkmcnt(0)
	v_max_f32_e32 v56, v56, v56
	v_max_f32_e32 v22, v22, v56
	;; [unrolled: 4-line block ×4, first 2 shown]
	ds_bpermute_b32 v56, v68, v22
	v_lshl_add_u64 v[68:69], v[62:63], 0, v[0:1]
	s_waitcnt lgkmcnt(0)
	v_max_f32_e32 v56, v56, v56
	v_max_f32_e32 v22, v22, v56
	v_sub_f32_e32 v55, v55, v22
	v_sub_f32_e32 v23, v23, v22
	v_mul_f32_e32 v56, 0x3fb8aa3b, v55
	v_mul_f32_e32 v64, 0x3fb8aa3b, v23
	v_fma_f32 v65, v55, s26, -v56
	v_fma_f32 v66, v23, s26, -v64
	v_rndne_f32_e32 v73, v56
	v_rndne_f32_e32 v74, v64
	v_fmac_f32_e32 v65, 0x32a5705f, v55
	v_fmac_f32_e32 v66, 0x32a5705f, v23
	v_sub_f32_e32 v56, v56, v73
	v_sub_f32_e32 v64, v64, v74
	v_add_f32_e32 v56, v56, v65
	v_add_f32_e32 v75, v64, v66
	v_lshl_add_u64 v[66:67], v[60:61], 0, v[0:1]
	v_cvt_i32_f32_e32 v60, v73
	v_cvt_i32_f32_e32 v61, v74
	v_exp_f32_e32 v56, v56
	v_exp_f32_e32 v62, v75
	v_lshl_add_u64 v[64:65], v[20:21], 2, s[4:5]
	v_cmp_ngt_f32_e32 vcc, s27, v55
	v_ldexp_f32 v56, v56, v60
	v_ldexp_f32 v62, v62, v61
	global_load_dwordx4 v[58:61], v[58:59], off
	v_cmp_ngt_f32_e64 s[4:5], s27, v23
	v_lshl_add_u64 v[70:71], v[64:65], 0, v[0:1]
	s_nop 0
	v_cndmask_b32_e64 v62, 0, v62, s[4:5]
	v_cmp_nlt_f32_e64 s[4:5], s34, v23
	v_cndmask_b32_e32 v23, 0, v56, vcc
	v_cmp_nlt_f32_e32 vcc, s34, v55
	v_cndmask_b32_e64 v55, v45, v62, s[4:5]
	v_cvt_f16_f32_e32 v62, v55
	v_cndmask_b32_e32 v23, v45, v23, vcc
	v_cvt_f16_f32_e32 v56, v23
	ds_write_b16 v40, v56
	ds_write_b16 v40, v62 offset:64
	global_load_dwordx4 v[62:65], v[66:67], off
	v_sub_f32_e32 v66, v57, v22
	v_mul_f32_e32 v56, 0x3fb8aa3b, v66
	v_fma_f32 v57, v66, s26, -v56
	v_fmac_f32_e32 v57, 0x32a5705f, v66
	v_cmp_ngt_f32_e32 vcc, s27, v66
	v_add_f32_e32 v23, v23, v55
	s_waitcnt vmcnt(1)
	ds_write_b128 v41, v[58:61]
	v_rndne_f32_e32 v60, v56
	v_sub_f32_e32 v56, v56, v60
	v_add_f32_e32 v61, v56, v57
	v_cvt_i32_f32_e32 v60, v60
	v_exp_f32_e32 v61, v61
	global_load_dwordx4 v[56:59], v[68:69], off
	v_ldexp_f32 v60, v61, v60
	v_cndmask_b32_e32 v60, 0, v60, vcc
	v_cmp_nlt_f32_e32 vcc, s34, v66
	global_load_dwordx4 v[66:69], v[70:71], off
	s_waitcnt vmcnt(2)
	ds_write_b128 v42, v[62:65]
	s_waitcnt vmcnt(1)
	ds_write_b128 v43, v[56:59]
	;; [unrolled: 2-line block ×3, first 2 shown]
	v_cndmask_b32_e32 v60, v45, v60, vcc
	v_cvt_f16_f32_e32 v55, v60
	v_fmac_f32_e32 v23, v72, v60
	s_waitcnt lgkmcnt(0)
	s_barrier
	ds_read_b128 v[56:59], v39
	ds_read2_b64 v[60:63], v26 offset1:32
	v_mul_u32_u24_e32 v55, 0x10001, v55
	ds_read_b128 v[64:67], v39 offset:16
	s_waitcnt lgkmcnt(2)
	v_mul_u32_u24_sdwa v68, v56, s35 dst_sel:DWORD dst_unused:UNUSED_PAD src0_sel:WORD_0 src1_sel:DWORD
	s_waitcnt lgkmcnt(1)
	v_pk_mul_f16 v60, v60, v68
	v_mul_u32_u24_sdwa v56, v56, s35 dst_sel:DWORD dst_unused:UNUSED_PAD src0_sel:WORD_1 src1_sel:DWORD
	v_pk_fma_f16 v54, v54, v55, v60
	v_pk_mul_f16 v60, v61, v68
	v_pk_fma_f16 v54, v62, v56, v54
	v_pk_fma_f16 v49, v49, v55, v60
	v_mul_u32_u24_sdwa v55, v57, s35 dst_sel:DWORD dst_unused:UNUSED_PAD src0_sel:WORD_0 src1_sel:DWORD
	v_pk_fma_f16 v49, v63, v56, v49
	ds_read2_b64 v[60:63], v26 offset0:64 offset1:96
	v_mul_u32_u24_sdwa v56, v57, s35 dst_sel:DWORD dst_unused:UNUSED_PAD src0_sel:WORD_1 src1_sel:DWORD
	v_mul_u32_u24_sdwa v68, v59, s35 dst_sel:DWORD dst_unused:UNUSED_PAD src0_sel:WORD_1 src1_sel:DWORD
	s_waitcnt lgkmcnt(0)
	v_pk_fma_f16 v54, v60, v55, v54
	v_pk_fma_f16 v49, v61, v55, v49
	;; [unrolled: 1-line block ×4, first 2 shown]
	ds_read2_b64 v[54:57], v26 offset0:128 offset1:160
	v_mul_u32_u24_sdwa v61, v58, s35 dst_sel:DWORD dst_unused:UNUSED_PAD src0_sel:WORD_0 src1_sel:DWORD
	v_mul_u32_u24_sdwa v62, v58, s35 dst_sel:DWORD dst_unused:UNUSED_PAD src0_sel:WORD_1 src1_sel:DWORD
	v_mul_u32_u24_sdwa v63, v59, s35 dst_sel:DWORD dst_unused:UNUSED_PAD src0_sel:WORD_0 src1_sel:DWORD
	s_waitcnt lgkmcnt(0)
	v_pk_fma_f16 v54, v54, v61, v60
	v_pk_fma_f16 v49, v55, v61, v49
	ds_read2_b64 v[58:61], v26 offset0:192 offset1:224
	v_pk_fma_f16 v69, v56, v62, v54
	v_pk_fma_f16 v49, v57, v62, v49
	ds_read2_b64 v[54:57], v46 offset1:32
	s_waitcnt lgkmcnt(1)
	v_pk_fma_f16 v58, v58, v63, v69
	v_pk_fma_f16 v49, v59, v63, v49
	v_pk_fma_f16 v62, v60, v68, v58
	v_pk_fma_f16 v49, v61, v68, v49
	ds_read2_b64 v[58:61], v46 offset0:64 offset1:96
	v_mul_u32_u24_sdwa v63, v64, s35 dst_sel:DWORD dst_unused:UNUSED_PAD src0_sel:WORD_0 src1_sel:DWORD
	v_mul_u32_u24_sdwa v64, v64, s35 dst_sel:DWORD dst_unused:UNUSED_PAD src0_sel:WORD_1 src1_sel:DWORD
	s_waitcnt lgkmcnt(1)
	v_pk_fma_f16 v54, v54, v63, v62
	v_pk_fma_f16 v49, v55, v63, v49
	v_pk_fma_f16 v62, v56, v64, v54
	v_pk_fma_f16 v49, v57, v64, v49
	ds_read2_b64 v[54:57], v46 offset0:128 offset1:160
	v_mul_u32_u24_sdwa v63, v65, s35 dst_sel:DWORD dst_unused:UNUSED_PAD src0_sel:WORD_0 src1_sel:DWORD
	v_mul_u32_u24_sdwa v64, v65, s35 dst_sel:DWORD dst_unused:UNUSED_PAD src0_sel:WORD_1 src1_sel:DWORD
	;; [unrolled: 8-line block ×3, first 2 shown]
	s_waitcnt lgkmcnt(1)
	v_pk_fma_f16 v54, v54, v63, v62
	v_pk_fma_f16 v49, v55, v63, v49
	ds_read_b128 v[62:65], v39 offset:32
	v_pk_fma_f16 v69, v56, v66, v54
	v_pk_fma_f16 v49, v57, v66, v49
	ds_read2_b64 v[54:57], v47 offset1:32
	v_mul_u32_u24_sdwa v68, v67, s35 dst_sel:DWORD dst_unused:UNUSED_PAD src0_sel:WORD_0 src1_sel:DWORD
	v_mul_u32_u24_sdwa v67, v67, s35 dst_sel:DWORD dst_unused:UNUSED_PAD src0_sel:WORD_1 src1_sel:DWORD
	s_waitcnt lgkmcnt(2)
	v_pk_fma_f16 v58, v58, v68, v69
	v_pk_fma_f16 v49, v59, v68, v49
	;; [unrolled: 1-line block ×4, first 2 shown]
	ds_read_b128 v[58:61], v39 offset:48
	s_waitcnt lgkmcnt(2)
	v_mul_u32_u24_sdwa v67, v62, s35 dst_sel:DWORD dst_unused:UNUSED_PAD src0_sel:WORD_0 src1_sel:DWORD
	v_mul_u32_u24_sdwa v62, v62, s35 dst_sel:DWORD dst_unused:UNUSED_PAD src0_sel:WORD_1 src1_sel:DWORD
	s_waitcnt lgkmcnt(1)
	v_pk_fma_f16 v54, v54, v67, v66
	v_pk_fma_f16 v49, v55, v67, v49
	;; [unrolled: 1-line block ×4, first 2 shown]
	ds_read2_b64 v[54:57], v47 offset0:64 offset1:96
	v_mul_u32_u24_sdwa v62, v63, s35 dst_sel:DWORD dst_unused:UNUSED_PAD src0_sel:WORD_0 src1_sel:DWORD
	v_mul_u32_u24_sdwa v63, v63, s35 dst_sel:DWORD dst_unused:UNUSED_PAD src0_sel:WORD_1 src1_sel:DWORD
	v_mul_u32_u24_sdwa v67, v65, s35 dst_sel:DWORD dst_unused:UNUSED_PAD src0_sel:WORD_0 src1_sel:DWORD
	v_mul_u32_u24_sdwa v68, v65, s35 dst_sel:DWORD dst_unused:UNUSED_PAD src0_sel:WORD_1 src1_sel:DWORD
	s_waitcnt lgkmcnt(0)
	v_pk_fma_f16 v54, v54, v62, v66
	v_pk_fma_f16 v49, v55, v62, v49
	;; [unrolled: 1-line block ×4, first 2 shown]
	ds_read2_b64 v[54:57], v47 offset0:128 offset1:160
	v_mul_u32_u24_sdwa v63, v64, s35 dst_sel:DWORD dst_unused:UNUSED_PAD src0_sel:WORD_0 src1_sel:DWORD
	v_mul_u32_u24_sdwa v66, v64, s35 dst_sel:DWORD dst_unused:UNUSED_PAD src0_sel:WORD_1 src1_sel:DWORD
	s_waitcnt lgkmcnt(0)
	v_pk_fma_f16 v54, v54, v63, v62
	v_pk_fma_f16 v49, v55, v63, v49
	ds_read2_b64 v[62:65], v47 offset0:192 offset1:224
	v_pk_fma_f16 v69, v56, v66, v54
	v_pk_fma_f16 v49, v57, v66, v49
	ds_read2_b64 v[54:57], v48 offset1:32
	s_waitcnt lgkmcnt(1)
	v_pk_fma_f16 v62, v62, v67, v69
	v_pk_fma_f16 v49, v63, v67, v49
	v_pk_fma_f16 v66, v64, v68, v62
	v_pk_fma_f16 v49, v65, v68, v49
	ds_read2_b64 v[62:65], v48 offset0:64 offset1:96
	v_mul_u32_u24_sdwa v67, v58, s35 dst_sel:DWORD dst_unused:UNUSED_PAD src0_sel:WORD_0 src1_sel:DWORD
	v_mul_u32_u24_sdwa v58, v58, s35 dst_sel:DWORD dst_unused:UNUSED_PAD src0_sel:WORD_1 src1_sel:DWORD
	s_waitcnt lgkmcnt(1)
	v_pk_fma_f16 v54, v54, v67, v66
	v_pk_fma_f16 v49, v55, v67, v49
	v_pk_fma_f16 v66, v56, v58, v54
	v_pk_fma_f16 v49, v57, v58, v49
	ds_read2_b64 v[54:57], v48 offset0:128 offset1:160
	v_mul_u32_u24_sdwa v58, v59, s35 dst_sel:DWORD dst_unused:UNUSED_PAD src0_sel:WORD_0 src1_sel:DWORD
	v_mul_u32_u24_sdwa v59, v59, s35 dst_sel:DWORD dst_unused:UNUSED_PAD src0_sel:WORD_1 src1_sel:DWORD
	s_waitcnt lgkmcnt(1)
	v_pk_fma_f16 v62, v62, v58, v66
	v_pk_fma_f16 v49, v63, v58, v49
	v_pk_fma_f16 v58, v64, v59, v62
	v_pk_fma_f16 v49, v65, v59, v49
	ds_read2_b64 v[62:65], v48 offset0:192 offset1:224
	v_mul_u32_u24_sdwa v59, v60, s35 dst_sel:DWORD dst_unused:UNUSED_PAD src0_sel:WORD_0 src1_sel:DWORD
	v_mul_u32_u24_sdwa v66, v60, s35 dst_sel:DWORD dst_unused:UNUSED_PAD src0_sel:WORD_1 src1_sel:DWORD
	v_mul_u32_u24_sdwa v67, v61, s35 dst_sel:DWORD dst_unused:UNUSED_PAD src0_sel:WORD_0 src1_sel:DWORD
	v_mul_u32_u24_sdwa v68, v61, s35 dst_sel:DWORD dst_unused:UNUSED_PAD src0_sel:WORD_1 src1_sel:DWORD
	s_waitcnt lgkmcnt(1)
	v_pk_fma_f16 v54, v54, v59, v58
	v_pk_fma_f16 v49, v55, v59, v49
	ds_read_b128 v[58:61], v39 offset:64
	v_pk_fma_f16 v69, v56, v66, v54
	v_pk_fma_f16 v49, v57, v66, v49
	ds_read2_b64 v[54:57], v50 offset1:32
	s_waitcnt lgkmcnt(2)
	v_pk_fma_f16 v62, v62, v67, v69
	v_pk_fma_f16 v49, v63, v67, v49
	;; [unrolled: 1-line block ×4, first 2 shown]
	ds_read_b128 v[62:65], v39 offset:80
	s_waitcnt lgkmcnt(2)
	v_mul_u32_u24_sdwa v67, v58, s35 dst_sel:DWORD dst_unused:UNUSED_PAD src0_sel:WORD_0 src1_sel:DWORD
	v_mul_u32_u24_sdwa v58, v58, s35 dst_sel:DWORD dst_unused:UNUSED_PAD src0_sel:WORD_1 src1_sel:DWORD
	s_waitcnt lgkmcnt(1)
	v_pk_fma_f16 v54, v54, v67, v66
	v_pk_fma_f16 v49, v55, v67, v49
	;; [unrolled: 1-line block ×4, first 2 shown]
	ds_read2_b64 v[54:57], v50 offset0:64 offset1:96
	v_mul_u32_u24_sdwa v58, v59, s35 dst_sel:DWORD dst_unused:UNUSED_PAD src0_sel:WORD_0 src1_sel:DWORD
	v_mul_u32_u24_sdwa v59, v59, s35 dst_sel:DWORD dst_unused:UNUSED_PAD src0_sel:WORD_1 src1_sel:DWORD
	v_mul_u32_u24_sdwa v67, v61, s35 dst_sel:DWORD dst_unused:UNUSED_PAD src0_sel:WORD_0 src1_sel:DWORD
	v_mul_u32_u24_sdwa v68, v61, s35 dst_sel:DWORD dst_unused:UNUSED_PAD src0_sel:WORD_1 src1_sel:DWORD
	s_waitcnt lgkmcnt(0)
	v_pk_fma_f16 v54, v54, v58, v66
	v_pk_fma_f16 v49, v55, v58, v49
	;; [unrolled: 1-line block ×4, first 2 shown]
	ds_read2_b64 v[54:57], v50 offset0:128 offset1:160
	v_mul_u32_u24_sdwa v59, v60, s35 dst_sel:DWORD dst_unused:UNUSED_PAD src0_sel:WORD_0 src1_sel:DWORD
	v_mul_u32_u24_sdwa v66, v60, s35 dst_sel:DWORD dst_unused:UNUSED_PAD src0_sel:WORD_1 src1_sel:DWORD
	s_waitcnt lgkmcnt(0)
	v_pk_fma_f16 v54, v54, v59, v58
	v_pk_fma_f16 v49, v55, v59, v49
	ds_read2_b64 v[58:61], v50 offset0:192 offset1:224
	v_pk_fma_f16 v69, v56, v66, v54
	v_pk_fma_f16 v49, v57, v66, v49
	ds_read2_b64 v[54:57], v51 offset1:32
	s_waitcnt lgkmcnt(1)
	v_pk_fma_f16 v58, v58, v67, v69
	v_pk_fma_f16 v49, v59, v67, v49
	v_pk_fma_f16 v66, v60, v68, v58
	v_pk_fma_f16 v49, v61, v68, v49
	ds_read2_b64 v[58:61], v51 offset0:64 offset1:96
	v_mul_u32_u24_sdwa v67, v62, s35 dst_sel:DWORD dst_unused:UNUSED_PAD src0_sel:WORD_0 src1_sel:DWORD
	v_mul_u32_u24_sdwa v62, v62, s35 dst_sel:DWORD dst_unused:UNUSED_PAD src0_sel:WORD_1 src1_sel:DWORD
	s_waitcnt lgkmcnt(1)
	v_pk_fma_f16 v54, v54, v67, v66
	v_pk_fma_f16 v49, v55, v67, v49
	v_pk_fma_f16 v66, v56, v62, v54
	v_pk_fma_f16 v49, v57, v62, v49
	ds_read2_b64 v[54:57], v51 offset0:128 offset1:160
	v_mul_u32_u24_sdwa v62, v63, s35 dst_sel:DWORD dst_unused:UNUSED_PAD src0_sel:WORD_0 src1_sel:DWORD
	v_mul_u32_u24_sdwa v63, v63, s35 dst_sel:DWORD dst_unused:UNUSED_PAD src0_sel:WORD_1 src1_sel:DWORD
	;; [unrolled: 8-line block ×3, first 2 shown]
	v_mul_u32_u24_sdwa v67, v65, s35 dst_sel:DWORD dst_unused:UNUSED_PAD src0_sel:WORD_0 src1_sel:DWORD
	v_mul_u32_u24_sdwa v68, v65, s35 dst_sel:DWORD dst_unused:UNUSED_PAD src0_sel:WORD_1 src1_sel:DWORD
	s_waitcnt lgkmcnt(1)
	v_pk_fma_f16 v54, v54, v63, v62
	v_pk_fma_f16 v49, v55, v63, v49
	ds_read_b128 v[62:65], v39 offset:96
	v_pk_fma_f16 v69, v56, v66, v54
	v_pk_fma_f16 v49, v57, v66, v49
	ds_read2_b64 v[54:57], v52 offset1:32
	s_waitcnt lgkmcnt(2)
	v_pk_fma_f16 v58, v58, v67, v69
	v_pk_fma_f16 v49, v59, v67, v49
	;; [unrolled: 1-line block ×4, first 2 shown]
	ds_read_b128 v[58:61], v39 offset:112
	s_waitcnt lgkmcnt(2)
	v_mul_u32_u24_sdwa v67, v62, s35 dst_sel:DWORD dst_unused:UNUSED_PAD src0_sel:WORD_0 src1_sel:DWORD
	v_mul_u32_u24_sdwa v62, v62, s35 dst_sel:DWORD dst_unused:UNUSED_PAD src0_sel:WORD_1 src1_sel:DWORD
	s_waitcnt lgkmcnt(1)
	v_pk_fma_f16 v54, v54, v67, v66
	v_pk_fma_f16 v49, v55, v67, v49
	;; [unrolled: 1-line block ×4, first 2 shown]
	ds_read2_b64 v[54:57], v52 offset0:64 offset1:96
	v_mul_u32_u24_sdwa v62, v63, s35 dst_sel:DWORD dst_unused:UNUSED_PAD src0_sel:WORD_0 src1_sel:DWORD
	v_mul_u32_u24_sdwa v63, v63, s35 dst_sel:DWORD dst_unused:UNUSED_PAD src0_sel:WORD_1 src1_sel:DWORD
	v_mul_u32_u24_sdwa v67, v65, s35 dst_sel:DWORD dst_unused:UNUSED_PAD src0_sel:WORD_0 src1_sel:DWORD
	v_mul_u32_u24_sdwa v68, v65, s35 dst_sel:DWORD dst_unused:UNUSED_PAD src0_sel:WORD_1 src1_sel:DWORD
	s_waitcnt lgkmcnt(0)
	v_pk_fma_f16 v54, v54, v62, v66
	v_pk_fma_f16 v49, v55, v62, v49
	;; [unrolled: 1-line block ×4, first 2 shown]
	ds_read2_b64 v[54:57], v52 offset0:128 offset1:160
	v_mul_u32_u24_sdwa v63, v64, s35 dst_sel:DWORD dst_unused:UNUSED_PAD src0_sel:WORD_0 src1_sel:DWORD
	v_mul_u32_u24_sdwa v66, v64, s35 dst_sel:DWORD dst_unused:UNUSED_PAD src0_sel:WORD_1 src1_sel:DWORD
	s_waitcnt lgkmcnt(0)
	v_pk_fma_f16 v54, v54, v63, v62
	v_pk_fma_f16 v49, v55, v63, v49
	ds_read2_b64 v[62:65], v52 offset0:192 offset1:224
	v_pk_fma_f16 v69, v56, v66, v54
	v_pk_fma_f16 v49, v57, v66, v49
	ds_read2_b64 v[54:57], v53 offset1:32
	s_waitcnt lgkmcnt(1)
	v_pk_fma_f16 v62, v62, v67, v69
	v_pk_fma_f16 v49, v63, v67, v49
	;; [unrolled: 1-line block ×4, first 2 shown]
	ds_read2_b64 v[62:65], v53 offset0:64 offset1:96
	v_mul_u32_u24_sdwa v67, v58, s35 dst_sel:DWORD dst_unused:UNUSED_PAD src0_sel:WORD_0 src1_sel:DWORD
	v_mul_u32_u24_sdwa v58, v58, s35 dst_sel:DWORD dst_unused:UNUSED_PAD src0_sel:WORD_1 src1_sel:DWORD
	s_waitcnt lgkmcnt(1)
	v_pk_fma_f16 v54, v54, v67, v66
	v_pk_fma_f16 v49, v55, v67, v49
	;; [unrolled: 1-line block ×4, first 2 shown]
	v_mul_u32_u24_sdwa v58, v59, s35 dst_sel:DWORD dst_unused:UNUSED_PAD src0_sel:WORD_0 src1_sel:DWORD
	ds_read2_b64 v[54:57], v53 offset0:128 offset1:160
	v_mul_u32_u24_sdwa v59, v59, s35 dst_sel:DWORD dst_unused:UNUSED_PAD src0_sel:WORD_1 src1_sel:DWORD
	s_waitcnt lgkmcnt(1)
	v_pk_fma_f16 v62, v62, v58, v66
	v_pk_fma_f16 v49, v63, v58, v49
	;; [unrolled: 1-line block ×4, first 2 shown]
	ds_read2_b64 v[62:65], v53 offset0:192 offset1:224
	s_waitcnt lgkmcnt(0)
	s_barrier
	s_load_dword s4, s[6:7], 0x4
	v_mul_u32_u24_sdwa v59, v60, s35 dst_sel:DWORD dst_unused:UNUSED_PAD src0_sel:WORD_0 src1_sel:DWORD
	v_mul_u32_u24_sdwa v60, v60, s35 dst_sel:DWORD dst_unused:UNUSED_PAD src0_sel:WORD_1 src1_sel:DWORD
	v_pk_fma_f16 v54, v54, v59, v58
	v_pk_fma_f16 v49, v55, v59, v49
	v_mul_u32_u24_sdwa v66, v61, s35 dst_sel:DWORD dst_unused:UNUSED_PAD src0_sel:WORD_0 src1_sel:DWORD
	s_waitcnt lgkmcnt(0)
	s_lshl_b32 s4, s4, 6
	v_pk_fma_f16 v54, v56, v60, v54
	v_pk_fma_f16 v49, v57, v60, v49
	v_mul_u32_u24_sdwa v61, v61, s35 dst_sel:DWORD dst_unused:UNUSED_PAD src0_sel:WORD_1 src1_sel:DWORD
	s_add_i32 s2, s4, s2
	v_pk_fma_f16 v54, v62, v66, v54
	v_pk_fma_f16 v49, v63, v66, v49
	s_cmp_ge_i32 s2, s28
	v_pk_fma_f16 v54, v64, v61, v54
	v_pk_fma_f16 v49, v65, v61, v49
	s_cbranch_scc0 .LBB13_9
.LBB13_10:
	v_cmp_lt_i32_e32 vcc, v33, v28
	s_cmp_lg_u64 s[12:13], 0
	s_cselect_b64 s[4:5], -1, 0
	v_cndmask_b32_e32 v0, v13, v33, vcc
	v_lshlrev_b32_e32 v0, 2, v0
	ds_bpermute_b32 v0, v0, v23
	v_cmp_lt_i32_e32 vcc, v32, v28
	s_cmp_eq_u32 s3, 0
	s_cselect_b64 s[6:7], -1, 0
	v_cndmask_b32_e32 v1, v13, v32, vcc
	v_lshlrev_b32_e32 v1, 2, v1
	s_waitcnt lgkmcnt(0)
	v_add_f32_e32 v0, v23, v0
	ds_bpermute_b32 v1, v1, v0
	v_cmp_lt_i32_e32 vcc, v31, v28
	s_and_b64 s[4:5], s[6:7], s[4:5]
	s_waitcnt lgkmcnt(0)
	v_add_f32_e32 v0, v0, v1
	v_cndmask_b32_e32 v4, v13, v31, vcc
	v_lshlrev_b32_e32 v4, 2, v4
	ds_bpermute_b32 v1, v4, v0
	v_cmp_lt_i32_e32 vcc, v29, v28
	s_waitcnt lgkmcnt(0)
	v_add_f32_e32 v1, v0, v1
	v_cndmask_b32_e32 v4, v13, v29, vcc
	v_lshlrev_b32_e32 v4, 2, v4
	ds_bpermute_b32 v4, v4, v1
	v_cmp_lt_i32_e32 vcc, v30, v28
	v_add_u32_e32 v0, s29, v24
	s_waitcnt lgkmcnt(0)
	v_add_f32_e32 v1, v1, v4
	v_cndmask_b32_e32 v5, v13, v30, vcc
	v_lshlrev_b32_e32 v5, 2, v5
	ds_bpermute_b32 v4, v5, v1
	s_and_b64 vcc, exec, s[4:5]
	s_waitcnt lgkmcnt(0)
	v_add_f32_e32 v23, v1, v4
	s_cbranch_vccz .LBB13_12
; %bb.11:
	v_ashrrev_i32_e32 v1, 31, v0
	v_lshl_add_u64 v[4:5], v[0:1], 2, s[12:13]
	global_load_dword v1, v[4:5], off
	v_max_f32_e32 v4, v22, v22
	s_mov_b32 s2, 0x3fb8aa3b
	s_mov_b32 s4, 0xc2ce8ed0
	s_waitcnt vmcnt(0)
	v_max_f32_e32 v5, v1, v1
	v_max_f32_e32 v4, v4, v5
	v_sub_f32_e32 v5, v22, v4
	v_sub_f32_e32 v1, v1, v4
	v_mul_f32_e32 v6, 0x3fb8aa3b, v5
	v_mul_f32_e32 v7, 0x3fb8aa3b, v1
	v_fma_f32 v8, v5, s2, -v6
	v_rndne_f32_e32 v9, v6
	v_fma_f32 v10, v1, s2, -v7
	v_rndne_f32_e32 v11, v7
	v_fmac_f32_e32 v8, 0x32a5705f, v5
	v_sub_f32_e32 v6, v6, v9
	v_fmac_f32_e32 v10, 0x32a5705f, v1
	v_sub_f32_e32 v7, v7, v11
	v_add_f32_e32 v6, v6, v8
	v_cvt_i32_f32_e32 v9, v9
	v_add_f32_e32 v7, v7, v10
	v_exp_f32_e32 v6, v6
	v_cvt_i32_f32_e32 v11, v11
	v_exp_f32_e32 v7, v7
	v_cmp_ngt_f32_e32 vcc, s4, v5
	v_ldexp_f32 v6, v6, v9
	s_mov_b32 s2, 0x42b17218
	v_ldexp_f32 v7, v7, v11
	v_cndmask_b32_e32 v6, 0, v6, vcc
	v_cmp_ngt_f32_e32 vcc, s4, v1
	v_mov_b32_e32 v8, 0x7f800000
	s_nop 0
	v_cndmask_b32_e32 v7, 0, v7, vcc
	v_cmp_nlt_f32_e32 vcc, s2, v5
	s_nop 1
	v_cndmask_b32_e32 v6, v8, v6, vcc
	v_cvt_f16_f32_e32 v9, v6
	v_cmp_nlt_f32_e32 vcc, s2, v1
	v_mul_u32_u24_e32 v1, 0x10001, v9
	s_nop 0
	v_cndmask_b32_e32 v5, v8, v7, vcc
	v_fmac_f32_e32 v5, v23, v6
	v_pk_mul_f16 v54, v54, v1
	v_pk_mul_f16 v49, v49, v1
	v_mov_b64_e32 v[22:23], v[4:5]
	s_branch .LBB13_13
.LBB13_12:
	v_mov_b32_e32 v5, v23
.LBB13_13:
	s_load_dword s2, s[0:1], 0xd4
	v_div_scale_f32 v1, s[0:1], v5, v5, 1.0
	v_rcp_f32_e32 v4, v1
	s_mul_i32 s33, s33, s22
	s_waitcnt lgkmcnt(0)
	s_cmp_lg_u32 s2, 1
	s_cselect_b64 s[0:1], -1, 0
	v_fma_f32 v8, -v1, v4, 1.0
	v_fmac_f32_e32 v4, v8, v4
	v_div_scale_f32 v8, vcc, 1.0, v5, 1.0
	v_mul_f32_e32 v9, v8, v4
	v_fma_f32 v10, -v1, v9, v8
	v_fmac_f32_e32 v9, v10, v4
	v_fma_f32 v1, -v1, v9, v8
	v_div_fmas_f32 v1, v1, v4, v9
	v_div_fixup_f32 v1, v1, v5, 1.0
	v_cndmask_b32_e64 v4, v1, 1.0, s[0:1]
	v_add_u32_e32 v1, s33, v3
	v_mad_u64_u32 v[0:1], s[4:5], v1, s23, v[0:1]
	v_cmp_eq_u32_e32 vcc, 0, v2
	v_cvt_f32_f16_sdwa v3, v54 dst_sel:DWORD dst_unused:UNUSED_PAD src0_sel:WORD_1
	v_cvt_f32_f16_e32 v2, v54
	v_cvt_f32_f16_sdwa v11, v49 dst_sel:DWORD dst_unused:UNUSED_PAD src0_sel:WORD_1
	v_cvt_f32_f16_e32 v10, v49
	v_mul_lo_u32 v0, s2, v0
	v_add_u32_e32 v0, s3, v0
	v_mov_b32_e32 v6, s16
	v_mov_b32_e32 v7, s17
	v_lshl_add_u32 v8, v0, 7, v25
	v_mov_b32_e32 v9, 0
	v_lshl_add_u64 v[6:7], v[8:9], 2, v[6:7]
	s_and_b64 s[0:1], vcc, s[0:1]
	v_pk_mul_f32 v[2:3], v[4:5], v[2:3] op_sel_hi:[0,1]
	v_pk_mul_f32 v[4:5], v[4:5], v[10:11] op_sel_hi:[0,1]
	global_store_dwordx4 v[6:7], v[2:5], off
	s_and_saveexec_b64 s[2:3], s[0:1]
	s_cbranch_execz .LBB13_15
; %bb.14:
	v_mov_b32_e32 v2, s18
	v_mov_b32_e32 v3, s19
	v_ashrrev_i32_e32 v1, 31, v0
	v_lshl_add_u64 v[0:1], v[0:1], 3, v[2:3]
	global_store_dwordx2 v[0:1], v[22:23], off
.LBB13_15:
	s_endpgm
	.section	.rodata,"a",@progbits
	.p2align	6, 0x0
	.amdhsa_kernel _ZL15flash_attn_tileILi128ELi128ELi1ELi8ELb0EEvPKcS1_S1_S1_S1_PKiPfP15HIP_vector_typeIfLj2EEffffjfiS5_IjLj3EEiiiiiiiiiiiliiliiiiil
		.amdhsa_group_segment_fixed_size 20480
		.amdhsa_private_segment_fixed_size 0
		.amdhsa_kernarg_size 464
		.amdhsa_user_sgpr_count 2
		.amdhsa_user_sgpr_dispatch_ptr 0
		.amdhsa_user_sgpr_queue_ptr 0
		.amdhsa_user_sgpr_kernarg_segment_ptr 1
		.amdhsa_user_sgpr_dispatch_id 0
		.amdhsa_user_sgpr_kernarg_preload_length 0
		.amdhsa_user_sgpr_kernarg_preload_offset 0
		.amdhsa_user_sgpr_private_segment_size 0
		.amdhsa_uses_dynamic_stack 0
		.amdhsa_enable_private_segment 0
		.amdhsa_system_sgpr_workgroup_id_x 1
		.amdhsa_system_sgpr_workgroup_id_y 1
		.amdhsa_system_sgpr_workgroup_id_z 1
		.amdhsa_system_sgpr_workgroup_info 0
		.amdhsa_system_vgpr_workitem_id 1
		.amdhsa_next_free_vgpr 76
		.amdhsa_next_free_sgpr 39
		.amdhsa_accum_offset 76
		.amdhsa_reserve_vcc 1
		.amdhsa_float_round_mode_32 0
		.amdhsa_float_round_mode_16_64 0
		.amdhsa_float_denorm_mode_32 3
		.amdhsa_float_denorm_mode_16_64 3
		.amdhsa_dx10_clamp 1
		.amdhsa_ieee_mode 1
		.amdhsa_fp16_overflow 0
		.amdhsa_tg_split 0
		.amdhsa_exception_fp_ieee_invalid_op 0
		.amdhsa_exception_fp_denorm_src 0
		.amdhsa_exception_fp_ieee_div_zero 0
		.amdhsa_exception_fp_ieee_overflow 0
		.amdhsa_exception_fp_ieee_underflow 0
		.amdhsa_exception_fp_ieee_inexact 0
		.amdhsa_exception_int_div_zero 0
	.end_amdhsa_kernel
	.section	.text._ZL15flash_attn_tileILi128ELi128ELi1ELi8ELb0EEvPKcS1_S1_S1_S1_PKiPfP15HIP_vector_typeIfLj2EEffffjfiS5_IjLj3EEiiiiiiiiiiiliiliiiiil,"axG",@progbits,_ZL15flash_attn_tileILi128ELi128ELi1ELi8ELb0EEvPKcS1_S1_S1_S1_PKiPfP15HIP_vector_typeIfLj2EEffffjfiS5_IjLj3EEiiiiiiiiiiiliiliiiiil,comdat
.Lfunc_end13:
	.size	_ZL15flash_attn_tileILi128ELi128ELi1ELi8ELb0EEvPKcS1_S1_S1_S1_PKiPfP15HIP_vector_typeIfLj2EEffffjfiS5_IjLj3EEiiiiiiiiiiiliiliiiiil, .Lfunc_end13-_ZL15flash_attn_tileILi128ELi128ELi1ELi8ELb0EEvPKcS1_S1_S1_S1_PKiPfP15HIP_vector_typeIfLj2EEffffjfiS5_IjLj3EEiiiiiiiiiiiliiliiiiil
                                        ; -- End function
	.set _ZL15flash_attn_tileILi128ELi128ELi1ELi8ELb0EEvPKcS1_S1_S1_S1_PKiPfP15HIP_vector_typeIfLj2EEffffjfiS5_IjLj3EEiiiiiiiiiiiliiliiiiil.num_vgpr, 76
	.set _ZL15flash_attn_tileILi128ELi128ELi1ELi8ELb0EEvPKcS1_S1_S1_S1_PKiPfP15HIP_vector_typeIfLj2EEffffjfiS5_IjLj3EEiiiiiiiiiiiliiliiiiil.num_agpr, 0
	.set _ZL15flash_attn_tileILi128ELi128ELi1ELi8ELb0EEvPKcS1_S1_S1_S1_PKiPfP15HIP_vector_typeIfLj2EEffffjfiS5_IjLj3EEiiiiiiiiiiiliiliiiiil.numbered_sgpr, 39
	.set _ZL15flash_attn_tileILi128ELi128ELi1ELi8ELb0EEvPKcS1_S1_S1_S1_PKiPfP15HIP_vector_typeIfLj2EEffffjfiS5_IjLj3EEiiiiiiiiiiiliiliiiiil.num_named_barrier, 0
	.set _ZL15flash_attn_tileILi128ELi128ELi1ELi8ELb0EEvPKcS1_S1_S1_S1_PKiPfP15HIP_vector_typeIfLj2EEffffjfiS5_IjLj3EEiiiiiiiiiiiliiliiiiil.private_seg_size, 0
	.set _ZL15flash_attn_tileILi128ELi128ELi1ELi8ELb0EEvPKcS1_S1_S1_S1_PKiPfP15HIP_vector_typeIfLj2EEffffjfiS5_IjLj3EEiiiiiiiiiiiliiliiiiil.uses_vcc, 1
	.set _ZL15flash_attn_tileILi128ELi128ELi1ELi8ELb0EEvPKcS1_S1_S1_S1_PKiPfP15HIP_vector_typeIfLj2EEffffjfiS5_IjLj3EEiiiiiiiiiiiliiliiiiil.uses_flat_scratch, 0
	.set _ZL15flash_attn_tileILi128ELi128ELi1ELi8ELb0EEvPKcS1_S1_S1_S1_PKiPfP15HIP_vector_typeIfLj2EEffffjfiS5_IjLj3EEiiiiiiiiiiiliiliiiiil.has_dyn_sized_stack, 0
	.set _ZL15flash_attn_tileILi128ELi128ELi1ELi8ELb0EEvPKcS1_S1_S1_S1_PKiPfP15HIP_vector_typeIfLj2EEffffjfiS5_IjLj3EEiiiiiiiiiiiliiliiiiil.has_recursion, 0
	.set _ZL15flash_attn_tileILi128ELi128ELi1ELi8ELb0EEvPKcS1_S1_S1_S1_PKiPfP15HIP_vector_typeIfLj2EEffffjfiS5_IjLj3EEiiiiiiiiiiiliiliiiiil.has_indirect_call, 0
	.section	.AMDGPU.csdata,"",@progbits
; Kernel info:
; codeLenInByte = 8140
; TotalNumSgprs: 45
; NumVgprs: 76
; NumAgprs: 0
; TotalNumVgprs: 76
; ScratchSize: 0
; MemoryBound: 0
; FloatMode: 240
; IeeeMode: 1
; LDSByteSize: 20480 bytes/workgroup (compile time only)
; SGPRBlocks: 5
; VGPRBlocks: 9
; NumSGPRsForWavesPerEU: 45
; NumVGPRsForWavesPerEU: 76
; AccumOffset: 76
; Occupancy: 6
; WaveLimiterHint : 1
; COMPUTE_PGM_RSRC2:SCRATCH_EN: 0
; COMPUTE_PGM_RSRC2:USER_SGPR: 2
; COMPUTE_PGM_RSRC2:TRAP_HANDLER: 0
; COMPUTE_PGM_RSRC2:TGID_X_EN: 1
; COMPUTE_PGM_RSRC2:TGID_Y_EN: 1
; COMPUTE_PGM_RSRC2:TGID_Z_EN: 1
; COMPUTE_PGM_RSRC2:TIDIG_COMP_CNT: 1
; COMPUTE_PGM_RSRC3_GFX90A:ACCUM_OFFSET: 18
; COMPUTE_PGM_RSRC3_GFX90A:TG_SPLIT: 0
	.section	.text._ZL25flash_attn_mask_to_KV_maxILi1EEvPK7__half2Piiii,"axG",@progbits,_ZL25flash_attn_mask_to_KV_maxILi1EEvPK7__half2Piiii,comdat
	.globl	_ZL25flash_attn_mask_to_KV_maxILi1EEvPK7__half2Piiii ; -- Begin function _ZL25flash_attn_mask_to_KV_maxILi1EEvPK7__half2Piiii
	.p2align	8
	.type	_ZL25flash_attn_mask_to_KV_maxILi1EEvPK7__half2Piiii,@function
_ZL25flash_attn_mask_to_KV_maxILi1EEvPK7__half2Piiii: ; @_ZL25flash_attn_mask_to_KV_maxILi1EEvPK7__half2Piiii
; %bb.0:
	s_load_dwordx4 s[4:7], s[0:1], 0x0
	v_cmp_gt_u32_e32 vcc, 32, v0
	s_and_saveexec_b64 s[8:9], vcc
; %bb.1:
	v_lshlrev_b32_e32 v1, 2, v0
	v_mov_b32_e32 v2, 1
	ds_write_b32 v1, v2
; %bb.2:
	s_or_b64 exec, exec, s[8:9]
	s_load_dwordx4 s[16:19], s[0:1], 0x10
	s_load_dword s14, s[0:1], 0x20
	v_and_b32_e32 v2, 31, v0
	v_lshlrev_b32_e32 v4, 2, v2
	v_lshrrev_b32_e32 v1, 3, v0
	s_waitcnt lgkmcnt(0)
	s_mul_i32 s0, s18, s3
	s_mul_i32 s1, s17, s2
	s_add_i32 s0, s0, s1
	s_ashr_i32 s1, s0, 31
	s_lshl_b64 s[0:1], s[0:1], 2
	s_add_u32 s8, s4, s0
	s_addc_u32 s9, s5, s1
	v_cmp_eq_u32_e64 s[0:1], 0, v2
	v_mbcnt_lo_u32_b32 v2, -1, 0
	v_mbcnt_hi_u32_b32 v5, -1, v2
	v_and_b32_e32 v2, 0x60, v5
	s_lshl_b32 s15, s16, 8
	s_mov_b64 s[10:11], 0
	v_mov_b32_e32 v3, 0
	s_movk_i32 s16, 0x204
	v_add_u32_e32 v6, 32, v2
	v_xor_b32_e32 v7, 16, v5
	v_xor_b32_e32 v8, 8, v5
	;; [unrolled: 1-line block ×5, first 2 shown]
	s_barrier
                                        ; implicit-def: $sgpr4_sgpr5
	s_branch .LBB14_5
.LBB14_3:                               ;   in Loop: Header=BB14_5 Depth=1
	s_or_b64 exec, exec, s[12:13]
	s_waitcnt lgkmcnt(0)
	s_barrier
	ds_read_b32 v16, v4
	s_waitcnt lgkmcnt(0)
	s_barrier
	ds_bpermute_b32 v2, v2, v16
	v_cmp_ne_u32_e32 vcc, 0, v16
	s_waitcnt lgkmcnt(0)
	v_cmp_ne_u32_e64 s[4:5], 0, v2
	s_and_b64 s[4:5], vcc, s[4:5]
	s_nop 0
	v_cndmask_b32_e64 v2, 0, 1, s[4:5]
	ds_bpermute_b32 v2, v12, v2
	s_waitcnt lgkmcnt(0)
	v_cmp_ne_u32_e32 vcc, 0, v2
	s_and_b64 s[4:5], vcc, s[4:5]
	v_cndmask_b32_e64 v2, 0, 1, s[4:5]
	ds_bpermute_b32 v2, v13, v2
	s_waitcnt lgkmcnt(0)
	v_cmp_ne_u32_e32 vcc, 0, v2
	s_and_b64 s[4:5], vcc, s[4:5]
	;; [unrolled: 5-line block ×3, first 2 shown]
	v_cndmask_b32_e64 v2, 0, 1, s[4:5]
	ds_bpermute_b32 v2, v15, v2
	s_xor_b64 s[4:5], s[4:5], -1
	s_waitcnt lgkmcnt(0)
	v_cmp_eq_u32_e32 vcc, 0, v2
	s_or_b64 s[4:5], vcc, s[4:5]
.LBB14_4:                               ;   in Loop: Header=BB14_5 Depth=1
	s_and_b64 s[12:13], exec, s[4:5]
	s_or_b64 s[10:11], s[12:13], s[10:11]
	v_mov_b32_e32 v2, s15
	s_mov_b32 s15, s17
	s_andn2_b64 exec, exec, s[10:11]
	s_cbranch_execz .LBB14_10
.LBB14_5:                               ; =>This Inner Loop Header: Depth=1
	s_add_i32 s17, s15, 0xffffff00
	s_or_b64 s[4:5], s[4:5], exec
	s_cmp_lt_i32 s17, 0
	s_cbranch_scc1 .LBB14_4
; %bb.6:                                ;   in Loop: Header=BB14_5 Depth=1
	s_lshr_b32 s4, s17, 1
	v_add_u32_e32 v2, s4, v0
	v_lshl_add_u64 v[12:13], v[2:3], 2, s[8:9]
	global_load_dword v2, v[12:13], off
	v_mov_b32_e32 v12, 0
	s_waitcnt vmcnt(0)
	v_cmp_class_f16_e64 s[12:13], v2, s16
	s_and_saveexec_b64 s[4:5], s[12:13]
; %bb.7:                                ;   in Loop: Header=BB14_5 Depth=1
	v_cmp_class_f16_sdwa s[12:13], v2, s16 src0_sel:WORD_1 src1_sel:DWORD
	s_nop 1
	v_cndmask_b32_e64 v12, 0, 1, s[12:13]
; %bb.8:                                ;   in Loop: Header=BB14_5 Depth=1
	s_or_b64 exec, exec, s[4:5]
	v_cmp_lt_i32_e32 vcc, v7, v6
	s_nop 1
	v_cndmask_b32_e32 v2, v5, v7, vcc
	v_lshlrev_b32_e32 v2, 2, v2
	ds_bpermute_b32 v13, v2, v12
	v_cmp_ne_u32_e32 vcc, 0, v12
	s_waitcnt lgkmcnt(0)
	v_cmp_ne_u32_e64 s[4:5], 0, v13
	s_and_b64 s[4:5], vcc, s[4:5]
	v_cmp_lt_i32_e32 vcc, v8, v6
	v_cndmask_b32_e64 v13, 0, 1, s[4:5]
	s_nop 0
	v_cndmask_b32_e32 v12, v5, v8, vcc
	v_lshlrev_b32_e32 v12, 2, v12
	ds_bpermute_b32 v13, v12, v13
	s_waitcnt lgkmcnt(0)
	v_cmp_ne_u32_e32 vcc, 0, v13
	s_and_b64 s[4:5], vcc, s[4:5]
	v_cmp_lt_i32_e32 vcc, v9, v6
	v_cndmask_b32_e64 v14, 0, 1, s[4:5]
	s_nop 0
	v_cndmask_b32_e32 v13, v5, v9, vcc
	v_lshlrev_b32_e32 v13, 2, v13
	ds_bpermute_b32 v14, v13, v14
	s_waitcnt lgkmcnt(0)
	v_cmp_ne_u32_e32 vcc, 0, v14
	;; [unrolled: 9-line block ×3, first 2 shown]
	s_and_b64 s[4:5], vcc, s[4:5]
	v_cmp_lt_i32_e32 vcc, v11, v6
	v_cndmask_b32_e64 v16, 0, 1, s[4:5]
	s_nop 0
	v_cndmask_b32_e32 v15, v5, v11, vcc
	v_lshlrev_b32_e32 v15, 2, v15
	ds_bpermute_b32 v16, v15, v16
	s_and_saveexec_b64 s[12:13], s[0:1]
	s_cbranch_execz .LBB14_3
; %bb.9:                                ;   in Loop: Header=BB14_5 Depth=1
	s_waitcnt lgkmcnt(0)
	v_cmp_ne_u32_e32 vcc, 0, v16
	s_and_b64 s[4:5], vcc, s[4:5]
	v_cndmask_b32_e64 v16, 0, 1, s[4:5]
	ds_write_b32 v1, v16
	s_branch .LBB14_3
.LBB14_10:
	s_or_b64 exec, exec, s[10:11]
	v_cmp_eq_u32_e32 vcc, 0, v0
	s_and_saveexec_b64 s[0:1], vcc
	s_cbranch_execz .LBB14_12
; %bb.11:
	s_mul_i32 s0, s14, s3
	s_add_i32 s0, s0, s2
	s_ashr_i32 s1, s0, 31
	s_lshl_b64 s[0:1], s[0:1], 2
	s_add_u32 s0, s6, s0
	s_addc_u32 s1, s7, s1
	v_mov_b32_e32 v0, 0
	global_store_dword v0, v2, s[0:1]
.LBB14_12:
	s_endpgm
	.section	.rodata,"a",@progbits
	.p2align	6, 0x0
	.amdhsa_kernel _ZL25flash_attn_mask_to_KV_maxILi1EEvPK7__half2Piiii
		.amdhsa_group_segment_fixed_size 128
		.amdhsa_private_segment_fixed_size 0
		.amdhsa_kernarg_size 288
		.amdhsa_user_sgpr_count 2
		.amdhsa_user_sgpr_dispatch_ptr 0
		.amdhsa_user_sgpr_queue_ptr 0
		.amdhsa_user_sgpr_kernarg_segment_ptr 1
		.amdhsa_user_sgpr_dispatch_id 0
		.amdhsa_user_sgpr_kernarg_preload_length 0
		.amdhsa_user_sgpr_kernarg_preload_offset 0
		.amdhsa_user_sgpr_private_segment_size 0
		.amdhsa_uses_dynamic_stack 0
		.amdhsa_enable_private_segment 0
		.amdhsa_system_sgpr_workgroup_id_x 1
		.amdhsa_system_sgpr_workgroup_id_y 1
		.amdhsa_system_sgpr_workgroup_id_z 0
		.amdhsa_system_sgpr_workgroup_info 0
		.amdhsa_system_vgpr_workitem_id 0
		.amdhsa_next_free_vgpr 17
		.amdhsa_next_free_sgpr 20
		.amdhsa_accum_offset 20
		.amdhsa_reserve_vcc 1
		.amdhsa_float_round_mode_32 0
		.amdhsa_float_round_mode_16_64 0
		.amdhsa_float_denorm_mode_32 3
		.amdhsa_float_denorm_mode_16_64 3
		.amdhsa_dx10_clamp 1
		.amdhsa_ieee_mode 1
		.amdhsa_fp16_overflow 0
		.amdhsa_tg_split 0
		.amdhsa_exception_fp_ieee_invalid_op 0
		.amdhsa_exception_fp_denorm_src 0
		.amdhsa_exception_fp_ieee_div_zero 0
		.amdhsa_exception_fp_ieee_overflow 0
		.amdhsa_exception_fp_ieee_underflow 0
		.amdhsa_exception_fp_ieee_inexact 0
		.amdhsa_exception_int_div_zero 0
	.end_amdhsa_kernel
	.section	.text._ZL25flash_attn_mask_to_KV_maxILi1EEvPK7__half2Piiii,"axG",@progbits,_ZL25flash_attn_mask_to_KV_maxILi1EEvPK7__half2Piiii,comdat
.Lfunc_end14:
	.size	_ZL25flash_attn_mask_to_KV_maxILi1EEvPK7__half2Piiii, .Lfunc_end14-_ZL25flash_attn_mask_to_KV_maxILi1EEvPK7__half2Piiii
                                        ; -- End function
	.set _ZL25flash_attn_mask_to_KV_maxILi1EEvPK7__half2Piiii.num_vgpr, 17
	.set _ZL25flash_attn_mask_to_KV_maxILi1EEvPK7__half2Piiii.num_agpr, 0
	.set _ZL25flash_attn_mask_to_KV_maxILi1EEvPK7__half2Piiii.numbered_sgpr, 20
	.set _ZL25flash_attn_mask_to_KV_maxILi1EEvPK7__half2Piiii.num_named_barrier, 0
	.set _ZL25flash_attn_mask_to_KV_maxILi1EEvPK7__half2Piiii.private_seg_size, 0
	.set _ZL25flash_attn_mask_to_KV_maxILi1EEvPK7__half2Piiii.uses_vcc, 1
	.set _ZL25flash_attn_mask_to_KV_maxILi1EEvPK7__half2Piiii.uses_flat_scratch, 0
	.set _ZL25flash_attn_mask_to_KV_maxILi1EEvPK7__half2Piiii.has_dyn_sized_stack, 0
	.set _ZL25flash_attn_mask_to_KV_maxILi1EEvPK7__half2Piiii.has_recursion, 0
	.set _ZL25flash_attn_mask_to_KV_maxILi1EEvPK7__half2Piiii.has_indirect_call, 0
	.section	.AMDGPU.csdata,"",@progbits
; Kernel info:
; codeLenInByte = 768
; TotalNumSgprs: 26
; NumVgprs: 17
; NumAgprs: 0
; TotalNumVgprs: 17
; ScratchSize: 0
; MemoryBound: 0
; FloatMode: 240
; IeeeMode: 1
; LDSByteSize: 128 bytes/workgroup (compile time only)
; SGPRBlocks: 3
; VGPRBlocks: 2
; NumSGPRsForWavesPerEU: 26
; NumVGPRsForWavesPerEU: 17
; AccumOffset: 20
; Occupancy: 8
; WaveLimiterHint : 0
; COMPUTE_PGM_RSRC2:SCRATCH_EN: 0
; COMPUTE_PGM_RSRC2:USER_SGPR: 2
; COMPUTE_PGM_RSRC2:TRAP_HANDLER: 0
; COMPUTE_PGM_RSRC2:TGID_X_EN: 1
; COMPUTE_PGM_RSRC2:TGID_Y_EN: 1
; COMPUTE_PGM_RSRC2:TGID_Z_EN: 0
; COMPUTE_PGM_RSRC2:TIDIG_COMP_CNT: 0
; COMPUTE_PGM_RSRC3_GFX90A:ACCUM_OFFSET: 4
; COMPUTE_PGM_RSRC3_GFX90A:TG_SPLIT: 0
	.section	.text._ZL33flash_attn_stream_k_fixup_uniformILi128ELi1ELi8EEvPfPK15HIP_vector_typeIfLj2EEiiiiiiS1_IjLj3EES5_S5_,"axG",@progbits,_ZL33flash_attn_stream_k_fixup_uniformILi128ELi1ELi8EEvPfPK15HIP_vector_typeIfLj2EEiiiiiiS1_IjLj3EES5_S5_,comdat
	.globl	_ZL33flash_attn_stream_k_fixup_uniformILi128ELi1ELi8EEvPfPK15HIP_vector_typeIfLj2EEiiiiiiS1_IjLj3EES5_S5_ ; -- Begin function _ZL33flash_attn_stream_k_fixup_uniformILi128ELi1ELi8EEvPfPK15HIP_vector_typeIfLj2EEiiiiiiS1_IjLj3EES5_S5_
	.p2align	8
	.type	_ZL33flash_attn_stream_k_fixup_uniformILi128ELi1ELi8EEvPfPK15HIP_vector_typeIfLj2EEiiiiiiS1_IjLj3EES5_S5_,@function
_ZL33flash_attn_stream_k_fixup_uniformILi128ELi1ELi8EEvPfPK15HIP_vector_typeIfLj2EEiiiiiiS1_IjLj3EES5_S5_: ; @_ZL33flash_attn_stream_k_fixup_uniformILi128ELi1ELi8EEvPfPK15HIP_vector_typeIfLj2EEiiiiiiS1_IjLj3EES5_S5_
; %bb.0:
	s_load_dwordx8 s[8:15], s[0:1], 0x1c
	s_load_dwordx2 s[6:7], s[0:1], 0x10
	s_load_dwordx4 s[16:19], s[0:1], 0x3c
	s_waitcnt lgkmcnt(0)
	s_mul_hi_u32 s5, s11, s2
	s_add_i32 s5, s2, s5
	s_lshr_b32 s5, s5, s12
	s_mul_i32 s11, s5, s13
	s_sub_i32 s12, s2, s11
	s_mul_hi_u32 s11, s12, s14
	s_add_i32 s11, s12, s11
	s_lshr_b32 s11, s11, s15
	s_mul_i32 s13, s11, s16
	s_sub_i32 s12, s12, s13
	;; [unrolled: 5-line block ×3, first 2 shown]
	s_lshl_b32 s16, s13, 3
	s_add_i32 s17, s17, s3
	s_cmp_lt_i32 s17, s6
	s_cselect_b64 s[12:13], -1, 0
	s_add_i32 s16, s16, s4
	s_cmp_lt_i32 s16, s9
	s_cselect_b64 s[14:15], -1, 0
	s_and_b64 s[12:13], s[12:13], s[14:15]
	s_andn2_b64 vcc, exec, s[12:13]
	s_cbranch_vccnz .LBB15_6
; %bb.1:
	s_load_dwordx4 s[12:15], s[0:1], 0x0
	s_mul_i32 s5, s5, s6
	s_mul_i32 s11, s11, s9
	s_add_i32 s0, s17, s5
	s_mul_i32 s0, s0, s7
	s_add_i32 s1, s16, s11
	s_add_i32 s1, s1, s0
	v_lshl_or_b32 v4, s1, 7, v0
	s_waitcnt lgkmcnt(0)
	v_mov_b32_e32 v2, s12
	v_mov_b32_e32 v3, s13
	v_ashrrev_i32_e32 v5, 31, v4
	v_lshl_add_u64 v[2:3], v[4:5], 2, v[2:3]
	global_load_dword v5, v[2:3], off
	s_mul_i32 s9, s10, s2
	s_add_i32 s5, s9, s10
	s_add_i32 s0, s3, s5
	s_lshl_b32 s0, s0, 3
	s_add_i32 s0, s0, s4
	s_add_i32 s0, s0, -8
	s_ashr_i32 s1, s0, 31
	s_lshl_b64 s[0:1], s[0:1], 3
	s_add_u32 s0, s14, s0
	s_addc_u32 s1, s15, s1
	s_load_dword s12, s[0:1], 0x4
	s_add_i32 s6, s5, -2
	s_cmp_lt_i32 s6, s9
	s_cbranch_scc1 .LBB15_4
; %bb.2:
	s_lshl_b32 s6, s8, 5
	s_ashr_i32 s7, s6, 31
	s_lshl_b64 s[6:7], s[6:7], 2
	s_add_u32 s6, s14, s6
	s_addc_u32 s7, s15, s7
	s_load_dword s0, s[0:1], 0x0
	s_add_i32 s2, s2, 1
	s_lshl_b32 s1, s4, 7
	s_add_i32 s8, s3, s8
	s_mul_i32 s2, s10, s2
	s_lshl_b32 s3, s3, 10
	s_add_i32 s8, s8, s5
	s_lshl_b32 s2, s2, 10
	s_add_i32 s1, s1, s3
	s_add_i32 s11, s5, -1
	s_lshl_b32 s5, s8, 3
	s_add_i32 s1, s1, s2
	s_add_i32 s4, s4, s5
	v_or_b32_e32 v0, s1, v0
	s_add_i32 s4, s4, -16
	v_add_u32_e32 v0, 0xfffff800, v0
	s_waitcnt lgkmcnt(0)
	v_mov_b32_e32 v7, s0
	v_mov_b32_e32 v4, s12
	s_mov_b32 s2, 0x3fb8aa3b
	s_mov_b32 s3, 0xc2ce8ed0
	;; [unrolled: 1-line block ×3, first 2 shown]
	v_mov_b32_e32 v6, 0x7f800000
	s_mov_b32 s10, 0xc1a00000
.LBB15_3:                               ; =>This Inner Loop Header: Depth=1
	v_ashrrev_i32_e32 v1, 31, v0
	v_lshl_add_u64 v[8:9], v[0:1], 2, s[6:7]
	global_load_dword v9, v[8:9], off
	s_ashr_i32 s5, s4, 31
	s_lshl_b64 s[0:1], s[4:5], 3
	s_add_u32 s0, s14, s0
	s_addc_u32 s1, s15, s1
	s_load_dwordx2 s[0:1], s[0:1], 0x0
	v_max_f32_e32 v1, v7, v7
	s_add_i32 s11, s11, -1
	s_add_i32 s4, s4, -8
	v_add_u32_e32 v0, 0xfffffc00, v0
	s_waitcnt lgkmcnt(0)
	v_max_f32_e64 v10, s0, s0
	v_max_f32_e32 v1, v1, v10
	v_sub_f32_e32 v11, s0, v1
	v_sub_f32_e32 v10, v7, v1
	v_mul_f32_e32 v12, 0x3fb8aa3b, v11
	v_mov_b32_e32 v7, v1
	v_mul_f32_e32 v1, 0x3fb8aa3b, v10
	v_fma_f32 v15, v11, s2, -v12
	v_rndne_f32_e32 v16, v12
	v_fma_f32 v13, v10, s2, -v1
	v_rndne_f32_e32 v14, v1
	v_fmac_f32_e32 v15, 0x32a5705f, v11
	v_sub_f32_e32 v12, v12, v16
	v_fmac_f32_e32 v13, 0x32a5705f, v10
	v_sub_f32_e32 v1, v1, v14
	v_add_f32_e32 v12, v12, v15
	v_cvt_i32_f32_e32 v16, v16
	v_add_f32_e32 v1, v1, v13
	v_exp_f32_e32 v12, v12
	v_cvt_i32_f32_e32 v14, v14
	v_exp_f32_e32 v1, v1
	v_cmp_ngt_f32_e32 vcc, s3, v11
	v_ldexp_f32 v12, v12, v16
	v_mov_b32_e32 v8, s1
	v_ldexp_f32 v1, v1, v14
	v_cmp_ngt_f32_e64 s[0:1], s3, v10
	v_cndmask_b32_e32 v12, 0, v12, vcc
	v_cmp_nlt_f32_e32 vcc, s8, v11
	v_cndmask_b32_e64 v1, 0, v1, s[0:1]
	v_cmp_nlt_f32_e64 s[0:1], s8, v10
	v_cndmask_b32_e32 v12, v6, v12, vcc
	v_cmp_le_f32_e32 vcc, s10, v11
	v_cndmask_b32_e64 v1, v6, v1, s[0:1]
	v_cmp_le_f32_e64 s[0:1], s10, v10
	v_cndmask_b32_e32 v12, 0, v12, vcc
	s_cmp_le_i32 s11, s9
	v_cndmask_b32_e64 v10, 0, v1, s[0:1]
	s_waitcnt vmcnt(0)
	v_pk_mul_f32 v[8:9], v[8:9], v[12:13] op_sel_hi:[1,0]
	s_nop 0
	v_pk_fma_f32 v[4:5], v[4:5], v[10:11], v[8:9] op_sel_hi:[1,0,1]
	s_cbranch_scc0 .LBB15_3
	s_branch .LBB15_5
.LBB15_4:
	s_waitcnt lgkmcnt(0)
	v_mov_b32_e32 v4, s12
.LBB15_5:
	s_waitcnt vmcnt(0)
	v_div_scale_f32 v0, s[0:1], v4, v4, v5
	v_rcp_f32_e32 v1, v0
	v_div_scale_f32 v6, vcc, v5, v4, v5
	v_fma_f32 v7, -v0, v1, 1.0
	v_fmac_f32_e32 v1, v7, v1
	v_mul_f32_e32 v7, v6, v1
	v_fma_f32 v8, -v0, v7, v6
	v_fmac_f32_e32 v7, v8, v1
	v_fma_f32 v0, -v0, v7, v6
	v_div_fmas_f32 v0, v0, v1, v7
	v_div_fixup_f32 v0, v0, v4, v5
	global_store_dword v[2:3], v0, off
.LBB15_6:
	s_endpgm
	.section	.rodata,"a",@progbits
	.p2align	6, 0x0
	.amdhsa_kernel _ZL33flash_attn_stream_k_fixup_uniformILi128ELi1ELi8EEvPfPK15HIP_vector_typeIfLj2EEiiiiiiS1_IjLj3EES5_S5_
		.amdhsa_group_segment_fixed_size 0
		.amdhsa_private_segment_fixed_size 0
		.amdhsa_kernarg_size 76
		.amdhsa_user_sgpr_count 2
		.amdhsa_user_sgpr_dispatch_ptr 0
		.amdhsa_user_sgpr_queue_ptr 0
		.amdhsa_user_sgpr_kernarg_segment_ptr 1
		.amdhsa_user_sgpr_dispatch_id 0
		.amdhsa_user_sgpr_kernarg_preload_length 0
		.amdhsa_user_sgpr_kernarg_preload_offset 0
		.amdhsa_user_sgpr_private_segment_size 0
		.amdhsa_uses_dynamic_stack 0
		.amdhsa_enable_private_segment 0
		.amdhsa_system_sgpr_workgroup_id_x 1
		.amdhsa_system_sgpr_workgroup_id_y 1
		.amdhsa_system_sgpr_workgroup_id_z 1
		.amdhsa_system_sgpr_workgroup_info 0
		.amdhsa_system_vgpr_workitem_id 0
		.amdhsa_next_free_vgpr 17
		.amdhsa_next_free_sgpr 20
		.amdhsa_accum_offset 20
		.amdhsa_reserve_vcc 1
		.amdhsa_float_round_mode_32 0
		.amdhsa_float_round_mode_16_64 0
		.amdhsa_float_denorm_mode_32 3
		.amdhsa_float_denorm_mode_16_64 3
		.amdhsa_dx10_clamp 1
		.amdhsa_ieee_mode 1
		.amdhsa_fp16_overflow 0
		.amdhsa_tg_split 0
		.amdhsa_exception_fp_ieee_invalid_op 0
		.amdhsa_exception_fp_denorm_src 0
		.amdhsa_exception_fp_ieee_div_zero 0
		.amdhsa_exception_fp_ieee_overflow 0
		.amdhsa_exception_fp_ieee_underflow 0
		.amdhsa_exception_fp_ieee_inexact 0
		.amdhsa_exception_int_div_zero 0
	.end_amdhsa_kernel
	.section	.text._ZL33flash_attn_stream_k_fixup_uniformILi128ELi1ELi8EEvPfPK15HIP_vector_typeIfLj2EEiiiiiiS1_IjLj3EES5_S5_,"axG",@progbits,_ZL33flash_attn_stream_k_fixup_uniformILi128ELi1ELi8EEvPfPK15HIP_vector_typeIfLj2EEiiiiiiS1_IjLj3EES5_S5_,comdat
.Lfunc_end15:
	.size	_ZL33flash_attn_stream_k_fixup_uniformILi128ELi1ELi8EEvPfPK15HIP_vector_typeIfLj2EEiiiiiiS1_IjLj3EES5_S5_, .Lfunc_end15-_ZL33flash_attn_stream_k_fixup_uniformILi128ELi1ELi8EEvPfPK15HIP_vector_typeIfLj2EEiiiiiiS1_IjLj3EES5_S5_
                                        ; -- End function
	.set _ZL33flash_attn_stream_k_fixup_uniformILi128ELi1ELi8EEvPfPK15HIP_vector_typeIfLj2EEiiiiiiS1_IjLj3EES5_S5_.num_vgpr, 17
	.set _ZL33flash_attn_stream_k_fixup_uniformILi128ELi1ELi8EEvPfPK15HIP_vector_typeIfLj2EEiiiiiiS1_IjLj3EES5_S5_.num_agpr, 0
	.set _ZL33flash_attn_stream_k_fixup_uniformILi128ELi1ELi8EEvPfPK15HIP_vector_typeIfLj2EEiiiiiiS1_IjLj3EES5_S5_.numbered_sgpr, 20
	.set _ZL33flash_attn_stream_k_fixup_uniformILi128ELi1ELi8EEvPfPK15HIP_vector_typeIfLj2EEiiiiiiS1_IjLj3EES5_S5_.num_named_barrier, 0
	.set _ZL33flash_attn_stream_k_fixup_uniformILi128ELi1ELi8EEvPfPK15HIP_vector_typeIfLj2EEiiiiiiS1_IjLj3EES5_S5_.private_seg_size, 0
	.set _ZL33flash_attn_stream_k_fixup_uniformILi128ELi1ELi8EEvPfPK15HIP_vector_typeIfLj2EEiiiiiiS1_IjLj3EES5_S5_.uses_vcc, 1
	.set _ZL33flash_attn_stream_k_fixup_uniformILi128ELi1ELi8EEvPfPK15HIP_vector_typeIfLj2EEiiiiiiS1_IjLj3EES5_S5_.uses_flat_scratch, 0
	.set _ZL33flash_attn_stream_k_fixup_uniformILi128ELi1ELi8EEvPfPK15HIP_vector_typeIfLj2EEiiiiiiS1_IjLj3EES5_S5_.has_dyn_sized_stack, 0
	.set _ZL33flash_attn_stream_k_fixup_uniformILi128ELi1ELi8EEvPfPK15HIP_vector_typeIfLj2EEiiiiiiS1_IjLj3EES5_S5_.has_recursion, 0
	.set _ZL33flash_attn_stream_k_fixup_uniformILi128ELi1ELi8EEvPfPK15HIP_vector_typeIfLj2EEiiiiiiS1_IjLj3EES5_S5_.has_indirect_call, 0
	.section	.AMDGPU.csdata,"",@progbits
; Kernel info:
; codeLenInByte = 808
; TotalNumSgprs: 26
; NumVgprs: 17
; NumAgprs: 0
; TotalNumVgprs: 17
; ScratchSize: 0
; MemoryBound: 0
; FloatMode: 240
; IeeeMode: 1
; LDSByteSize: 0 bytes/workgroup (compile time only)
; SGPRBlocks: 3
; VGPRBlocks: 2
; NumSGPRsForWavesPerEU: 26
; NumVGPRsForWavesPerEU: 17
; AccumOffset: 20
; Occupancy: 8
; WaveLimiterHint : 0
; COMPUTE_PGM_RSRC2:SCRATCH_EN: 0
; COMPUTE_PGM_RSRC2:USER_SGPR: 2
; COMPUTE_PGM_RSRC2:TRAP_HANDLER: 0
; COMPUTE_PGM_RSRC2:TGID_X_EN: 1
; COMPUTE_PGM_RSRC2:TGID_Y_EN: 1
; COMPUTE_PGM_RSRC2:TGID_Z_EN: 1
; COMPUTE_PGM_RSRC2:TIDIG_COMP_CNT: 0
; COMPUTE_PGM_RSRC3_GFX90A:ACCUM_OFFSET: 4
; COMPUTE_PGM_RSRC3_GFX90A:TG_SPLIT: 0
	.section	.text._ZL33flash_attn_stream_k_fixup_generalILi128ELi1ELi8EEvPfPK15HIP_vector_typeIfLj2EEiiiiS1_IjLj3EES5_S5_S5_,"axG",@progbits,_ZL33flash_attn_stream_k_fixup_generalILi128ELi1ELi8EEvPfPK15HIP_vector_typeIfLj2EEiiiiS1_IjLj3EES5_S5_S5_,comdat
	.globl	_ZL33flash_attn_stream_k_fixup_generalILi128ELi1ELi8EEvPfPK15HIP_vector_typeIfLj2EEiiiiS1_IjLj3EES5_S5_S5_ ; -- Begin function _ZL33flash_attn_stream_k_fixup_generalILi128ELi1ELi8EEvPfPK15HIP_vector_typeIfLj2EEiiiiS1_IjLj3EES5_S5_S5_
	.p2align	8
	.type	_ZL33flash_attn_stream_k_fixup_generalILi128ELi1ELi8EEvPfPK15HIP_vector_typeIfLj2EEiiiiS1_IjLj3EES5_S5_S5_,@function
_ZL33flash_attn_stream_k_fixup_generalILi128ELi1ELi8EEvPfPK15HIP_vector_typeIfLj2EEiiiiS1_IjLj3EES5_S5_S5_: ; @_ZL33flash_attn_stream_k_fixup_generalILi128ELi1ELi8EEvPfPK15HIP_vector_typeIfLj2EEiiiiS1_IjLj3EES5_S5_S5_
; %bb.0:
	s_load_dwordx4 s[8:11], s[0:1], 0x10
	s_load_dword s5, s[0:1], 0x50
	s_mov_b32 s12, 0
	s_waitcnt lgkmcnt(0)
	s_mul_hi_i32 s13, s11, s2
	s_cmp_lg_u64 s[12:13], 0
	s_mul_i32 s18, s11, s2
	s_cbranch_scc0 .LBB16_20
; %bb.1:
	s_add_u32 s6, s5, 0
	s_addc_u32 s7, 0, 0
	s_xor_b64 s[6:7], s[6:7], 0
	v_cvt_f32_u32_e32 v1, s6
	v_cvt_f32_u32_e32 v2, s7
	s_sub_u32 s12, 0, s6
	s_subb_u32 s19, 0, s7
	v_fmamk_f32 v1, v2, 0x4f800000, v1
	v_rcp_f32_e32 v1, v1
	s_nop 0
	v_mul_f32_e32 v1, 0x5f7ffffc, v1
	v_mul_f32_e32 v2, 0x2f800000, v1
	v_trunc_f32_e32 v2, v2
	v_fmamk_f32 v1, v2, 0xcf800000, v1
	v_cvt_u32_f32_e32 v2, v2
	v_cvt_u32_f32_e32 v1, v1
	v_readfirstlane_b32 s20, v2
	v_readfirstlane_b32 s14, v1
	s_mul_i32 s15, s12, s20
	s_mul_hi_u32 s22, s12, s14
	s_mul_i32 s21, s19, s14
	s_add_i32 s15, s22, s15
	s_add_i32 s15, s15, s21
	s_mul_i32 s23, s12, s14
	s_mul_i32 s22, s14, s15
	s_mul_hi_u32 s24, s14, s23
	s_mul_hi_u32 s21, s14, s15
	s_add_u32 s22, s24, s22
	s_addc_u32 s21, 0, s21
	s_mul_hi_u32 s25, s20, s23
	s_mul_i32 s23, s20, s23
	s_add_u32 s22, s22, s23
	s_mul_hi_u32 s24, s20, s15
	s_addc_u32 s21, s21, s25
	s_addc_u32 s22, s24, 0
	s_mul_i32 s15, s20, s15
	s_add_u32 s15, s21, s15
	s_addc_u32 s21, 0, s22
	s_add_u32 s22, s14, s15
	s_cselect_b64 s[14:15], -1, 0
	s_cmp_lg_u64 s[14:15], 0
	s_addc_u32 s20, s20, s21
	s_mul_i32 s14, s12, s20
	s_mul_hi_u32 s15, s12, s22
	s_add_i32 s14, s15, s14
	s_mul_i32 s19, s19, s22
	s_add_i32 s14, s14, s19
	s_mul_i32 s12, s12, s22
	s_mul_hi_u32 s19, s20, s12
	s_mul_i32 s21, s20, s12
	s_mul_i32 s24, s22, s14
	s_mul_hi_u32 s12, s22, s12
	s_mul_hi_u32 s23, s22, s14
	s_add_u32 s12, s12, s24
	s_addc_u32 s23, 0, s23
	s_add_u32 s12, s12, s21
	s_mul_hi_u32 s15, s20, s14
	s_addc_u32 s12, s23, s19
	s_addc_u32 s15, s15, 0
	s_mul_i32 s14, s20, s14
	s_add_u32 s12, s12, s14
	s_addc_u32 s19, 0, s15
	s_add_u32 s21, s22, s12
	s_cselect_b64 s[14:15], -1, 0
	s_cmp_lg_u64 s[14:15], 0
	s_addc_u32 s19, s20, s19
	s_ashr_i32 s14, s13, 31
	s_add_u32 s12, s18, s14
	s_mov_b32 s15, s14
	s_addc_u32 s13, s13, s14
	s_xor_b64 s[12:13], s[12:13], s[14:15]
	s_mul_i32 s22, s12, s19
	s_mul_hi_u32 s23, s12, s21
	s_mul_hi_u32 s20, s12, s19
	s_add_u32 s22, s23, s22
	s_addc_u32 s20, 0, s20
	s_mul_hi_u32 s24, s13, s21
	s_mul_i32 s21, s13, s21
	s_add_u32 s21, s22, s21
	s_mul_hi_u32 s23, s13, s19
	s_addc_u32 s20, s20, s24
	s_addc_u32 s21, s23, 0
	s_mul_i32 s19, s13, s19
	s_add_u32 s19, s20, s19
	s_addc_u32 s24, 0, s21
	s_mul_i32 s20, s6, s24
	s_mul_hi_u32 s21, s6, s19
	s_add_i32 s20, s21, s20
	s_mul_i32 s21, s7, s19
	s_add_i32 s25, s20, s21
	s_sub_i32 s22, s13, s25
	s_mul_i32 s20, s6, s19
	s_sub_u32 s12, s12, s20
	s_cselect_b64 s[20:21], -1, 0
	s_cmp_lg_u64 s[20:21], 0
	s_subb_u32 s26, s22, s7
	s_sub_u32 s27, s12, s6
	s_cselect_b64 s[22:23], -1, 0
	s_cmp_lg_u64 s[22:23], 0
	s_subb_u32 s22, s26, 0
	s_cmp_ge_u32 s22, s7
	s_cselect_b32 s23, -1, 0
	s_cmp_ge_u32 s27, s6
	s_cselect_b32 s26, -1, 0
	s_cmp_eq_u32 s22, s7
	s_cselect_b32 s22, s26, s23
	s_add_u32 s23, s19, 1
	s_addc_u32 s26, s24, 0
	s_add_u32 s27, s19, 2
	s_addc_u32 s28, s24, 0
	s_cmp_lg_u32 s22, 0
	s_cselect_b32 s22, s27, s23
	s_cselect_b32 s23, s28, s26
	s_cmp_lg_u64 s[20:21], 0
	s_subb_u32 s13, s13, s25
	s_cmp_ge_u32 s13, s7
	s_cselect_b32 s20, -1, 0
	s_cmp_ge_u32 s12, s6
	s_cselect_b32 s6, -1, 0
	s_cmp_eq_u32 s13, s7
	s_cselect_b32 s6, s6, s20
	s_cmp_lg_u32 s6, 0
	s_cselect_b32 s7, s23, s24
	s_cselect_b32 s6, s22, s19
	s_xor_b64 s[12:13], s[14:15], 0
	s_xor_b64 s[6:7], s[6:7], s[12:13]
	s_sub_u32 s6, s6, s12
	s_load_dwordx4 s[12:15], s[0:1], 0x44
	s_cbranch_execnz .LBB16_3
.LBB16_2:
	v_cvt_f32_u32_e32 v1, s5
	s_sub_i32 s6, 0, s5
	v_rcp_iflag_f32_e32 v1, v1
	s_nop 0
	v_mul_f32_e32 v1, 0x4f7ffffe, v1
	v_cvt_u32_f32_e32 v1, v1
	s_nop 0
	v_readfirstlane_b32 s7, v1
	s_mul_i32 s6, s6, s7
	s_mul_hi_u32 s6, s7, s6
	s_add_i32 s7, s7, s6
	s_mul_hi_u32 s6, s18, s7
	s_waitcnt lgkmcnt(0)
	s_mul_i32 s15, s6, s5
	s_sub_i32 s15, s18, s15
	s_add_i32 s7, s6, 1
	s_sub_i32 s16, s15, s5
	s_cmp_ge_u32 s15, s5
	s_cselect_b32 s6, s7, s6
	s_cselect_b32 s15, s16, s15
	s_add_i32 s7, s6, 1
	s_cmp_ge_u32 s15, s5
	s_cselect_b32 s6, s7, s6
.LBB16_3:
	s_add_i32 s7, s2, 1
	s_mul_hi_i32 s21, s11, s7
	s_mov_b32 s20, 0
	s_cmp_lg_u64 s[20:21], 0
	s_mul_i32 s7, s11, s7
	s_cbranch_scc0 .LBB16_21
; %bb.4:
	s_add_u32 s16, s5, 0
	s_addc_u32 s17, 0, 0
	s_xor_b64 s[18:19], s[16:17], 0
	v_cvt_f32_u32_e32 v1, s18
	v_cvt_f32_u32_e32 v2, s19
	s_waitcnt lgkmcnt(0)
	s_sub_u32 s15, 0, s18
	s_subb_u32 s20, 0, s19
	v_fmamk_f32 v1, v2, 0x4f800000, v1
	v_rcp_f32_e32 v1, v1
	s_nop 0
	v_mul_f32_e32 v1, 0x5f7ffffc, v1
	v_mul_f32_e32 v2, 0x2f800000, v1
	v_trunc_f32_e32 v2, v2
	v_fmamk_f32 v1, v2, 0xcf800000, v1
	v_cvt_u32_f32_e32 v2, v2
	v_cvt_u32_f32_e32 v1, v1
	v_readfirstlane_b32 s24, v2
	v_readfirstlane_b32 s22, v1
	s_mul_i32 s23, s15, s24
	s_mul_hi_u32 s26, s15, s22
	s_mul_i32 s25, s20, s22
	s_add_i32 s23, s26, s23
	s_add_i32 s23, s23, s25
	s_mul_i32 s27, s15, s22
	s_mul_i32 s26, s22, s23
	s_mul_hi_u32 s28, s22, s27
	s_mul_hi_u32 s25, s22, s23
	s_add_u32 s26, s28, s26
	s_addc_u32 s25, 0, s25
	s_mul_hi_u32 s29, s24, s27
	s_mul_i32 s27, s24, s27
	s_add_u32 s26, s26, s27
	s_mul_hi_u32 s28, s24, s23
	s_addc_u32 s25, s25, s29
	s_addc_u32 s26, s28, 0
	s_mul_i32 s23, s24, s23
	s_add_u32 s23, s25, s23
	s_addc_u32 s25, 0, s26
	s_add_u32 s26, s22, s23
	s_cselect_b64 s[22:23], -1, 0
	s_cmp_lg_u64 s[22:23], 0
	s_addc_u32 s24, s24, s25
	s_mul_i32 s22, s15, s24
	s_mul_hi_u32 s23, s15, s26
	s_add_i32 s22, s23, s22
	s_mul_i32 s20, s20, s26
	s_add_i32 s22, s22, s20
	s_mul_i32 s15, s15, s26
	s_mul_hi_u32 s23, s24, s15
	s_mul_i32 s25, s24, s15
	s_mul_i32 s28, s26, s22
	s_mul_hi_u32 s15, s26, s15
	s_mul_hi_u32 s27, s26, s22
	s_add_u32 s15, s15, s28
	s_addc_u32 s27, 0, s27
	s_add_u32 s15, s15, s25
	s_mul_hi_u32 s20, s24, s22
	s_addc_u32 s15, s27, s23
	s_addc_u32 s20, s20, 0
	s_mul_i32 s22, s24, s22
	s_add_u32 s15, s15, s22
	s_addc_u32 s20, 0, s20
	s_add_u32 s15, s26, s15
	s_cselect_b64 s[22:23], -1, 0
	s_cmp_lg_u64 s[22:23], 0
	s_addc_u32 s24, s24, s20
	s_ashr_i32 s22, s21, 31
	s_add_u32 s20, s7, s22
	s_mov_b32 s23, s22
	s_addc_u32 s21, s21, s22
	s_xor_b64 s[20:21], s[20:21], s[22:23]
	s_mul_i32 s26, s20, s24
	s_mul_hi_u32 s27, s20, s15
	s_mul_hi_u32 s25, s20, s24
	s_add_u32 s26, s27, s26
	s_addc_u32 s25, 0, s25
	s_mul_hi_u32 s28, s21, s15
	s_mul_i32 s15, s21, s15
	s_add_u32 s15, s26, s15
	s_mul_hi_u32 s27, s21, s24
	s_addc_u32 s15, s25, s28
	s_addc_u32 s25, s27, 0
	s_mul_i32 s24, s21, s24
	s_add_u32 s15, s15, s24
	s_addc_u32 s28, 0, s25
	s_mul_i32 s24, s18, s28
	s_mul_hi_u32 s25, s18, s15
	s_add_i32 s24, s25, s24
	s_mul_i32 s25, s19, s15
	s_add_i32 s29, s24, s25
	s_sub_i32 s26, s21, s29
	s_mul_i32 s24, s18, s15
	s_sub_u32 s20, s20, s24
	s_cselect_b64 s[24:25], -1, 0
	s_cmp_lg_u64 s[24:25], 0
	s_subb_u32 s30, s26, s19
	s_sub_u32 s31, s20, s18
	s_cselect_b64 s[26:27], -1, 0
	s_cmp_lg_u64 s[26:27], 0
	s_subb_u32 s26, s30, 0
	s_cmp_ge_u32 s26, s19
	s_cselect_b32 s27, -1, 0
	s_cmp_ge_u32 s31, s18
	s_cselect_b32 s30, -1, 0
	s_cmp_eq_u32 s26, s19
	s_cselect_b32 s26, s30, s27
	s_add_u32 s27, s15, 1
	s_addc_u32 s30, s28, 0
	s_add_u32 s31, s15, 2
	s_addc_u32 s33, s28, 0
	s_cmp_lg_u32 s26, 0
	s_cselect_b32 s26, s31, s27
	s_cselect_b32 s27, s33, s30
	s_cmp_lg_u64 s[24:25], 0
	s_subb_u32 s21, s21, s29
	s_cmp_ge_u32 s21, s19
	s_cselect_b32 s24, -1, 0
	s_cmp_ge_u32 s20, s18
	s_cselect_b32 s18, -1, 0
	s_cmp_eq_u32 s21, s19
	s_cselect_b32 s18, s18, s24
	s_cmp_lg_u32 s18, 0
	s_cselect_b32 s19, s27, s28
	s_cselect_b32 s18, s26, s15
	s_xor_b64 s[20:21], s[22:23], 0
	s_xor_b64 s[18:19], s[18:19], s[20:21]
	s_sub_u32 s18, s18, s20
	s_cbranch_execnz .LBB16_6
.LBB16_5:
	v_cvt_f32_u32_e32 v1, s5
	s_waitcnt lgkmcnt(0)
	s_sub_i32 s15, 0, s5
	v_rcp_iflag_f32_e32 v1, v1
	s_nop 0
	v_mul_f32_e32 v1, 0x4f7ffffe, v1
	v_cvt_u32_f32_e32 v1, v1
	s_nop 0
	v_readfirstlane_b32 s16, v1
	s_mul_i32 s15, s15, s16
	s_mul_hi_u32 s15, s16, s15
	s_add_i32 s16, s16, s15
	s_mul_hi_u32 s15, s7, s16
	s_mul_i32 s17, s15, s5
	s_sub_i32 s7, s7, s17
	s_add_i32 s16, s15, 1
	s_sub_i32 s17, s7, s5
	s_cmp_ge_u32 s7, s5
	s_cselect_b32 s15, s16, s15
	s_cselect_b32 s7, s17, s7
	s_add_i32 s16, s15, 1
	s_cmp_ge_u32 s7, s5
	s_cselect_b32 s18, s16, s15
.LBB16_6:
	s_cmp_eq_u32 s6, s18
	s_waitcnt lgkmcnt(0)
	s_mul_hi_u32 s7, s6, s12
	s_cselect_b64 s[16:17], -1, 0
	s_add_i32 s7, s7, s6
	s_lshr_b32 s7, s7, s13
	s_mul_i32 s15, s7, s14
	s_cmp_eq_u32 s15, s6
	s_mul_hi_u32 s15, s18, s12
	s_cselect_b64 s[20:21], -1, 0
	s_add_i32 s15, s15, s18
	s_lshr_b32 s15, s15, s13
	s_cmp_eq_u32 s7, s15
	s_mul_i32 s15, s15, s14
	s_cselect_b64 s[22:23], -1, 0
	s_cmp_lg_u32 s15, s18
	s_cselect_b64 s[18:19], -1, 0
	s_and_b64 s[18:19], s[22:23], s[18:19]
	s_or_b64 s[16:17], s[16:17], s[20:21]
	s_or_b64 s[16:17], s[16:17], s[18:19]
	s_and_b64 vcc, exec, s[16:17]
	s_cbranch_vccnz .LBB16_23
; %bb.7:
	s_load_dwordx8 s[16:23], s[0:1], 0x20
	s_load_dword s24, s[0:1], 0x40
	s_waitcnt lgkmcnt(0)
	s_mul_hi_u32 s15, s6, s16
	s_add_i32 s15, s15, s6
	s_lshr_b32 s15, s15, s17
	s_mul_i32 s16, s15, s18
	s_sub_i32 s16, s6, s16
	s_mul_hi_u32 s17, s16, s19
	s_add_i32 s17, s16, s17
	s_lshr_b32 s20, s17, s20
	s_mul_i32 s17, s20, s21
	s_sub_i32 s16, s16, s17
	;; [unrolled: 5-line block ×3, first 2 shown]
	s_lshl_b32 s22, s17, 3
	s_mul_hi_u32 s17, s16, s12
	s_add_i32 s16, s16, s17
	s_lshr_b32 s21, s16, s13
	s_add_i32 s21, s21, s3
	s_cmp_lt_i32 s21, s8
	s_cselect_b64 s[16:17], -1, 0
	s_add_i32 s22, s22, s4
	s_cmp_lt_i32 s22, s10
	s_cselect_b64 s[18:19], -1, 0
	s_and_b64 s[16:17], s[16:17], s[18:19]
	s_andn2_b64 vcc, exec, s[16:17]
	s_cbranch_vccnz .LBB16_23
; %bb.8:
	s_load_dwordx4 s[16:19], s[0:1], 0x0
	s_mov_b32 s0, 0
	s_lshl_b32 s24, s5, 5
	s_mov_b32 s25, s0
	s_mul_i32 s15, s15, s8
	s_waitcnt lgkmcnt(0)
	v_mov_b32_e32 v2, s16
	v_mov_b32_e32 v3, s17
	s_lshl_b64 s[16:17], s[24:25], 2
	s_add_u32 s16, s18, s16
	s_addc_u32 s17, s19, s17
	s_mul_i32 s20, s20, s10
	s_add_i32 s1, s21, s15
	s_mul_i32 s1, s1, s9
	s_add_i32 s8, s22, s20
	s_add_i32 s8, s8, s1
	v_lshl_or_b32 v4, s8, 7, v0
	v_ashrrev_i32_e32 v5, 31, v4
	v_lshl_add_u64 v[2:3], v[4:5], 2, v[2:3]
	global_load_dword v1, v[2:3], off
	s_add_i32 s1, s3, s2
	v_cvt_f32_u32_e32 v4, s5
	s_lshl_b32 s1, s1, 3
	s_add_i32 s8, s1, s4
	s_ashr_i32 s9, s8, 31
	s_lshl_b64 s[8:9], s[8:9], 3
	v_rcp_iflag_f32_e32 v4, v4
	s_add_u32 s8, s18, s8
	s_addc_u32 s9, s19, s9
	s_load_dwordx2 s[8:9], s[8:9], 0x0
	v_mul_f32_e32 v4, 0x4f7ffffe, v4
	v_cvt_u32_f32_e32 v7, v4
	s_add_i32 s25, s2, -1
	v_lshl_or_b32 v6, s4, 7, v0
	s_waitcnt lgkmcnt(0)
	v_mov_b32_e32 v0, s9
	v_mov_b32_e32 v9, s8
	s_mov_b32 s2, 0x3fb8aa3b
	s_mov_b32 s10, 0xc2ce8ed0
	;; [unrolled: 1-line block ×4, first 2 shown]
	v_mov_b32_e32 v8, 0x7f800000
	s_mul_hi_i32 s1, s25, s11
	s_cmp_lg_u64 s[0:1], 0
	s_mul_i32 s22, s25, s11
	s_cbranch_scc0 .LBB16_19
.LBB16_9:
	s_add_u32 s8, s5, 0
	s_addc_u32 s9, 0, 0
	s_xor_b64 s[8:9], s[8:9], 0
	v_cvt_f32_u32_e32 v4, s8
	v_cvt_f32_u32_e32 v5, s9
	s_sub_u32 s23, 0, s8
	s_subb_u32 s26, 0, s9
	v_fmac_f32_e32 v4, 0x4f800000, v5
	v_rcp_f32_e32 v4, v4
	s_nop 0
	v_mul_f32_e32 v4, 0x5f7ffffc, v4
	v_mul_f32_e32 v5, 0x2f800000, v4
	v_trunc_f32_e32 v5, v5
	v_fmac_f32_e32 v4, 0xcf800000, v5
	v_cvt_u32_f32_e32 v5, v5
	v_cvt_u32_f32_e32 v4, v4
	v_readfirstlane_b32 s27, v5
	v_readfirstlane_b32 s20, v4
	s_mul_i32 s21, s23, s27
	s_mul_hi_u32 s29, s23, s20
	s_mul_i32 s28, s26, s20
	s_add_i32 s21, s29, s21
	s_mul_i32 s30, s23, s20
	s_add_i32 s21, s21, s28
	s_mul_i32 s29, s20, s21
	s_mul_hi_u32 s31, s20, s30
	s_mul_hi_u32 s28, s20, s21
	s_add_u32 s29, s31, s29
	s_addc_u32 s28, 0, s28
	s_mul_hi_u32 s33, s27, s30
	s_mul_i32 s30, s27, s30
	s_add_u32 s29, s29, s30
	s_mul_hi_u32 s31, s27, s21
	s_addc_u32 s28, s28, s33
	s_addc_u32 s29, s31, 0
	s_mul_i32 s21, s27, s21
	s_add_u32 s21, s28, s21
	s_addc_u32 s28, 0, s29
	s_add_u32 s29, s20, s21
	s_cselect_b64 s[20:21], -1, 0
	s_cmp_lg_u64 s[20:21], 0
	s_addc_u32 s27, s27, s28
	s_mul_i32 s20, s23, s27
	s_mul_hi_u32 s21, s23, s29
	s_add_i32 s20, s21, s20
	s_mul_i32 s26, s26, s29
	s_add_i32 s20, s20, s26
	s_mul_i32 s23, s23, s29
	s_mul_hi_u32 s26, s27, s23
	s_mul_i32 s28, s27, s23
	s_mul_i32 s31, s29, s20
	s_mul_hi_u32 s23, s29, s23
	s_mul_hi_u32 s30, s29, s20
	s_add_u32 s23, s23, s31
	s_addc_u32 s30, 0, s30
	s_add_u32 s23, s23, s28
	s_mul_hi_u32 s21, s27, s20
	s_addc_u32 s23, s30, s26
	s_addc_u32 s21, s21, 0
	s_mul_i32 s20, s27, s20
	s_add_u32 s20, s23, s20
	s_addc_u32 s23, 0, s21
	s_add_u32 s28, s29, s20
	s_cselect_b64 s[20:21], -1, 0
	s_cmp_lg_u64 s[20:21], 0
	s_addc_u32 s23, s27, s23
	s_ashr_i32 s20, s1, 31
	s_add_u32 s26, s22, s20
	s_mov_b32 s21, s20
	s_addc_u32 s27, s1, s20
	s_xor_b64 s[26:27], s[26:27], s[20:21]
	s_mul_i32 s29, s26, s23
	s_mul_hi_u32 s30, s26, s28
	s_mul_hi_u32 s1, s26, s23
	s_add_u32 s29, s30, s29
	s_addc_u32 s1, 0, s1
	s_mul_hi_u32 s31, s27, s28
	s_mul_i32 s28, s27, s28
	s_add_u32 s28, s29, s28
	s_mul_hi_u32 s30, s27, s23
	s_addc_u32 s1, s1, s31
	s_addc_u32 s28, s30, 0
	s_mul_i32 s23, s27, s23
	s_add_u32 s1, s1, s23
	s_addc_u32 s23, 0, s28
	s_mul_i32 s28, s8, s23
	s_mul_hi_u32 s29, s8, s1
	s_add_i32 s28, s29, s28
	s_mul_i32 s29, s9, s1
	s_add_i32 s33, s28, s29
	s_sub_i32 s30, s27, s33
	s_mul_i32 s28, s8, s1
	s_sub_u32 s26, s26, s28
	s_cselect_b64 s[28:29], -1, 0
	s_cmp_lg_u64 s[28:29], 0
	s_subb_u32 s34, s30, s9
	s_sub_u32 s35, s26, s8
	s_cselect_b64 s[30:31], -1, 0
	s_cmp_lg_u64 s[30:31], 0
	s_subb_u32 s30, s34, 0
	s_cmp_ge_u32 s30, s9
	s_cselect_b32 s31, -1, 0
	s_cmp_ge_u32 s35, s8
	s_cselect_b32 s34, -1, 0
	s_cmp_eq_u32 s30, s9
	s_cselect_b32 s30, s34, s31
	s_add_u32 s31, s1, 1
	s_addc_u32 s34, s23, 0
	s_add_u32 s35, s1, 2
	s_addc_u32 s36, s23, 0
	s_cmp_lg_u32 s30, 0
	s_cselect_b32 s30, s35, s31
	s_cselect_b32 s31, s36, s34
	s_cmp_lg_u64 s[28:29], 0
	s_subb_u32 s27, s27, s33
	s_cmp_ge_u32 s27, s9
	s_cselect_b32 s28, -1, 0
	s_cmp_ge_u32 s26, s8
	s_cselect_b32 s8, -1, 0
	s_cmp_eq_u32 s27, s9
	s_cselect_b32 s8, s8, s28
	s_cmp_lg_u32 s8, 0
	s_cselect_b32 s9, s31, s23
	s_cselect_b32 s8, s30, s1
	s_xor_b64 s[20:21], s[20:21], 0
	s_xor_b64 s[8:9], s[8:9], s[20:21]
	s_sub_u32 s20, s8, s20
	s_cbranch_execnz .LBB16_11
.LBB16_10:
	s_sub_i32 s1, 0, s5
	v_readfirstlane_b32 s8, v7
	s_mul_i32 s1, s1, s8
	s_mul_hi_u32 s1, s8, s1
	s_add_i32 s8, s8, s1
	s_mul_hi_u32 s1, s22, s8
	s_mul_i32 s9, s1, s5
	s_sub_i32 s9, s22, s9
	s_add_i32 s8, s1, 1
	s_sub_i32 s20, s9, s5
	s_cmp_ge_u32 s9, s5
	s_cselect_b32 s1, s8, s1
	s_cselect_b32 s9, s20, s9
	s_add_i32 s8, s1, 1
	s_cmp_ge_u32 s9, s5
	s_cselect_b32 s20, s8, s1
.LBB16_11:
	s_cmp_lg_u32 s6, s20
	s_cbranch_scc0 .LBB16_15
; %bb.12:
	s_add_i32 s21, s25, s3
	s_add_i32 s1, s21, s5
	s_lshl_b32 s1, s1, 3
	s_add_i32 s8, s1, s4
	s_mov_b32 s9, s0
	s_lshl_b64 s[8:9], s[8:9], 3
	s_add_u32 s22, s18, s8
	s_mul_hi_u32 s1, s20, s12
	s_addc_u32 s23, s19, s9
	s_add_i32 s1, s1, s20
	s_lshr_b32 s1, s1, s13
	s_mul_i32 s8, s1, s14
	s_cmp_eq_u32 s8, s20
	s_cselect_b64 s[8:9], -1, 0
	s_cmp_lt_u32 s1, s7
	s_cselect_b64 s[26:27], -1, 0
	s_or_b64 s[26:27], s[26:27], s[8:9]
	s_mov_b64 s[8:9], -1
	s_and_b64 vcc, exec, s[26:27]
	s_mov_b32 s1, s25
	s_mov_b32 s26, s6
	s_cbranch_vccnz .LBB16_14
; %bb.13:
	s_add_i32 s1, s25, -1
	s_mov_b64 s[8:9], 0
	s_mov_b32 s26, s20
.LBB16_14:
	v_lshl_add_u32 v4, s21, 10, v6
	v_ashrrev_i32_e32 v5, 31, v4
	v_lshl_add_u64 v[4:5], v[4:5], 2, s[16:17]
	global_load_dword v5, v[4:5], off
	s_load_dwordx2 s[20:21], s[22:23], 0x0
	v_max_f32_e32 v4, v9, v9
	s_waitcnt lgkmcnt(0)
	v_max_f32_e64 v10, s20, s20
	v_max_f32_e32 v10, v4, v10
	v_sub_f32_e32 v11, v9, v10
	v_sub_f32_e32 v13, s20, v10
	v_mul_f32_e32 v4, 0x3fb8aa3b, v11
	v_mul_f32_e32 v12, 0x3fb8aa3b, v13
	v_fma_f32 v14, v11, s2, -v4
	v_rndne_f32_e32 v15, v4
	v_fma_f32 v16, v13, s2, -v12
	v_rndne_f32_e32 v17, v12
	v_fmac_f32_e32 v14, 0x32a5705f, v11
	v_sub_f32_e32 v4, v4, v15
	v_fmac_f32_e32 v16, 0x32a5705f, v13
	v_sub_f32_e32 v12, v12, v17
	v_add_f32_e32 v4, v4, v14
	v_cvt_i32_f32_e32 v15, v15
	v_add_f32_e32 v12, v12, v16
	v_exp_f32_e32 v14, v4
	v_cvt_i32_f32_e32 v17, v17
	v_exp_f32_e32 v12, v12
	v_cmp_ngt_f32_e32 vcc, s10, v11
	v_ldexp_f32 v14, v14, v15
	v_mov_b32_e32 v4, s21
	v_ldexp_f32 v12, v12, v17
	v_cndmask_b32_e32 v14, 0, v14, vcc
	v_cmp_ngt_f32_e32 vcc, s10, v13
	s_nop 1
	v_cndmask_b32_e32 v12, 0, v12, vcc
	v_cmp_nlt_f32_e32 vcc, s15, v11
	s_nop 1
	v_cndmask_b32_e32 v14, v8, v14, vcc
	v_cmp_nlt_f32_e32 vcc, s15, v13
	s_nop 1
	v_cndmask_b32_e32 v15, v8, v12, vcc
	v_cmp_le_f32_e32 vcc, s24, v11
	s_nop 1
	v_cndmask_b32_e32 v12, 0, v14, vcc
	v_cmp_le_f32_e32 vcc, s24, v13
	s_nop 1
	v_cndmask_b32_e32 v14, 0, v15, vcc
	s_waitcnt vmcnt(0)
	v_pk_mul_f32 v[4:5], v[4:5], v[14:15] op_sel_hi:[1,0]
	s_nop 0
	v_pk_fma_f32 v[4:5], v[0:1], v[12:13], v[4:5] op_sel_hi:[1,0,1]
	s_cbranch_execz .LBB16_16
	s_branch .LBB16_17
.LBB16_15:
                                        ; implicit-def: $vgpr4_vgpr5
                                        ; implicit-def: $sgpr8_sgpr9
                                        ; implicit-def: $vgpr10
                                        ; implicit-def: $sgpr1
                                        ; implicit-def: $sgpr26
.LBB16_16:
	s_add_i32 s1, s25, -1
	s_mov_b64 s[8:9], 0
	s_mov_b32 s26, s6
	v_mov_b32_e32 v10, v9
	s_waitcnt vmcnt(0)
	v_mov_b64_e32 v[4:5], v[0:1]
.LBB16_17:
	s_andn2_b64 vcc, exec, s[8:9]
	s_cbranch_vccz .LBB16_22
; %bb.18:
	s_mov_b32 s6, s26
	s_mov_b32 s25, s1
	v_mov_b32_e32 v9, v10
	s_waitcnt vmcnt(0)
	v_mov_b64_e32 v[0:1], v[4:5]
	s_mul_hi_i32 s1, s25, s11
	s_cmp_lg_u64 s[0:1], 0
	s_mul_i32 s22, s25, s11
	s_cbranch_scc1 .LBB16_9
.LBB16_19:
                                        ; implicit-def: $sgpr20_sgpr21
	s_branch .LBB16_10
.LBB16_20:
                                        ; implicit-def: $sgpr6_sgpr7
	s_load_dwordx4 s[12:15], s[0:1], 0x44
	s_branch .LBB16_2
.LBB16_21:
                                        ; implicit-def: $sgpr18_sgpr19
	s_branch .LBB16_5
.LBB16_22:
	v_div_scale_f32 v0, s[0:1], v4, v4, v5
	s_waitcnt vmcnt(0)
	v_rcp_f32_e32 v1, v0
	v_div_scale_f32 v6, vcc, v5, v4, v5
	v_fma_f32 v7, -v0, v1, 1.0
	v_fmac_f32_e32 v1, v7, v1
	v_mul_f32_e32 v7, v6, v1
	v_fma_f32 v8, -v0, v7, v6
	v_fmac_f32_e32 v7, v8, v1
	v_fma_f32 v0, -v0, v7, v6
	v_div_fmas_f32 v0, v0, v1, v7
	v_div_fixup_f32 v0, v0, v4, v5
	global_store_dword v[2:3], v0, off
.LBB16_23:
	s_endpgm
	.section	.rodata,"a",@progbits
	.p2align	6, 0x0
	.amdhsa_kernel _ZL33flash_attn_stream_k_fixup_generalILi128ELi1ELi8EEvPfPK15HIP_vector_typeIfLj2EEiiiiS1_IjLj3EES5_S5_S5_
		.amdhsa_group_segment_fixed_size 0
		.amdhsa_private_segment_fixed_size 0
		.amdhsa_kernarg_size 336
		.amdhsa_user_sgpr_count 2
		.amdhsa_user_sgpr_dispatch_ptr 0
		.amdhsa_user_sgpr_queue_ptr 0
		.amdhsa_user_sgpr_kernarg_segment_ptr 1
		.amdhsa_user_sgpr_dispatch_id 0
		.amdhsa_user_sgpr_kernarg_preload_length 0
		.amdhsa_user_sgpr_kernarg_preload_offset 0
		.amdhsa_user_sgpr_private_segment_size 0
		.amdhsa_uses_dynamic_stack 0
		.amdhsa_enable_private_segment 0
		.amdhsa_system_sgpr_workgroup_id_x 1
		.amdhsa_system_sgpr_workgroup_id_y 1
		.amdhsa_system_sgpr_workgroup_id_z 1
		.amdhsa_system_sgpr_workgroup_info 0
		.amdhsa_system_vgpr_workitem_id 0
		.amdhsa_next_free_vgpr 18
		.amdhsa_next_free_sgpr 37
		.amdhsa_accum_offset 20
		.amdhsa_reserve_vcc 1
		.amdhsa_float_round_mode_32 0
		.amdhsa_float_round_mode_16_64 0
		.amdhsa_float_denorm_mode_32 3
		.amdhsa_float_denorm_mode_16_64 3
		.amdhsa_dx10_clamp 1
		.amdhsa_ieee_mode 1
		.amdhsa_fp16_overflow 0
		.amdhsa_tg_split 0
		.amdhsa_exception_fp_ieee_invalid_op 0
		.amdhsa_exception_fp_denorm_src 0
		.amdhsa_exception_fp_ieee_div_zero 0
		.amdhsa_exception_fp_ieee_overflow 0
		.amdhsa_exception_fp_ieee_underflow 0
		.amdhsa_exception_fp_ieee_inexact 0
		.amdhsa_exception_int_div_zero 0
	.end_amdhsa_kernel
	.section	.text._ZL33flash_attn_stream_k_fixup_generalILi128ELi1ELi8EEvPfPK15HIP_vector_typeIfLj2EEiiiiS1_IjLj3EES5_S5_S5_,"axG",@progbits,_ZL33flash_attn_stream_k_fixup_generalILi128ELi1ELi8EEvPfPK15HIP_vector_typeIfLj2EEiiiiS1_IjLj3EES5_S5_S5_,comdat
.Lfunc_end16:
	.size	_ZL33flash_attn_stream_k_fixup_generalILi128ELi1ELi8EEvPfPK15HIP_vector_typeIfLj2EEiiiiS1_IjLj3EES5_S5_S5_, .Lfunc_end16-_ZL33flash_attn_stream_k_fixup_generalILi128ELi1ELi8EEvPfPK15HIP_vector_typeIfLj2EEiiiiS1_IjLj3EES5_S5_S5_
                                        ; -- End function
	.set _ZL33flash_attn_stream_k_fixup_generalILi128ELi1ELi8EEvPfPK15HIP_vector_typeIfLj2EEiiiiS1_IjLj3EES5_S5_S5_.num_vgpr, 18
	.set _ZL33flash_attn_stream_k_fixup_generalILi128ELi1ELi8EEvPfPK15HIP_vector_typeIfLj2EEiiiiS1_IjLj3EES5_S5_S5_.num_agpr, 0
	.set _ZL33flash_attn_stream_k_fixup_generalILi128ELi1ELi8EEvPfPK15HIP_vector_typeIfLj2EEiiiiS1_IjLj3EES5_S5_S5_.numbered_sgpr, 37
	.set _ZL33flash_attn_stream_k_fixup_generalILi128ELi1ELi8EEvPfPK15HIP_vector_typeIfLj2EEiiiiS1_IjLj3EES5_S5_S5_.num_named_barrier, 0
	.set _ZL33flash_attn_stream_k_fixup_generalILi128ELi1ELi8EEvPfPK15HIP_vector_typeIfLj2EEiiiiS1_IjLj3EES5_S5_S5_.private_seg_size, 0
	.set _ZL33flash_attn_stream_k_fixup_generalILi128ELi1ELi8EEvPfPK15HIP_vector_typeIfLj2EEiiiiS1_IjLj3EES5_S5_S5_.uses_vcc, 1
	.set _ZL33flash_attn_stream_k_fixup_generalILi128ELi1ELi8EEvPfPK15HIP_vector_typeIfLj2EEiiiiS1_IjLj3EES5_S5_S5_.uses_flat_scratch, 0
	.set _ZL33flash_attn_stream_k_fixup_generalILi128ELi1ELi8EEvPfPK15HIP_vector_typeIfLj2EEiiiiS1_IjLj3EES5_S5_S5_.has_dyn_sized_stack, 0
	.set _ZL33flash_attn_stream_k_fixup_generalILi128ELi1ELi8EEvPfPK15HIP_vector_typeIfLj2EEiiiiS1_IjLj3EES5_S5_S5_.has_recursion, 0
	.set _ZL33flash_attn_stream_k_fixup_generalILi128ELi1ELi8EEvPfPK15HIP_vector_typeIfLj2EEiiiiS1_IjLj3EES5_S5_S5_.has_indirect_call, 0
	.section	.AMDGPU.csdata,"",@progbits
; Kernel info:
; codeLenInByte = 2924
; TotalNumSgprs: 43
; NumVgprs: 18
; NumAgprs: 0
; TotalNumVgprs: 18
; ScratchSize: 0
; MemoryBound: 0
; FloatMode: 240
; IeeeMode: 1
; LDSByteSize: 0 bytes/workgroup (compile time only)
; SGPRBlocks: 5
; VGPRBlocks: 2
; NumSGPRsForWavesPerEU: 43
; NumVGPRsForWavesPerEU: 18
; AccumOffset: 20
; Occupancy: 8
; WaveLimiterHint : 0
; COMPUTE_PGM_RSRC2:SCRATCH_EN: 0
; COMPUTE_PGM_RSRC2:USER_SGPR: 2
; COMPUTE_PGM_RSRC2:TRAP_HANDLER: 0
; COMPUTE_PGM_RSRC2:TGID_X_EN: 1
; COMPUTE_PGM_RSRC2:TGID_Y_EN: 1
; COMPUTE_PGM_RSRC2:TGID_Z_EN: 1
; COMPUTE_PGM_RSRC2:TIDIG_COMP_CNT: 0
; COMPUTE_PGM_RSRC3_GFX90A:ACCUM_OFFSET: 4
; COMPUTE_PGM_RSRC3_GFX90A:TG_SPLIT: 0
	.section	.text._ZL15flash_attn_tileILi128ELi128ELi16ELi4ELb0EEvPKcS1_S1_S1_S1_PKiPfP15HIP_vector_typeIfLj2EEffffjfiS5_IjLj3EEiiiiiiiiiiiliiliiiiil,"axG",@progbits,_ZL15flash_attn_tileILi128ELi128ELi16ELi4ELb0EEvPKcS1_S1_S1_S1_PKiPfP15HIP_vector_typeIfLj2EEffffjfiS5_IjLj3EEiiiiiiiiiiiliiliiiiil,comdat
	.globl	_ZL15flash_attn_tileILi128ELi128ELi16ELi4ELb0EEvPKcS1_S1_S1_S1_PKiPfP15HIP_vector_typeIfLj2EEffffjfiS5_IjLj3EEiiiiiiiiiiiliiliiiiil ; -- Begin function _ZL15flash_attn_tileILi128ELi128ELi16ELi4ELb0EEvPKcS1_S1_S1_S1_PKiPfP15HIP_vector_typeIfLj2EEffffjfiS5_IjLj3EEiiiiiiiiiiiliiliiiiil
	.p2align	8
	.type	_ZL15flash_attn_tileILi128ELi128ELi16ELi4ELb0EEvPKcS1_S1_S1_S1_PKiPfP15HIP_vector_typeIfLj2EEffffjfiS5_IjLj3EEiiiiiiiiiiiliiliiiiil,@function
_ZL15flash_attn_tileILi128ELi128ELi16ELi4ELb0EEvPKcS1_S1_S1_S1_PKiPfP15HIP_vector_typeIfLj2EEffffjfiS5_IjLj3EEiiiiiiiiiiiliiliiiiil: ; @_ZL15flash_attn_tileILi128ELi128ELi16ELi4ELb0EEvPKcS1_S1_S1_S1_PKiPfP15HIP_vector_typeIfLj2EEffffjfiS5_IjLj3EEiiiiiiiiiiiliiliiiiil
; %bb.0:
	s_load_dwordx4 s[20:23], s[0:1], 0x5c
	s_load_dwordx2 s[30:31], s[0:1], 0x80
	s_load_dwordx2 s[36:37], s[0:1], 0xb8
	s_mov_b64 s[34:35], 0
	s_waitcnt lgkmcnt(0)
	s_ashr_i32 s5, s23, 31
	s_lshr_b32 s5, s5, 30
	s_add_i32 s5, s23, s5
	s_ashr_i32 s5, s5, 2
	v_cvt_f32_u32_e32 v1, s5
	s_sub_i32 s6, 0, s5
	v_rcp_iflag_f32_e32 v1, v1
	s_nop 0
	v_mul_f32_e32 v1, 0x4f7ffffe, v1
	v_cvt_u32_f32_e32 v1, v1
	s_nop 0
	v_readfirstlane_b32 s7, v1
	s_mul_i32 s6, s6, s7
	s_mul_hi_u32 s6, s7, s6
	s_add_i32 s7, s7, s6
	s_mul_hi_u32 s6, s4, s7
	s_mul_i32 s7, s6, s5
	s_sub_i32 s7, s4, s7
	s_add_i32 s8, s6, 1
	s_sub_i32 s9, s7, s5
	s_cmp_ge_u32 s7, s5
	s_cselect_b32 s6, s8, s6
	s_cselect_b32 s7, s9, s7
	s_add_i32 s8, s6, 1
	s_cmp_ge_u32 s7, s5
	s_cselect_b32 s33, s8, s6
	s_abs_i32 s5, s31
	v_cvt_f32_u32_e32 v1, s5
	s_lshl_b32 s4, s4, 2
	s_mul_i32 s8, s33, s23
	s_sub_i32 s9, 0, s5
	v_rcp_iflag_f32_e32 v1, v1
	s_sub_i32 s28, s4, s8
	s_abs_i32 s7, s23
	s_xor_b32 s6, s23, s31
	v_mul_f32_e32 v1, 0x4f7ffffe, v1
	v_cvt_u32_f32_e32 v1, v1
	s_ashr_i32 s6, s6, 31
	v_readfirstlane_b32 s4, v1
	s_mul_i32 s9, s9, s4
	s_mul_hi_u32 s8, s4, s9
	s_add_i32 s4, s4, s8
	s_mul_hi_u32 s4, s7, s4
	s_mul_i32 s8, s4, s5
	s_sub_i32 s7, s7, s8
	s_add_i32 s9, s4, 1
	s_sub_i32 s8, s7, s5
	s_cmp_ge_u32 s7, s5
	s_cselect_b32 s4, s9, s4
	s_cselect_b32 s7, s8, s7
	s_add_i32 s8, s4, 1
	s_cmp_ge_u32 s7, s5
	s_cselect_b32 s4, s8, s4
	s_xor_b32 s4, s4, s6
	s_sub_i32 s31, s4, s6
	s_abs_i32 s29, s31
	v_cvt_f32_u32_e32 v1, s29
	s_load_dwordx16 s[4:19], s[0:1], 0x0
	v_rcp_iflag_f32_e32 v1, v1
	s_waitcnt lgkmcnt(0)
	s_cmp_eq_u64 s[10:11], 0
	v_mul_f32_e32 v1, 0x4f7ffffe, v1
	v_cvt_u32_f32_e32 v1, v1
	s_nop 0
	v_readfirstlane_b32 s38, v1
	s_cbranch_scc1 .LBB17_2
; %bb.1:
	s_abs_i32 s26, s36
	v_cvt_f32_u32_e32 v1, s26
	s_sub_i32 s35, 0, s26
	s_abs_i32 s34, s33
	s_ashr_i32 s27, s33, 31
	v_rcp_iflag_f32_e32 v1, v1
	s_load_dwordx2 s[24:25], s[0:1], 0xc8
	v_mul_f32_e32 v1, 0x4f7ffffe, v1
	v_cvt_u32_f32_e32 v1, v1
	s_nop 0
	v_readfirstlane_b32 s36, v1
	s_mul_i32 s35, s35, s36
	s_mul_hi_u32 s35, s36, s35
	s_add_i32 s36, s36, s35
	s_mul_hi_u32 s35, s34, s36
	s_mul_i32 s35, s35, s26
	s_sub_i32 s34, s34, s35
	s_sub_i32 s35, s34, s26
	s_cmp_ge_u32 s34, s26
	s_cselect_b32 s34, s35, s34
	s_sub_i32 s35, s34, s26
	s_cmp_ge_u32 s34, s26
	s_cselect_b32 s26, s35, s34
	s_xor_b32 s26, s26, s27
	s_sub_i32 s26, s26, s27
	s_ashr_i32 s27, s26, 31
	s_waitcnt lgkmcnt(0)
	s_mul_hi_u32 s34, s24, s26
	s_mul_i32 s27, s24, s27
	s_mul_i32 s25, s25, s26
	s_add_i32 s27, s34, s27
	s_add_i32 s27, s27, s25
	s_mul_i32 s24, s24, s26
	s_add_u32 s34, s10, s24
	s_addc_u32 s35, s11, s27
.LBB17_2:
	s_load_dwordx4 s[24:27], s[0:1], 0x70
	v_bfe_u32 v1, v0, 10, 10
	s_waitcnt lgkmcnt(0)
	s_lshl_b32 s27, s2, 4
	v_lshlrev_b32_e32 v65, 1, v1
	v_add_u32_e32 v67, s27, v65
	s_mul_i32 s10, s33, s26
	s_ashr_i32 s26, s10, 31
	s_mul_i32 s11, s28, s25
	s_add_u32 s4, s4, s10
	v_and_b32_e32 v66, 0x3ff, v0
	v_mul_hi_u32 v0, v67, s20
	s_addc_u32 s5, s5, s26
	s_ashr_i32 s26, s11, 31
	v_add_u32_e32 v0, v67, v0
	s_add_u32 s10, s4, s11
	v_lshrrev_b32_e32 v0, s21, v0
	s_addc_u32 s11, s5, s26
	s_ashr_i32 s41, s24, 31
	s_mov_b32 s40, s24
	v_mul_lo_u32 v0, v0, s22
	s_lshr_b64 s[4:5], s[40:41], 2
	v_sub_u32_e32 v4, v67, v0
	v_mad_u64_u32 v[2:3], s[42:43], s4, v4, 0
	v_mov_b32_e32 v0, v3
	s_lshr_b32 s24, s41, 2
	v_mad_u64_u32 v[6:7], s[40:41], s24, v4, v[0:1]
	v_mov_b32_e32 v3, v6
	v_lshlrev_b64 v[18:19], 2, v[2:3]
	v_lshl_add_u64 v[6:7], s[10:11], 0, v[18:19]
	v_lshlrev_b32_e32 v2, 4, v66
	v_mov_b32_e32 v3, 0
	v_lshl_add_u64 v[6:7], v[6:7], 0, v[2:3]
	global_load_dwordx4 v[6:9], v[6:7], off
	v_lshlrev_b32_e32 v5, 3, v1
	v_or_b32_e32 v36, 4, v5
	v_or_b32_e32 v37, 5, v5
	v_lshrrev_b32_e32 v62, 2, v36
	v_lshrrev_b32_e32 v59, 2, v37
	v_add_u32_e32 v63, s27, v62
	v_add_u32_e32 v61, s27, v59
	s_mov_b32 s40, s25
	v_mul_hi_u32 v10, v63, s20
	v_mul_hi_u32 v11, v61, s20
	s_ashr_i32 s41, s25, 31
	v_add_u32_e32 v10, v63, v10
	v_add_u32_e32 v11, v61, v11
	s_and_b32 s25, s25, -4
	s_lshr_b64 s[42:43], s[40:41], 2
	v_lshrrev_b32_e32 v10, s21, v10
	v_lshrrev_b32_e32 v11, s21, v11
	s_add_u32 s44, s10, s25
	v_mul_lo_u32 v10, v10, s22
	v_mul_lo_u32 v11, v11, s22
	s_addc_u32 s45, s11, s41
	v_sub_u32_e32 v21, v63, v10
	v_sub_u32_e32 v27, v61, v11
	v_lshl_add_u64 v[10:11], s[44:45], 0, v[18:19]
	v_lshl_add_u64 v[10:11], v[10:11], 0, v[2:3]
	s_mul_i32 s25, s41, 12
	v_mad_u64_u32 v[22:23], s[40:41], s4, v21, 0
	global_load_dwordx4 v[10:13], v[10:11], off
	s_lshl_b64 s[40:41], s[42:43], 3
	s_add_u32 s40, s10, s40
	s_addc_u32 s41, s11, s41
	s_mul_hi_u32 s26, s42, 12
	v_lshl_add_u64 v[14:15], s[40:41], 0, v[18:19]
	v_mov_b32_e32 v20, v23
	s_mul_i32 s36, s42, 12
	v_lshl_add_u64 v[14:15], v[14:15], 0, v[2:3]
	v_mad_u64_u32 v[24:25], s[42:43], s4, v27, 0
	v_mad_u64_u32 v[28:29], s[42:43], s24, v21, v[20:21]
	s_add_i32 s26, s26, s25
	s_load_dword s5, s[0:1], 0x40
	global_load_dwordx4 v[14:17], v[14:15], off
	s_add_u32 s42, s10, s36
	s_addc_u32 s43, s11, s26
	v_lshl_add_u64 v[18:19], s[42:43], 0, v[18:19]
	v_mov_b32_e32 v26, v25
	v_lshl_add_u64 v[18:19], v[18:19], 0, v[2:3]
	global_load_dwordx4 v[18:21], v[18:19], off
	v_mad_u64_u32 v[26:27], s[46:47], s24, v27, v[26:27]
	v_or_b32_e32 v39, 6, v5
	v_mov_b32_e32 v25, v26
	v_lshrrev_b32_e32 v58, 2, v39
	v_mov_b32_e32 v23, v28
	v_lshl_add_u64 v[26:27], v[24:25], 2, s[44:45]
	v_add_u32_e32 v60, s27, v58
	v_lshl_add_u64 v[22:23], v[22:23], 2, s[10:11]
	v_lshl_add_u64 v[22:23], v[22:23], 0, v[2:3]
	global_load_dwordx4 v[22:25], v[22:23], off
	v_or_b32_e32 v40, 7, v5
	v_lshrrev_b32_e32 v56, 2, v40
	v_add_u32_e32 v57, s27, v56
	v_mul_hi_u32 v30, v57, s20
	v_add_u32_e32 v30, v57, v30
	v_lshrrev_b32_e32 v30, s21, v30
	v_mul_lo_u32 v30, v30, s22
	v_sub_u32_e32 v33, v57, v30
	v_mad_u64_u32 v[30:31], s[10:11], s4, v33, 0
	v_mov_b32_e32 v32, v31
	v_mad_u64_u32 v[32:33], s[10:11], s24, v33, v[32:33]
	v_mov_b32_e32 v31, v32
	v_lshl_add_u64 v[30:31], v[30:31], 2, s[42:43]
	v_lshl_add_u64 v[30:31], v[30:31], 0, v[2:3]
	global_load_dwordx4 v[30:33], v[30:31], off
	v_lshlrev_b32_e32 v0, 3, v66
	s_waitcnt vmcnt(5) lgkmcnt(0)
	v_fma_mixlo_f16 v6, s5, v6, 0
	v_fma_mixlo_f16 v7, s5, v7, 0
	v_lshlrev_b32_e32 v7, 16, v7
	v_and_b32_e32 v6, 0xffff, v6
	v_or_b32_e32 v38, v7, v6
	v_lshl_add_u64 v[6:7], v[26:27], 0, v[2:3]
	v_mul_hi_u32 v26, v60, s20
	v_add_u32_e32 v26, v60, v26
	v_lshrrev_b32_e32 v26, s21, v26
	v_mul_lo_u32 v26, v26, s22
	v_sub_u32_e32 v29, v60, v26
	v_mad_u64_u32 v[26:27], s[10:11], s4, v29, 0
	v_fma_mixlo_f16 v34, s5, v8, 0
	v_fma_mixlo_f16 v35, s5, v9, 0
	global_load_dwordx4 v[6:9], v[6:7], off
	v_mov_b32_e32 v28, v27
	v_mad_u64_u32 v[28:29], s[10:11], s24, v29, v[28:29]
	v_mov_b32_e32 v27, v28
	v_lshl_add_u64 v[26:27], v[26:27], 2, s[40:41]
	v_lshl_add_u64 v[26:27], v[26:27], 0, v[2:3]
	global_load_dwordx4 v[26:29], v[26:27], off
	v_lshlrev_b32_e32 v68, 11, v1
	v_lshlrev_b32_e32 v35, 16, v35
	v_and_b32_e32 v34, 0xffff, v34
	v_add_u32_e32 v3, v0, v68
	v_or3_b32 v35, v35, v34, 0
	v_or3_b32 v34, 0, 0, v38
	s_waitcnt vmcnt(6)
	v_fma_mixlo_f16 v10, s5, v10, 0
	v_fma_mixlo_f16 v11, s5, v11, 0
	v_lshlrev_b32_e32 v11, 16, v11
	v_and_b32_e32 v10, 0xffff, v10
	v_or_b32_e32 v10, v11, v10
	v_fma_mixlo_f16 v11, s5, v12, 0
	v_fma_mixlo_f16 v12, s5, v13, 0
	v_lshlrev_b32_e32 v12, 16, v12
	v_and_b32_e32 v11, 0xffff, v11
	v_or3_b32 v11, v12, v11, 0
	v_or3_b32 v10, 0, 0, v10
	ds_write2_b64 v3, v[34:35], v[10:11] offset1:32
	s_cmp_eq_u64 s[14:15], 0
	s_waitcnt vmcnt(5)
	v_fma_mixlo_f16 v10, s5, v14, 0
	v_fma_mixlo_f16 v11, s5, v15, 0
	v_lshlrev_b32_e32 v11, 16, v11
	v_and_b32_e32 v10, 0xffff, v10
	v_or_b32_e32 v10, v11, v10
	v_fma_mixlo_f16 v11, s5, v16, 0
	v_fma_mixlo_f16 v12, s5, v17, 0
	v_lshlrev_b32_e32 v12, 16, v12
	v_and_b32_e32 v11, 0xffff, v11
	v_or3_b32 v11, v12, v11, 0
	s_waitcnt vmcnt(4)
	v_fma_mixlo_f16 v12, s5, v18, 0
	v_fma_mixlo_f16 v13, s5, v19, 0
	v_lshlrev_b32_e32 v13, 16, v13
	v_and_b32_e32 v12, 0xffff, v12
	v_or_b32_e32 v12, v13, v12
	v_fma_mixlo_f16 v13, s5, v20, 0
	v_fma_mixlo_f16 v14, s5, v21, 0
	v_lshlrev_b32_e32 v14, 16, v14
	v_and_b32_e32 v13, 0xffff, v13
	v_or3_b32 v10, 0, 0, v10
	v_or3_b32 v13, v14, v13, 0
	;; [unrolled: 1-line block ×3, first 2 shown]
	ds_write2_b64 v3, v[10:11], v[12:13] offset0:64 offset1:96
	s_waitcnt vmcnt(3)
	v_fma_mixlo_f16 v3, s5, v22, 0
	v_fma_mixlo_f16 v10, s5, v23, 0
	v_lshlrev_b32_e32 v10, 16, v10
	v_and_b32_e32 v3, 0xffff, v3
	v_or_b32_e32 v3, v10, v3
	v_fma_mixlo_f16 v10, s5, v24, 0
	v_fma_mixlo_f16 v11, s5, v25, 0
	v_lshlrev_b32_e32 v11, 16, v11
	v_and_b32_e32 v10, 0xffff, v10
	v_or3_b32 v11, v11, v10, 0
	v_or3_b32 v10, 0, 0, v3
	v_lshl_add_u32 v12, v36, 8, v0
	ds_write_b64 v12, v[10:11]
	s_waitcnt vmcnt(1)
	v_fma_mixlo_f16 v3, s5, v6, 0
	v_fma_mixlo_f16 v6, s5, v7, 0
	v_lshlrev_b32_e32 v6, 16, v6
	v_and_b32_e32 v3, 0xffff, v3
	v_or_b32_e32 v3, v6, v3
	v_fma_mixlo_f16 v6, s5, v8, 0
	v_fma_mixlo_f16 v7, s5, v9, 0
	v_lshlrev_b32_e32 v7, 16, v7
	v_and_b32_e32 v6, 0xffff, v6
	v_lshl_add_u32 v8, v37, 8, v0
	v_or3_b32 v7, v7, v6, 0
	v_or3_b32 v6, 0, 0, v3
	ds_write_b64 v8, v[6:7]
	s_waitcnt vmcnt(0)
	v_fma_mixlo_f16 v3, s5, v26, 0
	v_fma_mixlo_f16 v6, s5, v27, 0
	v_lshlrev_b32_e32 v6, 16, v6
	v_and_b32_e32 v3, 0xffff, v3
	v_or_b32_e32 v3, v6, v3
	v_fma_mixlo_f16 v6, s5, v28, 0
	v_fma_mixlo_f16 v7, s5, v29, 0
	v_lshlrev_b32_e32 v7, 16, v7
	v_and_b32_e32 v6, 0xffff, v6
	v_lshl_add_u32 v8, v39, 8, v0
	v_or3_b32 v7, v7, v6, 0
	v_or3_b32 v6, 0, 0, v3
	ds_write_b64 v8, v[6:7]
	v_fma_mixlo_f16 v3, s5, v30, 0
	v_fma_mixlo_f16 v6, s5, v31, 0
	v_lshlrev_b32_e32 v6, 16, v6
	v_and_b32_e32 v3, 0xffff, v3
	v_or_b32_e32 v3, v6, v3
	v_fma_mixlo_f16 v6, s5, v32, 0
	v_fma_mixlo_f16 v7, s5, v33, 0
	v_lshlrev_b32_e32 v7, 16, v7
	v_and_b32_e32 v6, 0xffff, v6
	v_lshl_add_u32 v8, v40, 8, v0
	v_or3_b32 v7, v7, v6, 0
	v_or3_b32 v6, 0, 0, v3
	ds_write_b64 v8, v[6:7]
	s_waitcnt lgkmcnt(0)
	s_barrier
	s_cbranch_scc1 .LBB17_4
; %bb.3:
	s_load_dword s4, s[0:1], 0xd0
	s_mov_b32 s5, 0
	s_waitcnt lgkmcnt(0)
	s_mul_i32 s4, s4, s33
	s_add_i32 s4, s4, s2
	s_lshl_b64 s[4:5], s[4:5], 2
	s_add_u32 s4, s14, s4
	s_addc_u32 s5, s15, s5
	s_load_dword s30, s[4:5], 0x0
.LBB17_4:
	s_lshl_b32 s2, s3, 6
	s_waitcnt lgkmcnt(0)
	s_cmp_lt_i32 s2, s30
	v_mbcnt_lo_u32_b32 v3, -1, 0
	s_cbranch_scc1 .LBB17_7
; %bb.5:
	v_mbcnt_hi_u32_b32 v52, -1, v3
	v_and_b32_e32 v6, 0x60, v52
	v_add_u32_e32 v69, 32, v6
	v_xor_b32_e32 v73, 16, v52
	v_xor_b32_e32 v74, 8, v52
	;; [unrolled: 1-line block ×5, first 2 shown]
	v_lshlrev_b32_e32 v64, 2, v66
	s_cbranch_execz .LBB17_8
; %bb.6:
	v_mov_b32_e32 v41, 0
	v_mov_b32_e32 v98, 0
	;; [unrolled: 1-line block ×32, first 2 shown]
	s_branch .LBB17_10
.LBB17_7:
                                        ; implicit-def: $vgpr52
                                        ; implicit-def: $vgpr69
                                        ; implicit-def: $vgpr73
                                        ; implicit-def: $vgpr74
                                        ; implicit-def: $vgpr72
                                        ; implicit-def: $vgpr71
                                        ; implicit-def: $vgpr70
	v_lshlrev_b32_e32 v64, 2, v66
.LBB17_8:
	s_sub_i32 s4, 0, s29
	s_mul_i32 s4, s4, s38
	s_mul_hi_u32 s4, s38, s4
	s_add_i32 s38, s38, s4
	s_load_dwordx2 s[4:5], s[0:1], 0x8c
	s_load_dwordx4 s[40:43], s[0:1], 0x98
	s_abs_i32 s24, s28
	s_ashr_i32 s36, s37, 1
	s_ashr_i32 s37, s33, 31
	s_mul_hi_u32 s25, s24, s38
	s_waitcnt lgkmcnt(0)
	s_ashr_i32 s11, s4, 2
	s_mul_hi_u32 s4, s40, s33
	s_mul_i32 s38, s40, s37
	s_add_i32 s4, s4, s38
	s_mul_i32 s38, s41, s33
	s_ashr_i32 s26, s28, 31
	s_ashr_i32 s31, s31, 31
	;; [unrolled: 1-line block ×3, first 2 shown]
	s_add_i32 s4, s4, s38
	s_mul_i32 s38, s40, s33
	s_add_u32 s6, s6, s38
	s_addc_u32 s7, s7, s4
	s_xor_b32 s4, s26, s31
	s_mul_i32 s26, s25, s29
	s_sub_i32 s24, s24, s26
	s_add_i32 s26, s25, 1
	s_sub_i32 s31, s24, s29
	s_cmp_ge_u32 s24, s29
	s_cselect_b32 s25, s26, s25
	s_cselect_b32 s24, s31, s24
	s_add_i32 s26, s25, 1
	s_cmp_ge_u32 s24, s29
	s_cselect_b32 s24, s26, s25
	s_load_dwordx2 s[14:15], s[0:1], 0xa8
	s_xor_b32 s24, s24, s4
	s_sub_i32 s24, s24, s4
	s_mul_i32 s4, s24, s5
	s_ashr_i32 s5, s4, 31
	s_add_u32 s4, s6, s4
	s_addc_u32 s5, s7, s5
	s_waitcnt lgkmcnt(0)
	s_mul_hi_u32 s6, s14, s33
	s_mul_i32 s7, s14, s37
	s_add_i32 s6, s6, s7
	s_mul_i32 s7, s15, s33
	s_add_i32 s6, s6, s7
	s_mul_i32 s7, s14, s33
	s_add_u32 s7, s8, s7
	s_mul_i32 s24, s24, s43
	s_addc_u32 s8, s9, s6
	s_ashr_i32 s9, s24, 31
	v_lshrrev_b32_e32 v6, 2, v66
	s_add_u32 s6, s7, s24
	v_add_u32_e32 v5, v6, v5
	v_and_b32_e32 v6, 12, v64
	s_addc_u32 s7, s8, s9
	s_movk_i32 s8, 0x50
	v_mul_u32_u24_e32 v7, 0x50, v5
	v_lshlrev_b32_e32 v52, 2, v6
	v_mul_lo_u32 v6, s11, v5
	v_mov_b32_e32 v5, 0x6000
	v_mul_lo_u32 v77, v4, s36
	v_add3_u32 v4, s27, v65, 1
	v_mad_u32_u24 v76, v66, s8, v5
	v_mul_hi_u32 v5, s20, v4
	v_add_u32_e32 v5, v4, v5
	v_lshrrev_b32_e32 v5, s21, v5
	v_mul_lo_u32 v5, v5, s22
	s_movk_i32 s9, 0x6000
	v_sub_u32_e32 v4, v4, v5
	v_add3_u32 v75, v7, v52, s9
	v_ashrrev_i32_e32 v7, 31, v6
	v_mul_lo_u32 v78, v4, s36
	v_mov_b32_e32 v4, 0x4000
	v_lshl_add_u64 v[6:7], v[6:7], 2, s[4:5]
	v_mov_b32_e32 v53, 0
	v_lshl_add_u32 v79, v1, 10, v4
	v_lshrrev_b32_e32 v1, 4, v66
	v_and_b32_e32 v4, 60, v64
	v_lshl_add_u64 v[48:49], v[6:7], 0, v[52:53]
	v_add_u32_e32 v1, v1, v65
	v_lshlrev_b32_e32 v52, 2, v4
	v_lshl_or_b32 v4, v1, 8, v52
	v_add_u32_e32 v80, 0x6000, v4
	v_mul_lo_u32 v4, s10, v1
	v_ashrrev_i32_e32 v5, 31, v4
	v_lshl_add_u64 v[4:5], v[4:5], 2, s[6:7]
	v_lshl_add_u64 v[50:51], v[4:5], 0, v[52:53]
	v_mbcnt_hi_u32_b32 v52, -1, v3
	v_or_b32_e32 v81, 0x6000, v0
	s_add_u32 s4, s0, 0xd0
	v_and_b32_e32 v1, 0x60, v52
	s_addc_u32 s5, s1, 0
	v_mov_b32_e32 v0, 0xfeffffff
	v_add_u32_e32 v69, 32, v1
	v_xor_b32_e32 v73, 16, v52
	v_xor_b32_e32 v74, 8, v52
	;; [unrolled: 1-line block ×5, first 2 shown]
	s_mov_b32 s8, 0x3fb8aa3b
	s_mov_b32 s9, 0xc2ce8ed0
	;; [unrolled: 1-line block ×3, first 2 shown]
	v_mov_b32_e32 v82, 0x7f800000
	s_mov_b32 s15, 0x10001
	v_add_u32_e32 v83, v79, v2
	v_add_u32_e32 v84, 0x800, v81
	v_mov_b32_e32 v85, v53
	v_mov_b32_e32 v87, v53
	;; [unrolled: 1-line block ×30, first 2 shown]
.LBB17_9:                               ; =>This Inner Loop Header: Depth=1
	s_mul_hi_i32 s7, s2, s11
	s_mul_i32 s6, s2, s11
	v_lshl_add_u64 v[54:55], s[6:7], 2, v[48:49]
	v_mov_b32_e32 v104, v3
	v_mov_b32_e32 v105, v2
	;; [unrolled: 1-line block ×4, first 2 shown]
	global_load_dwordx4 v[0:3], v[54:55], off
	v_mov_b32_e32 v108, 0
	v_mov_b32_e32 v100, v7
	;; [unrolled: 1-line block ×12, first 2 shown]
	v_cmp_lt_i32_e32 vcc, v73, v69
	s_mul_hi_i32 s7, s2, s10
	s_mul_i32 s6, s2, s10
	s_waitcnt vmcnt(0)
	ds_write_b128 v75, v[0:3]
	s_waitcnt lgkmcnt(0)
	s_barrier
	ds_read_b128 v[36:39], v76
	ds_read_b128 v[0:3], v76 offset:2560
	ds_read_b128 v[32:35], v68
	ds_read_b128 v[28:31], v68 offset:256
	ds_read_b128 v[24:27], v68 offset:512
	;; [unrolled: 1-line block ×7, first 2 shown]
	s_waitcnt lgkmcnt(7)
	;;#ASMSTART
	v_dot2_f32_f16 v108, v36, v32, v108
	;;#ASMEND
	s_nop 0
	;;#ASMSTART
	v_dot2_f32_f16 v108, v37, v33, v108
	;;#ASMEND
	s_nop 0
	;;#ASMSTART
	v_dot2_f32_f16 v108, v38, v34, v108
	;;#ASMEND
	s_nop 0
	;;#ASMSTART
	v_dot2_f32_f16 v108, v39, v35, v108
	;;#ASMEND
	s_waitcnt lgkmcnt(6)
	;;#ASMSTART
	v_dot2_f32_f16 v113, v36, v28, v113
	;;#ASMEND
	s_nop 0
	;;#ASMSTART
	v_dot2_f32_f16 v113, v37, v29, v113
	;;#ASMEND
	s_nop 0
	;;#ASMSTART
	v_dot2_f32_f16 v113, v38, v30, v113
	;;#ASMEND
	s_nop 0
	;;#ASMSTART
	v_dot2_f32_f16 v113, v39, v31, v113
	;;#ASMEND
	;; [unrolled: 16-line block ×7, first 2 shown]
	s_waitcnt lgkmcnt(0)
	;;#ASMSTART
	v_dot2_f32_f16 v109, v36, v4, v109
	;;#ASMEND
	v_mov_b32_e32 v36, 0
	;;#ASMSTART
	v_dot2_f32_f16 v109, v37, v5, v109
	;;#ASMEND
	s_nop 0
	;;#ASMSTART
	v_dot2_f32_f16 v109, v38, v6, v109
	;;#ASMEND
	s_nop 0
	;;#ASMSTART
	v_dot2_f32_f16 v109, v39, v7, v109
	;;#ASMEND
	;;#ASMSTART
	v_dot2_f32_f16 v36, v0, v32, v36
	;;#ASMEND
	v_mov_b32_e32 v32, 0
	;;#ASMSTART
	v_dot2_f32_f16 v36, v1, v33, v36
	;;#ASMEND
	s_nop 0
	;;#ASMSTART
	v_dot2_f32_f16 v36, v2, v34, v36
	;;#ASMEND
	s_nop 0
	;;#ASMSTART
	v_dot2_f32_f16 v36, v3, v35, v36
	;;#ASMEND
	;; [unrolled: 15-line block ×8, first 2 shown]
	;;#ASMSTART
	v_dot2_f32_f16 v8, v0, v4, v8
	;;#ASMEND
	s_nop 0
	;;#ASMSTART
	v_dot2_f32_f16 v8, v1, v5, v8
	;;#ASMEND
	s_nop 0
	;; [unrolled: 4-line block ×3, first 2 shown]
	;;#ASMSTART
	v_dot2_f32_f16 v8, v3, v7, v8
	;;#ASMEND
	ds_read_b128 v[0:3], v76 offset:16
	ds_read_b128 v[4:7], v76 offset:2576
	;; [unrolled: 1-line block ×10, first 2 shown]
	s_waitcnt lgkmcnt(7)
	;;#ASMSTART
	v_dot2_f32_f16 v108, v0, v116, v108
	;;#ASMEND
	s_nop 0
	;;#ASMSTART
	v_dot2_f32_f16 v108, v1, v117, v108
	;;#ASMEND
	s_nop 0
	;;#ASMSTART
	v_dot2_f32_f16 v108, v2, v118, v108
	;;#ASMEND
	s_nop 0
	;;#ASMSTART
	v_dot2_f32_f16 v108, v3, v119, v108
	;;#ASMEND
	s_waitcnt lgkmcnt(6)
	;;#ASMSTART
	v_dot2_f32_f16 v113, v0, v120, v113
	;;#ASMEND
	s_nop 0
	;;#ASMSTART
	v_dot2_f32_f16 v113, v1, v121, v113
	;;#ASMEND
	s_nop 0
	;;#ASMSTART
	v_dot2_f32_f16 v113, v2, v122, v113
	;;#ASMEND
	s_nop 0
	;;#ASMSTART
	v_dot2_f32_f16 v113, v3, v123, v113
	;;#ASMEND
	;; [unrolled: 16-line block ×8, first 2 shown]
	;;#ASMSTART
	v_dot2_f32_f16 v36, v4, v116, v36
	;;#ASMEND
	s_nop 0
	;;#ASMSTART
	v_dot2_f32_f16 v36, v5, v117, v36
	;;#ASMEND
	s_nop 0
	;;#ASMSTART
	v_dot2_f32_f16 v36, v6, v118, v36
	;;#ASMEND
	s_nop 0
	;;#ASMSTART
	v_dot2_f32_f16 v36, v7, v119, v36
	;;#ASMEND
	;;#ASMSTART
	v_dot2_f32_f16 v32, v4, v120, v32
	;;#ASMEND
	s_nop 0
	;;#ASMSTART
	v_dot2_f32_f16 v32, v5, v121, v32
	;;#ASMEND
	s_nop 0
	;;#ASMSTART
	v_dot2_f32_f16 v32, v6, v122, v32
	;;#ASMEND
	s_nop 0
	;;#ASMSTART
	v_dot2_f32_f16 v32, v7, v123, v32
	;;#ASMEND
	;; [unrolled: 15-line block ×8, first 2 shown]
	ds_read_b128 v[0:3], v76 offset:32
	ds_read_b128 v[4:7], v76 offset:2592
	;; [unrolled: 1-line block ×10, first 2 shown]
	s_waitcnt lgkmcnt(7)
	;;#ASMSTART
	v_dot2_f32_f16 v108, v0, v116, v108
	;;#ASMEND
	s_nop 0
	;;#ASMSTART
	v_dot2_f32_f16 v108, v1, v117, v108
	;;#ASMEND
	s_nop 0
	;;#ASMSTART
	v_dot2_f32_f16 v108, v2, v118, v108
	;;#ASMEND
	s_nop 0
	;;#ASMSTART
	v_dot2_f32_f16 v108, v3, v119, v108
	;;#ASMEND
	s_waitcnt lgkmcnt(6)
	;;#ASMSTART
	v_dot2_f32_f16 v113, v0, v120, v113
	;;#ASMEND
	s_nop 0
	;;#ASMSTART
	v_dot2_f32_f16 v113, v1, v121, v113
	;;#ASMEND
	s_nop 0
	;;#ASMSTART
	v_dot2_f32_f16 v113, v2, v122, v113
	;;#ASMEND
	s_nop 0
	;;#ASMSTART
	v_dot2_f32_f16 v113, v3, v123, v113
	;;#ASMEND
	;; [unrolled: 16-line block ×8, first 2 shown]
	;;#ASMSTART
	v_dot2_f32_f16 v36, v4, v116, v36
	;;#ASMEND
	s_nop 0
	;;#ASMSTART
	v_dot2_f32_f16 v36, v5, v117, v36
	;;#ASMEND
	s_nop 0
	;;#ASMSTART
	v_dot2_f32_f16 v36, v6, v118, v36
	;;#ASMEND
	s_nop 0
	;;#ASMSTART
	v_dot2_f32_f16 v36, v7, v119, v36
	;;#ASMEND
	;;#ASMSTART
	v_dot2_f32_f16 v32, v4, v120, v32
	;;#ASMEND
	s_nop 0
	;;#ASMSTART
	v_dot2_f32_f16 v32, v5, v121, v32
	;;#ASMEND
	s_nop 0
	;;#ASMSTART
	v_dot2_f32_f16 v32, v6, v122, v32
	;;#ASMEND
	s_nop 0
	;;#ASMSTART
	v_dot2_f32_f16 v32, v7, v123, v32
	;;#ASMEND
	;;#ASMSTART
	v_dot2_f32_f16 v28, v4, v124, v28
	;;#ASMEND
	s_nop 0
	;;#ASMSTART
	v_dot2_f32_f16 v28, v5, v125, v28
	;;#ASMEND
	s_nop 0
	;;#ASMSTART
	v_dot2_f32_f16 v28, v6, v126, v28
	;;#ASMEND
	s_nop 0
	;;#ASMSTART
	v_dot2_f32_f16 v28, v7, v127, v28
	;;#ASMEND
	;;#ASMSTART
	v_dot2_f32_f16 v24, v4, v128, v24
	;;#ASMEND
	s_nop 0
	;;#ASMSTART
	v_dot2_f32_f16 v24, v5, v129, v24
	;;#ASMEND
	s_nop 0
	;;#ASMSTART
	v_dot2_f32_f16 v24, v6, v130, v24
	;;#ASMEND
	s_nop 0
	;;#ASMSTART
	v_dot2_f32_f16 v24, v7, v131, v24
	;;#ASMEND
	;;#ASMSTART
	v_dot2_f32_f16 v20, v4, v132, v20
	;;#ASMEND
	s_nop 0
	;;#ASMSTART
	v_dot2_f32_f16 v20, v5, v133, v20
	;;#ASMEND
	s_nop 0
	;;#ASMSTART
	v_dot2_f32_f16 v20, v6, v134, v20
	;;#ASMEND
	s_nop 0
	;;#ASMSTART
	v_dot2_f32_f16 v20, v7, v135, v20
	;;#ASMEND
	;;#ASMSTART
	v_dot2_f32_f16 v16, v4, v136, v16
	;;#ASMEND
	s_nop 0
	;;#ASMSTART
	v_dot2_f32_f16 v16, v5, v137, v16
	;;#ASMEND
	s_nop 0
	;;#ASMSTART
	v_dot2_f32_f16 v16, v6, v138, v16
	;;#ASMEND
	s_nop 0
	;;#ASMSTART
	v_dot2_f32_f16 v16, v7, v139, v16
	;;#ASMEND
	;;#ASMSTART
	v_dot2_f32_f16 v12, v4, v140, v12
	;;#ASMEND
	s_nop 0
	;;#ASMSTART
	v_dot2_f32_f16 v12, v5, v141, v12
	;;#ASMEND
	s_nop 0
	;;#ASMSTART
	v_dot2_f32_f16 v12, v6, v142, v12
	;;#ASMEND
	s_nop 0
	;;#ASMSTART
	v_dot2_f32_f16 v12, v7, v143, v12
	;;#ASMEND
	;;#ASMSTART
	v_dot2_f32_f16 v8, v4, v144, v8
	;;#ASMEND
	s_nop 0
	;;#ASMSTART
	v_dot2_f32_f16 v8, v5, v145, v8
	;;#ASMEND
	s_nop 0
	;;#ASMSTART
	v_dot2_f32_f16 v8, v6, v146, v8
	;;#ASMEND
	s_nop 0
	;;#ASMSTART
	v_dot2_f32_f16 v8, v7, v147, v8
	;;#ASMEND
	ds_read_b128 v[0:3], v76 offset:48
	ds_read_b128 v[4:7], v76 offset:2608
	ds_read_b128 v[116:119], v68 offset:48
	ds_read_b128 v[120:123], v68 offset:304
	ds_read_b128 v[124:127], v68 offset:560
	ds_read_b128 v[128:131], v68 offset:816
	ds_read_b128 v[132:135], v68 offset:1072
	ds_read_b128 v[136:139], v68 offset:1328
	ds_read_b128 v[140:143], v68 offset:1584
	ds_read_b128 v[144:147], v68 offset:1840
	s_waitcnt lgkmcnt(7)
	;;#ASMSTART
	v_dot2_f32_f16 v108, v0, v116, v108
	;;#ASMEND
	s_nop 0
	;;#ASMSTART
	v_dot2_f32_f16 v108, v1, v117, v108
	;;#ASMEND
	s_nop 0
	;;#ASMSTART
	v_dot2_f32_f16 v108, v2, v118, v108
	;;#ASMEND
	s_nop 0
	;;#ASMSTART
	v_dot2_f32_f16 v108, v3, v119, v108
	;;#ASMEND
	s_waitcnt lgkmcnt(6)
	;;#ASMSTART
	v_dot2_f32_f16 v113, v0, v120, v113
	;;#ASMEND
	s_nop 0
	;;#ASMSTART
	v_dot2_f32_f16 v113, v1, v121, v113
	;;#ASMEND
	s_nop 0
	;;#ASMSTART
	v_dot2_f32_f16 v113, v2, v122, v113
	;;#ASMEND
	s_nop 0
	;;#ASMSTART
	v_dot2_f32_f16 v113, v3, v123, v113
	;;#ASMEND
	;; [unrolled: 16-line block ×8, first 2 shown]
	;;#ASMSTART
	v_dot2_f32_f16 v36, v4, v116, v36
	;;#ASMEND
	s_nop 0
	;;#ASMSTART
	v_dot2_f32_f16 v36, v5, v117, v36
	;;#ASMEND
	s_nop 0
	;;#ASMSTART
	v_dot2_f32_f16 v36, v6, v118, v36
	;;#ASMEND
	s_nop 0
	;;#ASMSTART
	v_dot2_f32_f16 v36, v7, v119, v36
	;;#ASMEND
	;;#ASMSTART
	v_dot2_f32_f16 v32, v4, v120, v32
	;;#ASMEND
	s_nop 0
	;;#ASMSTART
	v_dot2_f32_f16 v32, v5, v121, v32
	;;#ASMEND
	s_nop 0
	;;#ASMSTART
	v_dot2_f32_f16 v32, v6, v122, v32
	;;#ASMEND
	s_nop 0
	;;#ASMSTART
	v_dot2_f32_f16 v32, v7, v123, v32
	;;#ASMEND
	;;#ASMSTART
	v_dot2_f32_f16 v28, v4, v124, v28
	;;#ASMEND
	s_nop 0
	;;#ASMSTART
	v_dot2_f32_f16 v28, v5, v125, v28
	;;#ASMEND
	s_nop 0
	;;#ASMSTART
	v_dot2_f32_f16 v28, v6, v126, v28
	;;#ASMEND
	s_nop 0
	;;#ASMSTART
	v_dot2_f32_f16 v28, v7, v127, v28
	;;#ASMEND
	;;#ASMSTART
	v_dot2_f32_f16 v24, v4, v128, v24
	;;#ASMEND
	s_nop 0
	;;#ASMSTART
	v_dot2_f32_f16 v24, v5, v129, v24
	;;#ASMEND
	s_nop 0
	;;#ASMSTART
	v_dot2_f32_f16 v24, v6, v130, v24
	;;#ASMEND
	s_nop 0
	;;#ASMSTART
	v_dot2_f32_f16 v24, v7, v131, v24
	;;#ASMEND
	;;#ASMSTART
	v_dot2_f32_f16 v20, v4, v132, v20
	;;#ASMEND
	s_nop 0
	;;#ASMSTART
	v_dot2_f32_f16 v20, v5, v133, v20
	;;#ASMEND
	s_nop 0
	;;#ASMSTART
	v_dot2_f32_f16 v20, v6, v134, v20
	;;#ASMEND
	s_nop 0
	;;#ASMSTART
	v_dot2_f32_f16 v20, v7, v135, v20
	;;#ASMEND
	;;#ASMSTART
	v_dot2_f32_f16 v16, v4, v136, v16
	;;#ASMEND
	s_nop 0
	;;#ASMSTART
	v_dot2_f32_f16 v16, v5, v137, v16
	;;#ASMEND
	s_nop 0
	;;#ASMSTART
	v_dot2_f32_f16 v16, v6, v138, v16
	;;#ASMEND
	s_nop 0
	;;#ASMSTART
	v_dot2_f32_f16 v16, v7, v139, v16
	;;#ASMEND
	;;#ASMSTART
	v_dot2_f32_f16 v12, v4, v140, v12
	;;#ASMEND
	s_nop 0
	;;#ASMSTART
	v_dot2_f32_f16 v12, v5, v141, v12
	;;#ASMEND
	s_nop 0
	;;#ASMSTART
	v_dot2_f32_f16 v12, v6, v142, v12
	;;#ASMEND
	s_nop 0
	;;#ASMSTART
	v_dot2_f32_f16 v12, v7, v143, v12
	;;#ASMEND
	;;#ASMSTART
	v_dot2_f32_f16 v8, v4, v144, v8
	;;#ASMEND
	s_nop 0
	;;#ASMSTART
	v_dot2_f32_f16 v8, v5, v145, v8
	;;#ASMEND
	s_nop 0
	;;#ASMSTART
	v_dot2_f32_f16 v8, v6, v146, v8
	;;#ASMEND
	s_nop 0
	;;#ASMSTART
	v_dot2_f32_f16 v8, v7, v147, v8
	;;#ASMEND
	s_barrier
	global_load_dwordx4 v[0:3], v[54:55], off offset:64
	s_waitcnt vmcnt(0)
	ds_write_b128 v75, v[0:3]
	s_waitcnt lgkmcnt(0)
	s_barrier
	ds_read_b128 v[0:3], v76
	ds_read_b128 v[4:7], v76 offset:2560
	ds_read_b128 v[116:119], v68 offset:64
	;; [unrolled: 1-line block ×9, first 2 shown]
	s_waitcnt lgkmcnt(7)
	;;#ASMSTART
	v_dot2_f32_f16 v108, v0, v116, v108
	;;#ASMEND
	s_nop 0
	;;#ASMSTART
	v_dot2_f32_f16 v108, v1, v117, v108
	;;#ASMEND
	s_nop 0
	;;#ASMSTART
	v_dot2_f32_f16 v108, v2, v118, v108
	;;#ASMEND
	s_nop 0
	;;#ASMSTART
	v_dot2_f32_f16 v108, v3, v119, v108
	;;#ASMEND
	s_waitcnt lgkmcnt(6)
	;;#ASMSTART
	v_dot2_f32_f16 v113, v0, v120, v113
	;;#ASMEND
	s_nop 0
	;;#ASMSTART
	v_dot2_f32_f16 v113, v1, v121, v113
	;;#ASMEND
	s_nop 0
	;;#ASMSTART
	v_dot2_f32_f16 v113, v2, v122, v113
	;;#ASMEND
	s_nop 0
	;;#ASMSTART
	v_dot2_f32_f16 v113, v3, v123, v113
	;;#ASMEND
	;; [unrolled: 16-line block ×8, first 2 shown]
	;;#ASMSTART
	v_dot2_f32_f16 v36, v4, v116, v36
	;;#ASMEND
	s_nop 0
	;;#ASMSTART
	v_dot2_f32_f16 v36, v5, v117, v36
	;;#ASMEND
	s_nop 0
	;;#ASMSTART
	v_dot2_f32_f16 v36, v6, v118, v36
	;;#ASMEND
	s_nop 0
	;;#ASMSTART
	v_dot2_f32_f16 v36, v7, v119, v36
	;;#ASMEND
	;;#ASMSTART
	v_dot2_f32_f16 v32, v4, v120, v32
	;;#ASMEND
	s_nop 0
	;;#ASMSTART
	v_dot2_f32_f16 v32, v5, v121, v32
	;;#ASMEND
	s_nop 0
	;;#ASMSTART
	v_dot2_f32_f16 v32, v6, v122, v32
	;;#ASMEND
	s_nop 0
	;;#ASMSTART
	v_dot2_f32_f16 v32, v7, v123, v32
	;;#ASMEND
	;; [unrolled: 15-line block ×8, first 2 shown]
	ds_read_b128 v[0:3], v76 offset:16
	ds_read_b128 v[4:7], v76 offset:2576
	;; [unrolled: 1-line block ×10, first 2 shown]
	s_waitcnt lgkmcnt(7)
	;;#ASMSTART
	v_dot2_f32_f16 v108, v0, v116, v108
	;;#ASMEND
	s_nop 0
	;;#ASMSTART
	v_dot2_f32_f16 v108, v1, v117, v108
	;;#ASMEND
	s_nop 0
	;;#ASMSTART
	v_dot2_f32_f16 v108, v2, v118, v108
	;;#ASMEND
	s_nop 0
	;;#ASMSTART
	v_dot2_f32_f16 v108, v3, v119, v108
	;;#ASMEND
	s_waitcnt lgkmcnt(6)
	;;#ASMSTART
	v_dot2_f32_f16 v113, v0, v120, v113
	;;#ASMEND
	s_nop 0
	;;#ASMSTART
	v_dot2_f32_f16 v113, v1, v121, v113
	;;#ASMEND
	s_nop 0
	;;#ASMSTART
	v_dot2_f32_f16 v113, v2, v122, v113
	;;#ASMEND
	s_nop 0
	;;#ASMSTART
	v_dot2_f32_f16 v113, v3, v123, v113
	;;#ASMEND
	;; [unrolled: 16-line block ×8, first 2 shown]
	;;#ASMSTART
	v_dot2_f32_f16 v36, v4, v116, v36
	;;#ASMEND
	s_nop 0
	;;#ASMSTART
	v_dot2_f32_f16 v36, v5, v117, v36
	;;#ASMEND
	s_nop 0
	;;#ASMSTART
	v_dot2_f32_f16 v36, v6, v118, v36
	;;#ASMEND
	s_nop 0
	;;#ASMSTART
	v_dot2_f32_f16 v36, v7, v119, v36
	;;#ASMEND
	;;#ASMSTART
	v_dot2_f32_f16 v32, v4, v120, v32
	;;#ASMEND
	s_nop 0
	;;#ASMSTART
	v_dot2_f32_f16 v32, v5, v121, v32
	;;#ASMEND
	s_nop 0
	;;#ASMSTART
	v_dot2_f32_f16 v32, v6, v122, v32
	;;#ASMEND
	s_nop 0
	;;#ASMSTART
	v_dot2_f32_f16 v32, v7, v123, v32
	;;#ASMEND
	;; [unrolled: 15-line block ×8, first 2 shown]
	ds_read_b128 v[0:3], v76 offset:32
	ds_read_b128 v[4:7], v76 offset:2592
	;; [unrolled: 1-line block ×10, first 2 shown]
	s_waitcnt lgkmcnt(7)
	;;#ASMSTART
	v_dot2_f32_f16 v108, v0, v116, v108
	;;#ASMEND
	s_nop 0
	;;#ASMSTART
	v_dot2_f32_f16 v108, v1, v117, v108
	;;#ASMEND
	s_nop 0
	;;#ASMSTART
	v_dot2_f32_f16 v108, v2, v118, v108
	;;#ASMEND
	s_nop 0
	;;#ASMSTART
	v_dot2_f32_f16 v108, v3, v119, v108
	;;#ASMEND
	s_waitcnt lgkmcnt(6)
	;;#ASMSTART
	v_dot2_f32_f16 v113, v0, v120, v113
	;;#ASMEND
	s_nop 0
	;;#ASMSTART
	v_dot2_f32_f16 v113, v1, v121, v113
	;;#ASMEND
	s_nop 0
	;;#ASMSTART
	v_dot2_f32_f16 v113, v2, v122, v113
	;;#ASMEND
	s_nop 0
	;;#ASMSTART
	v_dot2_f32_f16 v113, v3, v123, v113
	;;#ASMEND
	;; [unrolled: 16-line block ×8, first 2 shown]
	;;#ASMSTART
	v_dot2_f32_f16 v36, v4, v116, v36
	;;#ASMEND
	s_nop 0
	;;#ASMSTART
	v_dot2_f32_f16 v36, v5, v117, v36
	;;#ASMEND
	s_nop 0
	;;#ASMSTART
	v_dot2_f32_f16 v36, v6, v118, v36
	;;#ASMEND
	s_nop 0
	;;#ASMSTART
	v_dot2_f32_f16 v36, v7, v119, v36
	;;#ASMEND
	;;#ASMSTART
	v_dot2_f32_f16 v32, v4, v120, v32
	;;#ASMEND
	s_nop 0
	;;#ASMSTART
	v_dot2_f32_f16 v32, v5, v121, v32
	;;#ASMEND
	s_nop 0
	;;#ASMSTART
	v_dot2_f32_f16 v32, v6, v122, v32
	;;#ASMEND
	s_nop 0
	;;#ASMSTART
	v_dot2_f32_f16 v32, v7, v123, v32
	;;#ASMEND
	;; [unrolled: 15-line block ×8, first 2 shown]
	ds_read_b128 v[0:3], v76 offset:48
	ds_read_b128 v[4:7], v76 offset:2608
	;; [unrolled: 1-line block ×10, first 2 shown]
	s_waitcnt lgkmcnt(7)
	;;#ASMSTART
	v_dot2_f32_f16 v108, v0, v116, v108
	;;#ASMEND
	s_nop 0
	;;#ASMSTART
	v_dot2_f32_f16 v108, v1, v117, v108
	;;#ASMEND
	s_nop 0
	;;#ASMSTART
	v_dot2_f32_f16 v108, v2, v118, v108
	;;#ASMEND
	s_nop 0
	;;#ASMSTART
	v_dot2_f32_f16 v108, v3, v119, v108
	;;#ASMEND
	s_waitcnt lgkmcnt(6)
	;;#ASMSTART
	v_dot2_f32_f16 v113, v0, v120, v113
	;;#ASMEND
	s_nop 0
	;;#ASMSTART
	v_dot2_f32_f16 v113, v1, v121, v113
	;;#ASMEND
	s_nop 0
	;;#ASMSTART
	v_dot2_f32_f16 v113, v2, v122, v113
	;;#ASMEND
	s_nop 0
	;;#ASMSTART
	v_dot2_f32_f16 v113, v3, v123, v113
	;;#ASMEND
	;; [unrolled: 16-line block ×8, first 2 shown]
	;;#ASMSTART
	v_dot2_f32_f16 v36, v4, v116, v36
	;;#ASMEND
	s_nop 0
	;;#ASMSTART
	v_dot2_f32_f16 v36, v5, v117, v36
	;;#ASMEND
	s_nop 0
	;;#ASMSTART
	v_dot2_f32_f16 v36, v6, v118, v36
	;;#ASMEND
	s_nop 0
	;;#ASMSTART
	v_dot2_f32_f16 v36, v7, v119, v36
	;;#ASMEND
	;;#ASMSTART
	v_dot2_f32_f16 v32, v4, v120, v32
	;;#ASMEND
	s_nop 0
	;;#ASMSTART
	v_dot2_f32_f16 v32, v5, v121, v32
	;;#ASMEND
	s_nop 0
	;;#ASMSTART
	v_dot2_f32_f16 v32, v6, v122, v32
	;;#ASMEND
	s_nop 0
	;;#ASMSTART
	v_dot2_f32_f16 v32, v7, v123, v32
	;;#ASMEND
	;; [unrolled: 15-line block ×8, first 2 shown]
	s_barrier
	global_load_dwordx4 v[0:3], v[54:55], off offset:128
	s_waitcnt vmcnt(0)
	ds_write_b128 v75, v[0:3]
	s_waitcnt lgkmcnt(0)
	s_barrier
	ds_read_b128 v[0:3], v76
	ds_read_b128 v[4:7], v76 offset:2560
	ds_read_b128 v[116:119], v68 offset:128
	;; [unrolled: 1-line block ×9, first 2 shown]
	s_waitcnt lgkmcnt(7)
	;;#ASMSTART
	v_dot2_f32_f16 v108, v0, v116, v108
	;;#ASMEND
	s_nop 0
	;;#ASMSTART
	v_dot2_f32_f16 v108, v1, v117, v108
	;;#ASMEND
	s_nop 0
	;;#ASMSTART
	v_dot2_f32_f16 v108, v2, v118, v108
	;;#ASMEND
	s_nop 0
	;;#ASMSTART
	v_dot2_f32_f16 v108, v3, v119, v108
	;;#ASMEND
	s_waitcnt lgkmcnt(6)
	;;#ASMSTART
	v_dot2_f32_f16 v113, v0, v120, v113
	;;#ASMEND
	s_nop 0
	;;#ASMSTART
	v_dot2_f32_f16 v113, v1, v121, v113
	;;#ASMEND
	s_nop 0
	;;#ASMSTART
	v_dot2_f32_f16 v113, v2, v122, v113
	;;#ASMEND
	s_nop 0
	;;#ASMSTART
	v_dot2_f32_f16 v113, v3, v123, v113
	;;#ASMEND
	s_waitcnt lgkmcnt(5)
	;;#ASMSTART
	v_dot2_f32_f16 v114, v0, v124, v114
	;;#ASMEND
	s_nop 0
	;;#ASMSTART
	v_dot2_f32_f16 v114, v1, v125, v114
	;;#ASMEND
	s_nop 0
	;;#ASMSTART
	v_dot2_f32_f16 v114, v2, v126, v114
	;;#ASMEND
	s_nop 0
	;;#ASMSTART
	v_dot2_f32_f16 v114, v3, v127, v114
	;;#ASMEND
	s_waitcnt lgkmcnt(4)
	;;#ASMSTART
	v_dot2_f32_f16 v115, v0, v128, v115
	;;#ASMEND
	s_nop 0
	;;#ASMSTART
	v_dot2_f32_f16 v115, v1, v129, v115
	;;#ASMEND
	s_nop 0
	;;#ASMSTART
	v_dot2_f32_f16 v115, v2, v130, v115
	;;#ASMEND
	s_nop 0
	;;#ASMSTART
	v_dot2_f32_f16 v115, v3, v131, v115
	;;#ASMEND
	s_waitcnt lgkmcnt(3)
	;;#ASMSTART
	v_dot2_f32_f16 v112, v0, v132, v112
	;;#ASMEND
	s_nop 0
	;;#ASMSTART
	v_dot2_f32_f16 v112, v1, v133, v112
	;;#ASMEND
	s_nop 0
	;;#ASMSTART
	v_dot2_f32_f16 v112, v2, v134, v112
	;;#ASMEND
	s_nop 0
	;;#ASMSTART
	v_dot2_f32_f16 v112, v3, v135, v112
	;;#ASMEND
	s_waitcnt lgkmcnt(2)
	;;#ASMSTART
	v_dot2_f32_f16 v110, v0, v136, v110
	;;#ASMEND
	s_nop 0
	;;#ASMSTART
	v_dot2_f32_f16 v110, v1, v137, v110
	;;#ASMEND
	s_nop 0
	;;#ASMSTART
	v_dot2_f32_f16 v110, v2, v138, v110
	;;#ASMEND
	s_nop 0
	;;#ASMSTART
	v_dot2_f32_f16 v110, v3, v139, v110
	;;#ASMEND
	s_waitcnt lgkmcnt(1)
	;;#ASMSTART
	v_dot2_f32_f16 v111, v0, v140, v111
	;;#ASMEND
	s_nop 0
	;;#ASMSTART
	v_dot2_f32_f16 v111, v1, v141, v111
	;;#ASMEND
	s_nop 0
	;;#ASMSTART
	v_dot2_f32_f16 v111, v2, v142, v111
	;;#ASMEND
	s_nop 0
	;;#ASMSTART
	v_dot2_f32_f16 v111, v3, v143, v111
	;;#ASMEND
	s_waitcnt lgkmcnt(0)
	;;#ASMSTART
	v_dot2_f32_f16 v109, v0, v144, v109
	;;#ASMEND
	s_nop 0
	;;#ASMSTART
	v_dot2_f32_f16 v109, v1, v145, v109
	;;#ASMEND
	s_nop 0
	;;#ASMSTART
	v_dot2_f32_f16 v109, v2, v146, v109
	;;#ASMEND
	s_nop 0
	;;#ASMSTART
	v_dot2_f32_f16 v109, v3, v147, v109
	;;#ASMEND
	;;#ASMSTART
	v_dot2_f32_f16 v36, v4, v116, v36
	;;#ASMEND
	s_nop 0
	;;#ASMSTART
	v_dot2_f32_f16 v36, v5, v117, v36
	;;#ASMEND
	s_nop 0
	;;#ASMSTART
	v_dot2_f32_f16 v36, v6, v118, v36
	;;#ASMEND
	s_nop 0
	;;#ASMSTART
	v_dot2_f32_f16 v36, v7, v119, v36
	;;#ASMEND
	;;#ASMSTART
	v_dot2_f32_f16 v32, v4, v120, v32
	;;#ASMEND
	s_nop 0
	;;#ASMSTART
	v_dot2_f32_f16 v32, v5, v121, v32
	;;#ASMEND
	s_nop 0
	;;#ASMSTART
	v_dot2_f32_f16 v32, v6, v122, v32
	;;#ASMEND
	s_nop 0
	;;#ASMSTART
	v_dot2_f32_f16 v32, v7, v123, v32
	;;#ASMEND
	;; [unrolled: 15-line block ×8, first 2 shown]
	ds_read_b128 v[0:3], v76 offset:16
	ds_read_b128 v[4:7], v76 offset:2576
	;; [unrolled: 1-line block ×10, first 2 shown]
	s_waitcnt lgkmcnt(7)
	;;#ASMSTART
	v_dot2_f32_f16 v108, v0, v116, v108
	;;#ASMEND
	s_nop 0
	;;#ASMSTART
	v_dot2_f32_f16 v108, v1, v117, v108
	;;#ASMEND
	s_nop 0
	;;#ASMSTART
	v_dot2_f32_f16 v108, v2, v118, v108
	;;#ASMEND
	s_nop 0
	;;#ASMSTART
	v_dot2_f32_f16 v108, v3, v119, v108
	;;#ASMEND
	s_waitcnt lgkmcnt(6)
	;;#ASMSTART
	v_dot2_f32_f16 v113, v0, v120, v113
	;;#ASMEND
	s_nop 0
	;;#ASMSTART
	v_dot2_f32_f16 v113, v1, v121, v113
	;;#ASMEND
	s_nop 0
	;;#ASMSTART
	v_dot2_f32_f16 v113, v2, v122, v113
	;;#ASMEND
	s_nop 0
	;;#ASMSTART
	v_dot2_f32_f16 v113, v3, v123, v113
	;;#ASMEND
	;; [unrolled: 16-line block ×8, first 2 shown]
	;;#ASMSTART
	v_dot2_f32_f16 v36, v4, v116, v36
	;;#ASMEND
	s_nop 0
	;;#ASMSTART
	v_dot2_f32_f16 v36, v5, v117, v36
	;;#ASMEND
	s_nop 0
	;;#ASMSTART
	v_dot2_f32_f16 v36, v6, v118, v36
	;;#ASMEND
	s_nop 0
	;;#ASMSTART
	v_dot2_f32_f16 v36, v7, v119, v36
	;;#ASMEND
	;;#ASMSTART
	v_dot2_f32_f16 v32, v4, v120, v32
	;;#ASMEND
	s_nop 0
	;;#ASMSTART
	v_dot2_f32_f16 v32, v5, v121, v32
	;;#ASMEND
	s_nop 0
	;;#ASMSTART
	v_dot2_f32_f16 v32, v6, v122, v32
	;;#ASMEND
	s_nop 0
	;;#ASMSTART
	v_dot2_f32_f16 v32, v7, v123, v32
	;;#ASMEND
	;; [unrolled: 15-line block ×8, first 2 shown]
	ds_read_b128 v[0:3], v76 offset:32
	ds_read_b128 v[4:7], v76 offset:2592
	;; [unrolled: 1-line block ×10, first 2 shown]
	s_waitcnt lgkmcnt(7)
	;;#ASMSTART
	v_dot2_f32_f16 v108, v0, v116, v108
	;;#ASMEND
	s_nop 0
	;;#ASMSTART
	v_dot2_f32_f16 v108, v1, v117, v108
	;;#ASMEND
	s_nop 0
	;;#ASMSTART
	v_dot2_f32_f16 v108, v2, v118, v108
	;;#ASMEND
	s_nop 0
	;;#ASMSTART
	v_dot2_f32_f16 v108, v3, v119, v108
	;;#ASMEND
	s_waitcnt lgkmcnt(6)
	;;#ASMSTART
	v_dot2_f32_f16 v113, v0, v120, v113
	;;#ASMEND
	s_nop 0
	;;#ASMSTART
	v_dot2_f32_f16 v113, v1, v121, v113
	;;#ASMEND
	s_nop 0
	;;#ASMSTART
	v_dot2_f32_f16 v113, v2, v122, v113
	;;#ASMEND
	s_nop 0
	;;#ASMSTART
	v_dot2_f32_f16 v113, v3, v123, v113
	;;#ASMEND
	;; [unrolled: 16-line block ×8, first 2 shown]
	;;#ASMSTART
	v_dot2_f32_f16 v36, v4, v116, v36
	;;#ASMEND
	s_nop 0
	;;#ASMSTART
	v_dot2_f32_f16 v36, v5, v117, v36
	;;#ASMEND
	s_nop 0
	;;#ASMSTART
	v_dot2_f32_f16 v36, v6, v118, v36
	;;#ASMEND
	s_nop 0
	;;#ASMSTART
	v_dot2_f32_f16 v36, v7, v119, v36
	;;#ASMEND
	;;#ASMSTART
	v_dot2_f32_f16 v32, v4, v120, v32
	;;#ASMEND
	s_nop 0
	;;#ASMSTART
	v_dot2_f32_f16 v32, v5, v121, v32
	;;#ASMEND
	s_nop 0
	;;#ASMSTART
	v_dot2_f32_f16 v32, v6, v122, v32
	;;#ASMEND
	s_nop 0
	;;#ASMSTART
	v_dot2_f32_f16 v32, v7, v123, v32
	;;#ASMEND
	;; [unrolled: 15-line block ×8, first 2 shown]
	ds_read_b128 v[0:3], v76 offset:48
	ds_read_b128 v[4:7], v76 offset:2608
	;; [unrolled: 1-line block ×10, first 2 shown]
	s_waitcnt lgkmcnt(7)
	;;#ASMSTART
	v_dot2_f32_f16 v108, v0, v116, v108
	;;#ASMEND
	s_nop 0
	;;#ASMSTART
	v_dot2_f32_f16 v108, v1, v117, v108
	;;#ASMEND
	s_nop 0
	;;#ASMSTART
	v_dot2_f32_f16 v108, v2, v118, v108
	;;#ASMEND
	s_nop 0
	;;#ASMSTART
	v_dot2_f32_f16 v108, v3, v119, v108
	;;#ASMEND
	s_waitcnt lgkmcnt(6)
	;;#ASMSTART
	v_dot2_f32_f16 v113, v0, v120, v113
	;;#ASMEND
	s_nop 0
	;;#ASMSTART
	v_dot2_f32_f16 v113, v1, v121, v113
	;;#ASMEND
	s_nop 0
	;;#ASMSTART
	v_dot2_f32_f16 v113, v2, v122, v113
	;;#ASMEND
	s_nop 0
	;;#ASMSTART
	v_dot2_f32_f16 v113, v3, v123, v113
	;;#ASMEND
	;; [unrolled: 16-line block ×8, first 2 shown]
	;;#ASMSTART
	v_dot2_f32_f16 v36, v4, v116, v36
	;;#ASMEND
	s_nop 0
	;;#ASMSTART
	v_dot2_f32_f16 v36, v5, v117, v36
	;;#ASMEND
	s_nop 0
	;;#ASMSTART
	v_dot2_f32_f16 v36, v6, v118, v36
	;;#ASMEND
	s_nop 0
	;;#ASMSTART
	v_dot2_f32_f16 v36, v7, v119, v36
	;;#ASMEND
	;;#ASMSTART
	v_dot2_f32_f16 v32, v4, v120, v32
	;;#ASMEND
	s_nop 0
	;;#ASMSTART
	v_dot2_f32_f16 v32, v5, v121, v32
	;;#ASMEND
	s_nop 0
	;;#ASMSTART
	v_dot2_f32_f16 v32, v6, v122, v32
	;;#ASMEND
	s_nop 0
	;;#ASMSTART
	v_dot2_f32_f16 v32, v7, v123, v32
	;;#ASMEND
	;; [unrolled: 15-line block ×8, first 2 shown]
	s_barrier
	global_load_dwordx4 v[0:3], v[54:55], off offset:192
	s_waitcnt vmcnt(0)
	ds_write_b128 v75, v[0:3]
	s_waitcnt lgkmcnt(0)
	s_barrier
	ds_read_b128 v[0:3], v76
	ds_read_b128 v[4:7], v76 offset:2560
	ds_read_b128 v[116:119], v68 offset:192
	;; [unrolled: 1-line block ×9, first 2 shown]
	s_waitcnt lgkmcnt(7)
	;;#ASMSTART
	v_dot2_f32_f16 v108, v0, v116, v108
	;;#ASMEND
	s_nop 0
	;;#ASMSTART
	v_dot2_f32_f16 v108, v1, v117, v108
	;;#ASMEND
	s_nop 0
	;;#ASMSTART
	v_dot2_f32_f16 v108, v2, v118, v108
	;;#ASMEND
	s_nop 0
	;;#ASMSTART
	v_dot2_f32_f16 v108, v3, v119, v108
	;;#ASMEND
	s_waitcnt lgkmcnt(6)
	;;#ASMSTART
	v_dot2_f32_f16 v113, v0, v120, v113
	;;#ASMEND
	s_nop 0
	;;#ASMSTART
	v_dot2_f32_f16 v113, v1, v121, v113
	;;#ASMEND
	s_nop 0
	;;#ASMSTART
	v_dot2_f32_f16 v113, v2, v122, v113
	;;#ASMEND
	s_nop 0
	;;#ASMSTART
	v_dot2_f32_f16 v113, v3, v123, v113
	;;#ASMEND
	;; [unrolled: 16-line block ×8, first 2 shown]
	;;#ASMSTART
	v_dot2_f32_f16 v36, v4, v116, v36
	;;#ASMEND
	s_nop 0
	;;#ASMSTART
	v_dot2_f32_f16 v36, v5, v117, v36
	;;#ASMEND
	s_nop 0
	;;#ASMSTART
	v_dot2_f32_f16 v36, v6, v118, v36
	;;#ASMEND
	s_nop 0
	;;#ASMSTART
	v_dot2_f32_f16 v36, v7, v119, v36
	;;#ASMEND
	;;#ASMSTART
	v_dot2_f32_f16 v32, v4, v120, v32
	;;#ASMEND
	s_nop 0
	;;#ASMSTART
	v_dot2_f32_f16 v32, v5, v121, v32
	;;#ASMEND
	s_nop 0
	;;#ASMSTART
	v_dot2_f32_f16 v32, v6, v122, v32
	;;#ASMEND
	s_nop 0
	;;#ASMSTART
	v_dot2_f32_f16 v32, v7, v123, v32
	;;#ASMEND
	;; [unrolled: 15-line block ×8, first 2 shown]
	ds_read_b128 v[0:3], v76 offset:16
	ds_read_b128 v[4:7], v76 offset:2576
	ds_read_b128 v[116:119], v68 offset:208
	ds_read_b128 v[120:123], v68 offset:464
	ds_read_b128 v[124:127], v68 offset:720
	ds_read_b128 v[128:131], v68 offset:976
	ds_read_b128 v[132:135], v68 offset:1232
	ds_read_b128 v[136:139], v68 offset:1488
	ds_read_b128 v[140:143], v68 offset:1744
	ds_read_b128 v[144:147], v68 offset:2000
	s_waitcnt lgkmcnt(7)
	;;#ASMSTART
	v_dot2_f32_f16 v108, v0, v116, v108
	;;#ASMEND
	s_nop 0
	;;#ASMSTART
	v_dot2_f32_f16 v108, v1, v117, v108
	;;#ASMEND
	s_nop 0
	;;#ASMSTART
	v_dot2_f32_f16 v108, v2, v118, v108
	;;#ASMEND
	s_nop 0
	;;#ASMSTART
	v_dot2_f32_f16 v108, v3, v119, v108
	;;#ASMEND
	s_waitcnt lgkmcnt(6)
	;;#ASMSTART
	v_dot2_f32_f16 v113, v0, v120, v113
	;;#ASMEND
	s_nop 0
	;;#ASMSTART
	v_dot2_f32_f16 v113, v1, v121, v113
	;;#ASMEND
	s_nop 0
	;;#ASMSTART
	v_dot2_f32_f16 v113, v2, v122, v113
	;;#ASMEND
	s_nop 0
	;;#ASMSTART
	v_dot2_f32_f16 v113, v3, v123, v113
	;;#ASMEND
	;; [unrolled: 16-line block ×8, first 2 shown]
	;;#ASMSTART
	v_dot2_f32_f16 v36, v4, v116, v36
	;;#ASMEND
	s_nop 0
	;;#ASMSTART
	v_dot2_f32_f16 v36, v5, v117, v36
	;;#ASMEND
	s_nop 0
	;;#ASMSTART
	v_dot2_f32_f16 v36, v6, v118, v36
	;;#ASMEND
	s_nop 0
	;;#ASMSTART
	v_dot2_f32_f16 v36, v7, v119, v36
	;;#ASMEND
	;;#ASMSTART
	v_dot2_f32_f16 v32, v4, v120, v32
	;;#ASMEND
	s_nop 0
	;;#ASMSTART
	v_dot2_f32_f16 v32, v5, v121, v32
	;;#ASMEND
	s_nop 0
	;;#ASMSTART
	v_dot2_f32_f16 v32, v6, v122, v32
	;;#ASMEND
	s_nop 0
	;;#ASMSTART
	v_dot2_f32_f16 v32, v7, v123, v32
	;;#ASMEND
	;; [unrolled: 15-line block ×8, first 2 shown]
	ds_read_b128 v[0:3], v76 offset:32
	ds_read_b128 v[4:7], v76 offset:2592
	;; [unrolled: 1-line block ×10, first 2 shown]
	s_waitcnt lgkmcnt(7)
	;;#ASMSTART
	v_dot2_f32_f16 v108, v0, v116, v108
	;;#ASMEND
	s_nop 0
	;;#ASMSTART
	v_dot2_f32_f16 v108, v1, v117, v108
	;;#ASMEND
	s_nop 0
	;;#ASMSTART
	v_dot2_f32_f16 v108, v2, v118, v108
	;;#ASMEND
	s_nop 0
	;;#ASMSTART
	v_dot2_f32_f16 v108, v3, v119, v108
	;;#ASMEND
	s_waitcnt lgkmcnt(6)
	;;#ASMSTART
	v_dot2_f32_f16 v113, v0, v120, v113
	;;#ASMEND
	s_nop 0
	;;#ASMSTART
	v_dot2_f32_f16 v113, v1, v121, v113
	;;#ASMEND
	s_nop 0
	;;#ASMSTART
	v_dot2_f32_f16 v113, v2, v122, v113
	;;#ASMEND
	s_nop 0
	;;#ASMSTART
	v_dot2_f32_f16 v113, v3, v123, v113
	;;#ASMEND
	;; [unrolled: 16-line block ×8, first 2 shown]
	;;#ASMSTART
	v_dot2_f32_f16 v36, v4, v116, v36
	;;#ASMEND
	s_nop 0
	;;#ASMSTART
	v_dot2_f32_f16 v36, v5, v117, v36
	;;#ASMEND
	s_nop 0
	;;#ASMSTART
	v_dot2_f32_f16 v36, v6, v118, v36
	;;#ASMEND
	s_nop 0
	;;#ASMSTART
	v_dot2_f32_f16 v36, v7, v119, v36
	;;#ASMEND
	;;#ASMSTART
	v_dot2_f32_f16 v32, v4, v120, v32
	;;#ASMEND
	s_nop 0
	;;#ASMSTART
	v_dot2_f32_f16 v32, v5, v121, v32
	;;#ASMEND
	s_nop 0
	;;#ASMSTART
	v_dot2_f32_f16 v32, v6, v122, v32
	;;#ASMEND
	s_nop 0
	;;#ASMSTART
	v_dot2_f32_f16 v32, v7, v123, v32
	;;#ASMEND
	;; [unrolled: 15-line block ×8, first 2 shown]
	ds_read_b128 v[0:3], v76 offset:48
	ds_read_b128 v[4:7], v76 offset:2608
	;; [unrolled: 1-line block ×10, first 2 shown]
	s_waitcnt lgkmcnt(7)
	;;#ASMSTART
	v_dot2_f32_f16 v108, v0, v116, v108
	;;#ASMEND
	s_nop 0
	;;#ASMSTART
	v_dot2_f32_f16 v108, v1, v117, v108
	;;#ASMEND
	s_nop 0
	;;#ASMSTART
	v_dot2_f32_f16 v108, v2, v118, v108
	;;#ASMEND
	s_nop 0
	;;#ASMSTART
	v_dot2_f32_f16 v108, v3, v119, v108
	;;#ASMEND
	s_waitcnt lgkmcnt(6)
	;;#ASMSTART
	v_dot2_f32_f16 v113, v0, v120, v113
	;;#ASMEND
	s_nop 0
	;;#ASMSTART
	v_dot2_f32_f16 v113, v1, v121, v113
	;;#ASMEND
	s_nop 0
	;;#ASMSTART
	v_dot2_f32_f16 v113, v2, v122, v113
	;;#ASMEND
	s_nop 0
	;;#ASMSTART
	v_dot2_f32_f16 v113, v3, v123, v113
	;;#ASMEND
	;; [unrolled: 16-line block ×7, first 2 shown]
	s_waitcnt lgkmcnt(0)
	;;#ASMSTART
	v_dot2_f32_f16 v109, v0, v144, v109
	;;#ASMEND
	v_cndmask_b32_e32 v0, v52, v73, vcc
	;;#ASMSTART
	v_dot2_f32_f16 v109, v1, v145, v109
	;;#ASMEND
	v_cmp_lt_i32_e32 vcc, v74, v69
	;;#ASMSTART
	v_dot2_f32_f16 v109, v2, v146, v109
	;;#ASMEND
	s_nop 0
	;;#ASMSTART
	v_dot2_f32_f16 v109, v3, v147, v109
	;;#ASMEND
	;;#ASMSTART
	v_dot2_f32_f16 v36, v4, v116, v36
	;;#ASMEND
	s_nop 0
	;;#ASMSTART
	v_dot2_f32_f16 v36, v5, v117, v36
	;;#ASMEND
	s_nop 0
	;;#ASMSTART
	v_dot2_f32_f16 v36, v6, v118, v36
	;;#ASMEND
	s_nop 0
	;;#ASMSTART
	v_dot2_f32_f16 v36, v7, v119, v36
	;;#ASMEND
	;;#ASMSTART
	v_dot2_f32_f16 v32, v4, v120, v32
	;;#ASMEND
	s_nop 0
	;;#ASMSTART
	v_dot2_f32_f16 v32, v5, v121, v32
	;;#ASMEND
	s_nop 0
	;;#ASMSTART
	v_dot2_f32_f16 v32, v6, v122, v32
	;;#ASMEND
	s_nop 0
	;;#ASMSTART
	v_dot2_f32_f16 v32, v7, v123, v32
	;;#ASMEND
	;;#ASMSTART
	v_dot2_f32_f16 v28, v4, v124, v28
	;;#ASMEND
	s_nop 0
	;;#ASMSTART
	v_dot2_f32_f16 v28, v5, v125, v28
	;;#ASMEND
	s_nop 0
	;;#ASMSTART
	v_dot2_f32_f16 v28, v6, v126, v28
	;;#ASMEND
	s_nop 0
	;;#ASMSTART
	v_dot2_f32_f16 v28, v7, v127, v28
	;;#ASMEND
	;;#ASMSTART
	v_dot2_f32_f16 v24, v4, v128, v24
	;;#ASMEND
	s_nop 0
	;;#ASMSTART
	v_dot2_f32_f16 v24, v5, v129, v24
	;;#ASMEND
	s_nop 0
	;;#ASMSTART
	v_dot2_f32_f16 v24, v6, v130, v24
	;;#ASMEND
	s_nop 0
	;;#ASMSTART
	v_dot2_f32_f16 v24, v7, v131, v24
	;;#ASMEND
	;;#ASMSTART
	v_dot2_f32_f16 v20, v4, v132, v20
	;;#ASMEND
	s_nop 0
	;;#ASMSTART
	v_dot2_f32_f16 v20, v5, v133, v20
	;;#ASMEND
	s_nop 0
	;;#ASMSTART
	v_dot2_f32_f16 v20, v6, v134, v20
	;;#ASMEND
	s_nop 0
	;;#ASMSTART
	v_dot2_f32_f16 v20, v7, v135, v20
	;;#ASMEND
	;;#ASMSTART
	v_dot2_f32_f16 v16, v4, v136, v16
	;;#ASMEND
	s_nop 0
	;;#ASMSTART
	v_dot2_f32_f16 v16, v5, v137, v16
	;;#ASMEND
	s_nop 0
	;;#ASMSTART
	v_dot2_f32_f16 v16, v6, v138, v16
	;;#ASMEND
	s_nop 0
	;;#ASMSTART
	v_dot2_f32_f16 v16, v7, v139, v16
	;;#ASMEND
	;;#ASMSTART
	v_dot2_f32_f16 v12, v4, v140, v12
	;;#ASMEND
	s_nop 0
	;;#ASMSTART
	v_dot2_f32_f16 v12, v5, v141, v12
	;;#ASMEND
	s_nop 0
	;;#ASMSTART
	v_dot2_f32_f16 v12, v6, v142, v12
	;;#ASMEND
	s_nop 0
	;;#ASMSTART
	v_dot2_f32_f16 v12, v7, v143, v12
	;;#ASMEND
	;;#ASMSTART
	v_dot2_f32_f16 v8, v4, v144, v8
	;;#ASMEND
	v_add_u32_e32 v4, s2, v66
	;;#ASMSTART
	v_dot2_f32_f16 v8, v5, v145, v8
	;;#ASMEND
	s_nop 0
	;;#ASMSTART
	v_dot2_f32_f16 v8, v6, v146, v8
	;;#ASMEND
	s_nop 0
	;;#ASMSTART
	v_dot2_f32_f16 v8, v7, v147, v8
	;;#ASMEND
	v_lshlrev_b32_e32 v7, 2, v0
	v_cndmask_b32_e32 v0, v52, v74, vcc
	v_cmp_lt_i32_e32 vcc, v72, v69
	v_lshlrev_b32_e32 v9, 2, v0
	s_nop 0
	v_cndmask_b32_e32 v0, v52, v72, vcc
	v_cmp_lt_i32_e32 vcc, v71, v69
	v_lshlrev_b32_e32 v10, 2, v0
	s_nop 0
	;; [unrolled: 4-line block ×3, first 2 shown]
	v_cndmask_b32_e32 v0, v52, v70, vcc
	v_lshlrev_b32_e32 v13, 2, v0
	v_add_u32_e32 v0, v4, v77
	v_ashrrev_i32_e32 v1, 31, v0
	v_lshl_add_u64 v[0:1], v[0:1], 1, s[34:35]
	global_load_ushort v2, v[0:1], off
	v_add_u32_e32 v4, v4, v78
	global_load_ushort v0, v[0:1], off offset:64
	s_waitcnt vmcnt(1)
	v_cvt_f32_f16_e32 v3, v2
	s_waitcnt vmcnt(0)
	v_cvt_f32_f16_e32 v5, v0
	v_add_f32_e32 v14, v108, v3
	v_add_f32_e32 v2, 0x40051340, v14
	;; [unrolled: 1-line block ×4, first 2 shown]
	v_max3_f32 v0, v107, v2, v0
	ds_bpermute_b32 v1, v7, v0
	v_add_f32_e32 v17, v113, v3
	v_add_f32_e32 v21, v32, v5
	;; [unrolled: 1-line block ×4, first 2 shown]
	s_waitcnt lgkmcnt(0)
	v_max_f32_e32 v1, v1, v1
	v_max_f32_e32 v0, v0, v1
	ds_bpermute_b32 v1, v9, v0
	v_add_f32_e32 v24, v24, v5
	v_add_f32_e32 v22, v114, v3
	;; [unrolled: 1-line block ×4, first 2 shown]
	s_waitcnt lgkmcnt(0)
	v_max_f32_e32 v1, v1, v1
	v_max_f32_e32 v0, v0, v1
	ds_bpermute_b32 v1, v10, v0
	v_add_f32_e32 v5, 0x40051340, v24
	v_max3_f32 v3, v104, v3, v5
	v_add_f32_e32 v6, 0x40051340, v23
	ds_bpermute_b32 v5, v7, v3
	s_waitcnt lgkmcnt(1)
	v_max_f32_e32 v1, v1, v1
	v_max_f32_e32 v0, v0, v1
	ds_bpermute_b32 v1, v11, v0
	s_waitcnt lgkmcnt(1)
	v_max_f32_e32 v5, v5, v5
	v_max_f32_e32 v3, v3, v5
	;; [unrolled: 4-line block ×5, first 2 shown]
	v_add_f32_e32 v1, 0x40051340, v17
	v_max3_f32 v1, v106, v1, v2
	ds_bpermute_b32 v2, v7, v1
	s_waitcnt lgkmcnt(1)
	v_max_f32_e32 v5, v5, v5
	v_max_f32_e32 v3, v3, v5
	ds_bpermute_b32 v5, v11, v3
	s_waitcnt lgkmcnt(1)
	v_max_f32_e32 v2, v2, v2
	v_max_f32_e32 v1, v1, v2
	;; [unrolled: 4-line block ×5, first 2 shown]
	v_ashrrev_i32_e32 v5, 31, v4
	v_lshl_add_u64 v[4:5], v[4:5], 1, s[34:35]
	s_waitcnt lgkmcnt(0)
	v_max_f32_e32 v2, v2, v2
	v_max_f32_e32 v1, v1, v2
	ds_bpermute_b32 v2, v11, v1
	v_sub_f32_e32 v33, v104, v3
	s_waitcnt lgkmcnt(0)
	v_max_f32_e32 v2, v2, v2
	v_max_f32_e32 v1, v1, v2
	ds_bpermute_b32 v2, v13, v1
	s_waitcnt lgkmcnt(0)
	v_max_f32_e32 v2, v2, v2
	v_max_f32_e32 v1, v1, v2
	v_add_f32_e32 v2, 0x40051340, v22
	v_max3_f32 v2, v105, v2, v6
	ds_bpermute_b32 v6, v7, v2
	s_waitcnt lgkmcnt(0)
	v_max_f32_e32 v6, v6, v6
	v_max_f32_e32 v2, v2, v6
	ds_bpermute_b32 v6, v9, v2
	s_waitcnt lgkmcnt(0)
	v_max_f32_e32 v6, v6, v6
	v_max_f32_e32 v2, v2, v6
	;; [unrolled: 4-line block ×5, first 2 shown]
	global_load_ushort v6, v[4:5], off
	s_waitcnt vmcnt(0)
	v_cvt_f32_f16_e32 v18, v6
	global_load_ushort v4, v[4:5], off offset:64
	s_barrier
	v_add_f32_e32 v26, v112, v18
	v_add_f32_e32 v6, 0x40051340, v26
	;; [unrolled: 1-line block ×5, first 2 shown]
	s_waitcnt vmcnt(0)
	v_cvt_f32_f16_e32 v19, v4
	v_add_f32_e32 v27, v20, v19
	v_add_f32_e32 v4, 0x40051340, v27
	v_max3_f32 v4, v103, v6, v4
	ds_bpermute_b32 v5, v7, v4
	v_add_f32_e32 v29, v16, v19
	v_add_f32_e32 v6, 0x40051340, v29
	;; [unrolled: 1-line block ×4, first 2 shown]
	s_waitcnt lgkmcnt(0)
	v_max_f32_e32 v5, v5, v5
	v_max_f32_e32 v4, v4, v5
	ds_bpermute_b32 v5, v9, v4
	v_add_f32_e32 v108, v8, v19
	v_add_f32_e32 v8, 0x40051340, v108
	s_waitcnt lgkmcnt(0)
	v_max_f32_e32 v5, v5, v5
	v_max_f32_e32 v4, v4, v5
	ds_bpermute_b32 v5, v10, v4
	s_waitcnt lgkmcnt(0)
	v_max_f32_e32 v5, v5, v5
	v_max_f32_e32 v4, v4, v5
	ds_bpermute_b32 v5, v11, v4
	;; [unrolled: 4-line block ×3, first 2 shown]
	s_waitcnt lgkmcnt(0)
	v_max_f32_e32 v5, v5, v5
	v_max_f32_e32 v4, v4, v5
	v_add_f32_e32 v5, 0x40051340, v28
	v_max3_f32 v5, v102, v5, v6
	ds_bpermute_b32 v6, v7, v5
	v_sub_f32_e32 v26, v26, v4
	v_mul_f32_e32 v35, 0x3fb8aa3b, v26
	v_fma_f32 v36, v26, s8, -v35
	v_rndne_f32_e32 v37, v35
	s_waitcnt lgkmcnt(0)
	v_max_f32_e32 v6, v6, v6
	v_max_f32_e32 v5, v5, v6
	ds_bpermute_b32 v6, v9, v5
	v_fmac_f32_e32 v36, 0x32a5705f, v26
	v_sub_f32_e32 v35, v35, v37
	v_add_f32_e32 v35, v35, v36
	v_exp_f32_e32 v35, v35
	s_waitcnt lgkmcnt(0)
	v_max_f32_e32 v6, v6, v6
	v_max_f32_e32 v5, v5, v6
	ds_bpermute_b32 v6, v10, v5
	v_cvt_i32_f32_e32 v36, v37
	s_waitcnt lgkmcnt(0)
	v_max_f32_e32 v6, v6, v6
	v_max_f32_e32 v5, v5, v6
	ds_bpermute_b32 v6, v11, v5
	v_ldexp_f32 v35, v35, v36
	s_waitcnt lgkmcnt(0)
	v_max_f32_e32 v6, v6, v6
	v_max_f32_e32 v5, v5, v6
	ds_bpermute_b32 v6, v13, v5
	s_waitcnt lgkmcnt(0)
	v_max_f32_e32 v6, v6, v6
	v_max_f32_e32 v5, v5, v6
	v_add_f32_e32 v6, 0x40051340, v30
	v_max3_f32 v6, v101, v6, v12
	ds_bpermute_b32 v12, v7, v6
	v_sub_f32_e32 v28, v28, v5
	s_waitcnt lgkmcnt(0)
	v_max_f32_e32 v12, v12, v12
	v_max_f32_e32 v6, v6, v12
	ds_bpermute_b32 v12, v9, v6
	s_waitcnt lgkmcnt(0)
	v_max_f32_e32 v12, v12, v12
	v_max_f32_e32 v6, v6, v12
	ds_bpermute_b32 v12, v10, v6
	s_waitcnt lgkmcnt(0)
	v_max_f32_e32 v12, v12, v12
	v_max_f32_e32 v6, v6, v12
	ds_bpermute_b32 v12, v11, v6
	s_waitcnt lgkmcnt(0)
	v_max_f32_e32 v12, v12, v12
	v_max_f32_e32 v6, v6, v12
	ds_bpermute_b32 v12, v13, v6
	s_waitcnt lgkmcnt(0)
	v_max_f32_e32 v12, v12, v12
	v_max_f32_e32 v6, v6, v12
	v_add_f32_e32 v12, 0x40051340, v55
	v_max3_f32 v8, v100, v12, v8
	ds_bpermute_b32 v7, v7, v8
	v_sub_f32_e32 v30, v30, v6
	s_waitcnt lgkmcnt(0)
	v_max_f32_e32 v7, v7, v7
	v_max_f32_e32 v7, v8, v7
	ds_bpermute_b32 v8, v9, v7
	v_sub_f32_e32 v9, v107, v0
	s_waitcnt lgkmcnt(0)
	v_max_f32_e32 v8, v8, v8
	v_max_f32_e32 v7, v7, v8
	ds_bpermute_b32 v8, v10, v7
	s_waitcnt lgkmcnt(0)
	v_max_f32_e32 v8, v8, v8
	v_max_f32_e32 v7, v7, v8
	ds_bpermute_b32 v8, v11, v7
	;; [unrolled: 4-line block ×3, first 2 shown]
	s_waitcnt lgkmcnt(0)
	v_max_f32_e32 v8, v8, v8
	v_max_f32_e32 v7, v7, v8
	v_sub_f32_e32 v8, v14, v0
	v_mul_f32_e32 v10, 0x3fb8aa3b, v8
	v_fma_f32 v11, v8, s8, -v10
	v_rndne_f32_e32 v12, v10
	v_fmac_f32_e32 v11, 0x32a5705f, v8
	v_sub_f32_e32 v10, v10, v12
	v_add_f32_e32 v10, v10, v11
	v_exp_f32_e32 v10, v10
	v_cvt_i32_f32_e32 v11, v12
	v_cmp_ngt_f32_e32 vcc, s9, v8
	v_sub_f32_e32 v55, v55, v7
	v_ldexp_f32 v10, v10, v11
	v_cndmask_b32_e32 v10, 0, v10, vcc
	v_cmp_nlt_f32_e32 vcc, s14, v8
	s_nop 1
	v_cndmask_b32_e32 v8, v82, v10, vcc
	v_sub_f32_e32 v10, v15, v0
	v_mul_f32_e32 v11, 0x3fb8aa3b, v10
	v_fma_f32 v12, v10, s8, -v11
	v_rndne_f32_e32 v13, v11
	v_fmac_f32_e32 v12, 0x32a5705f, v10
	v_sub_f32_e32 v11, v11, v13
	v_add_f32_e32 v11, v11, v12
	v_exp_f32_e32 v11, v11
	v_cvt_i32_f32_e32 v12, v13
	v_cmp_ngt_f32_e32 vcc, s9, v10
	v_ldexp_f32 v11, v11, v12
	s_nop 0
	v_cndmask_b32_e32 v11, 0, v11, vcc
	v_cmp_nlt_f32_e32 vcc, s14, v10
	s_nop 1
	v_cndmask_b32_e32 v10, v82, v11, vcc
	v_mul_f32_e32 v11, 0x3fb8aa3b, v9
	v_fma_f32 v12, v9, s8, -v11
	v_rndne_f32_e32 v13, v11
	v_fmac_f32_e32 v12, 0x32a5705f, v9
	v_sub_f32_e32 v11, v11, v13
	v_add_f32_e32 v11, v11, v12
	v_exp_f32_e32 v11, v11
	v_cvt_i32_f32_e32 v12, v13
	v_cmp_ngt_f32_e32 vcc, s9, v9
	v_sub_f32_e32 v13, v106, v1
	v_ldexp_f32 v11, v11, v12
	v_cndmask_b32_e32 v11, 0, v11, vcc
	v_cmp_nlt_f32_e32 vcc, s14, v9
	s_nop 1
	v_cndmask_b32_e32 v12, v82, v11, vcc
	v_cvt_f16_f32_e32 v9, v12
	v_mul_u32_u24_e32 v9, 0x10001, v9
	v_pk_mul_f16 v19, v98, v9
	v_pk_mul_f16 v18, v99, v9
	v_sub_f32_e32 v9, v17, v1
	v_mul_f32_e32 v11, 0x3fb8aa3b, v9
	v_fma_f32 v14, v9, s8, -v11
	v_rndne_f32_e32 v15, v11
	v_fmac_f32_e32 v14, 0x32a5705f, v9
	v_sub_f32_e32 v11, v11, v15
	v_add_f32_e32 v11, v11, v14
	v_exp_f32_e32 v11, v11
	v_cvt_i32_f32_e32 v14, v15
	v_cmp_ngt_f32_e32 vcc, s9, v9
	v_ldexp_f32 v11, v11, v14
	s_nop 0
	v_cndmask_b32_e32 v11, 0, v11, vcc
	v_cmp_nlt_f32_e32 vcc, s14, v9
	s_nop 1
	v_cndmask_b32_e32 v9, v82, v11, vcc
	v_sub_f32_e32 v11, v21, v1
	v_mul_f32_e32 v14, 0x3fb8aa3b, v11
	v_fma_f32 v15, v11, s8, -v14
	v_rndne_f32_e32 v16, v14
	v_fmac_f32_e32 v15, 0x32a5705f, v11
	v_sub_f32_e32 v14, v14, v16
	v_add_f32_e32 v14, v14, v15
	v_exp_f32_e32 v14, v14
	v_cvt_i32_f32_e32 v15, v16
	v_cmp_ngt_f32_e32 vcc, s9, v11
	v_ldexp_f32 v14, v14, v15
	s_nop 0
	v_cndmask_b32_e32 v14, 0, v14, vcc
	v_cmp_nlt_f32_e32 vcc, s14, v11
	s_nop 1
	v_cndmask_b32_e32 v11, v82, v14, vcc
	v_mul_f32_e32 v14, 0x3fb8aa3b, v13
	v_fma_f32 v15, v13, s8, -v14
	v_rndne_f32_e32 v16, v14
	v_fmac_f32_e32 v15, 0x32a5705f, v13
	v_sub_f32_e32 v14, v14, v16
	v_add_f32_e32 v14, v14, v15
	v_exp_f32_e32 v14, v14
	v_cvt_i32_f32_e32 v15, v16
	v_cmp_ngt_f32_e32 vcc, s9, v13
	v_ldexp_f32 v14, v14, v15
	s_nop 0
	v_cndmask_b32_e32 v14, 0, v14, vcc
	v_cmp_nlt_f32_e32 vcc, s14, v13
	v_sub_f32_e32 v15, v105, v2
	s_nop 0
	v_cndmask_b32_e32 v13, v82, v14, vcc
	v_cvt_f16_f32_e32 v14, v13
	v_mul_u32_u24_e32 v14, 0x10001, v14
	v_pk_mul_f16 v21, v96, v14
	v_pk_mul_f16 v20, v97, v14
	v_sub_f32_e32 v14, v22, v2
	v_mul_f32_e32 v16, 0x3fb8aa3b, v14
	v_fma_f32 v17, v14, s8, -v16
	v_rndne_f32_e32 v22, v16
	v_fmac_f32_e32 v17, 0x32a5705f, v14
	v_sub_f32_e32 v16, v16, v22
	v_add_f32_e32 v16, v16, v17
	v_exp_f32_e32 v16, v16
	v_cvt_i32_f32_e32 v17, v22
	v_cmp_ngt_f32_e32 vcc, s9, v14
	v_ldexp_f32 v16, v16, v17
	s_nop 0
	v_cndmask_b32_e32 v16, 0, v16, vcc
	v_cmp_nlt_f32_e32 vcc, s14, v14
	s_nop 1
	v_cndmask_b32_e32 v14, v82, v16, vcc
	v_sub_f32_e32 v16, v23, v2
	v_mul_f32_e32 v17, 0x3fb8aa3b, v16
	v_fma_f32 v22, v16, s8, -v17
	v_rndne_f32_e32 v23, v17
	v_fmac_f32_e32 v22, 0x32a5705f, v16
	v_sub_f32_e32 v17, v17, v23
	v_add_f32_e32 v17, v17, v22
	v_exp_f32_e32 v17, v17
	v_cvt_i32_f32_e32 v22, v23
	v_cmp_ngt_f32_e32 vcc, s9, v16
	v_ldexp_f32 v17, v17, v22
	s_nop 0
	v_cndmask_b32_e32 v17, 0, v17, vcc
	v_cmp_nlt_f32_e32 vcc, s14, v16
	s_nop 1
	v_cndmask_b32_e32 v16, v82, v17, vcc
	v_mul_f32_e32 v17, 0x3fb8aa3b, v15
	v_fma_f32 v22, v15, s8, -v17
	v_rndne_f32_e32 v23, v17
	v_fmac_f32_e32 v22, 0x32a5705f, v15
	v_sub_f32_e32 v17, v17, v23
	v_add_f32_e32 v17, v17, v22
	v_exp_f32_e32 v17, v17
	v_cvt_i32_f32_e32 v22, v23
	v_cmp_ngt_f32_e32 vcc, s9, v15
	v_ldexp_f32 v17, v17, v22
	s_nop 0
	v_cndmask_b32_e32 v17, 0, v17, vcc
	v_cmp_nlt_f32_e32 vcc, s14, v15
	s_nop 1
	v_cndmask_b32_e32 v32, v82, v17, vcc
	v_cvt_f16_f32_e32 v15, v32
	v_mul_u32_u24_e32 v15, 0x10001, v15
	v_pk_mul_f16 v23, v94, v15
	v_pk_mul_f16 v22, v95, v15
	v_sub_f32_e32 v15, v25, v3
	v_mul_f32_e32 v17, 0x3fb8aa3b, v15
	v_fma_f32 v25, v15, s8, -v17
	v_rndne_f32_e32 v34, v17
	v_fmac_f32_e32 v25, 0x32a5705f, v15
	v_sub_f32_e32 v17, v17, v34
	v_add_f32_e32 v17, v17, v25
	v_exp_f32_e32 v17, v17
	v_cvt_i32_f32_e32 v25, v34
	v_cmp_ngt_f32_e32 vcc, s9, v15
	v_ldexp_f32 v17, v17, v25
	s_nop 0
	v_cndmask_b32_e32 v17, 0, v17, vcc
	v_cmp_nlt_f32_e32 vcc, s14, v15
	s_nop 1
	v_cndmask_b32_e32 v15, v82, v17, vcc
	v_sub_f32_e32 v17, v24, v3
	v_mul_f32_e32 v24, 0x3fb8aa3b, v17
	v_fma_f32 v25, v17, s8, -v24
	v_rndne_f32_e32 v34, v24
	v_fmac_f32_e32 v25, 0x32a5705f, v17
	v_sub_f32_e32 v24, v24, v34
	v_add_f32_e32 v24, v24, v25
	v_exp_f32_e32 v24, v24
	v_cvt_i32_f32_e32 v25, v34
	v_cmp_ngt_f32_e32 vcc, s9, v17
	v_ldexp_f32 v24, v24, v25
	s_nop 0
	v_cndmask_b32_e32 v24, 0, v24, vcc
	v_cmp_nlt_f32_e32 vcc, s14, v17
	s_nop 1
	v_cndmask_b32_e32 v17, v82, v24, vcc
	v_mul_f32_e32 v24, 0x3fb8aa3b, v33
	v_fma_f32 v25, v33, s8, -v24
	v_rndne_f32_e32 v34, v24
	v_fmac_f32_e32 v25, 0x32a5705f, v33
	v_sub_f32_e32 v24, v24, v34
	v_add_f32_e32 v24, v24, v25
	v_exp_f32_e32 v24, v24
	v_cvt_i32_f32_e32 v25, v34
	v_cmp_ngt_f32_e32 vcc, s9, v33
	v_sub_f32_e32 v34, v103, v4
	v_ldexp_f32 v24, v24, v25
	v_cndmask_b32_e32 v24, 0, v24, vcc
	v_cmp_nlt_f32_e32 vcc, s14, v33
	s_nop 1
	v_cndmask_b32_e32 v33, v82, v24, vcc
	v_cmp_ngt_f32_e32 vcc, s9, v26
	v_cvt_f16_f32_e32 v24, v33
	v_mul_u32_u24_e32 v24, 0x10001, v24
	v_cndmask_b32_e32 v35, 0, v35, vcc
	v_cmp_nlt_f32_e32 vcc, s14, v26
	v_sub_f32_e32 v26, v27, v4
	v_mul_f32_e32 v27, 0x3fb8aa3b, v26
	v_cndmask_b32_e32 v36, v82, v35, vcc
	v_fma_f32 v35, v26, s8, -v27
	v_rndne_f32_e32 v37, v27
	v_fmac_f32_e32 v35, 0x32a5705f, v26
	v_sub_f32_e32 v27, v27, v37
	v_add_f32_e32 v27, v27, v35
	v_exp_f32_e32 v27, v27
	v_cvt_i32_f32_e32 v35, v37
	v_cmp_ngt_f32_e32 vcc, s9, v26
	v_mul_f32_e32 v37, 0x3fb8aa3b, v28
	v_fma_f32 v39, v28, s8, -v37
	v_ldexp_f32 v27, v27, v35
	v_cndmask_b32_e32 v27, 0, v27, vcc
	v_cmp_nlt_f32_e32 vcc, s14, v26
	v_mul_f32_e32 v26, 0x3fb8aa3b, v34
	v_rndne_f32_e32 v35, v26
	v_cndmask_b32_e32 v38, v82, v27, vcc
	v_fma_f32 v27, v34, s8, -v26
	v_fmac_f32_e32 v27, 0x32a5705f, v34
	v_sub_f32_e32 v26, v26, v35
	v_add_f32_e32 v26, v26, v27
	v_rndne_f32_e32 v54, v37
	v_exp_f32_e32 v26, v26
	v_cvt_i32_f32_e32 v27, v35
	v_fmac_f32_e32 v39, 0x32a5705f, v28
	v_sub_f32_e32 v37, v37, v54
	v_add_f32_e32 v37, v37, v39
	v_exp_f32_e32 v37, v37
	v_cvt_i32_f32_e32 v39, v54
	v_ldexp_f32 v26, v26, v27
	v_cmp_ngt_f32_e32 vcc, s9, v34
	v_sub_f32_e32 v35, v102, v5
	v_ldexp_f32 v37, v37, v39
	v_cndmask_b32_e32 v26, 0, v26, vcc
	v_cmp_nlt_f32_e32 vcc, s14, v34
	v_pk_mul_f16 v25, v92, v24
	v_pk_mul_f16 v24, v93, v24
	v_cndmask_b32_e32 v34, v82, v26, vcc
	v_cmp_ngt_f32_e32 vcc, s9, v28
	v_cvt_f16_f32_e32 v26, v34
	v_mul_u32_u24_e32 v26, 0x10001, v26
	v_cndmask_b32_e32 v37, 0, v37, vcc
	v_cmp_nlt_f32_e32 vcc, s14, v28
	v_sub_f32_e32 v28, v29, v5
	v_mul_f32_e32 v29, 0x3fb8aa3b, v28
	v_fma_f32 v39, v28, s8, -v29
	v_rndne_f32_e32 v54, v29
	v_fmac_f32_e32 v39, 0x32a5705f, v28
	v_sub_f32_e32 v29, v29, v54
	v_add_f32_e32 v29, v29, v39
	v_exp_f32_e32 v29, v29
	v_cvt_i32_f32_e32 v39, v54
	v_cndmask_b32_e32 v37, v82, v37, vcc
	v_cmp_ngt_f32_e32 vcc, s9, v28
	v_pk_mul_f16 v27, v90, v26
	v_ldexp_f32 v29, v29, v39
	v_cndmask_b32_e32 v29, 0, v29, vcc
	v_cmp_nlt_f32_e32 vcc, s14, v28
	v_mul_f32_e32 v28, 0x3fb8aa3b, v35
	v_rndne_f32_e32 v54, v28
	v_cndmask_b32_e32 v39, v82, v29, vcc
	v_fma_f32 v29, v35, s8, -v28
	v_fmac_f32_e32 v29, 0x32a5705f, v35
	v_sub_f32_e32 v28, v28, v54
	v_add_f32_e32 v28, v28, v29
	v_exp_f32_e32 v28, v28
	v_cvt_i32_f32_e32 v29, v54
	v_cmp_ngt_f32_e32 vcc, s9, v35
	v_mul_f32_e32 v54, 0x3fb8aa3b, v30
	v_rndne_f32_e32 v90, v54
	v_ldexp_f32 v28, v28, v29
	v_cndmask_b32_e32 v28, 0, v28, vcc
	v_cmp_nlt_f32_e32 vcc, s14, v35
	v_pk_mul_f16 v26, v91, v26
	v_pk_add_f32 v[94:95], v[36:37], v[38:39]
	v_cndmask_b32_e32 v35, v82, v28, vcc
	v_cvt_f16_f32_e32 v28, v35
	v_cmp_ngt_f32_e32 vcc, s9, v30
	v_pk_fma_f32 v[42:43], v[42:43], v[34:35], v[94:95]
	v_cvt_pk_f16_f32 v34, v36, v37
	v_mul_u32_u24_e32 v28, 0x10001, v28
	v_pk_mul_f16 v29, v88, v28
	v_fma_f32 v88, v30, s8, -v54
	v_fmac_f32_e32 v88, 0x32a5705f, v30
	v_sub_f32_e32 v54, v54, v90
	v_add_f32_e32 v54, v54, v88
	v_exp_f32_e32 v54, v54
	v_cvt_i32_f32_e32 v88, v90
	v_pk_mul_f16 v28, v89, v28
	v_sub_f32_e32 v89, v101, v6
	v_ldexp_f32 v54, v54, v88
	v_cndmask_b32_e32 v54, 0, v54, vcc
	v_cmp_nlt_f32_e32 vcc, s14, v30
	v_sub_f32_e32 v30, v31, v6
	v_mul_f32_e32 v31, 0x3fb8aa3b, v30
	v_fma_f32 v88, v30, s8, -v31
	v_rndne_f32_e32 v90, v31
	v_fmac_f32_e32 v88, 0x32a5705f, v30
	v_sub_f32_e32 v31, v31, v90
	v_add_f32_e32 v31, v31, v88
	v_exp_f32_e32 v31, v31
	v_cvt_i32_f32_e32 v88, v90
	v_cndmask_b32_e32 v54, v82, v54, vcc
	v_cmp_ngt_f32_e32 vcc, s9, v30
	v_ldexp_f32 v31, v31, v88
	s_nop 0
	v_cndmask_b32_e32 v31, 0, v31, vcc
	v_cmp_nlt_f32_e32 vcc, s14, v30
	v_mul_f32_e32 v30, 0x3fb8aa3b, v89
	v_rndne_f32_e32 v90, v30
	v_cndmask_b32_e32 v88, v82, v31, vcc
	v_fma_f32 v31, v89, s8, -v30
	v_fmac_f32_e32 v31, 0x32a5705f, v89
	v_sub_f32_e32 v30, v30, v90
	v_add_f32_e32 v30, v30, v31
	v_exp_f32_e32 v30, v30
	v_cvt_i32_f32_e32 v31, v90
	v_cmp_ngt_f32_e32 vcc, s9, v89
	v_ldexp_f32 v30, v30, v31
	s_nop 0
	v_cndmask_b32_e32 v30, 0, v30, vcc
	v_cmp_nlt_f32_e32 vcc, s14, v89
	s_nop 1
	v_cndmask_b32_e32 v90, v82, v30, vcc
	v_cvt_f16_f32_e32 v30, v90
	v_cmp_ngt_f32_e32 vcc, s9, v55
	v_mul_u32_u24_e32 v30, 0x10001, v30
	v_pk_mul_f16 v31, v86, v30
	v_pk_mul_f16 v30, v87, v30
	v_mul_f32_e32 v87, 0x3fb8aa3b, v55
	v_fma_f32 v89, v55, s8, -v87
	v_rndne_f32_e32 v91, v87
	v_fmac_f32_e32 v89, 0x32a5705f, v55
	v_sub_f32_e32 v87, v87, v91
	v_add_f32_e32 v87, v87, v89
	v_exp_f32_e32 v87, v87
	v_cvt_i32_f32_e32 v89, v91
	v_sub_f32_e32 v86, v100, v7
	v_ldexp_f32 v87, v87, v89
	v_cndmask_b32_e32 v87, 0, v87, vcc
	v_cmp_nlt_f32_e32 vcc, s14, v55
	s_nop 1
	v_cndmask_b32_e32 v55, v82, v87, vcc
	v_sub_f32_e32 v87, v108, v7
	v_mul_f32_e32 v89, 0x3fb8aa3b, v87
	v_fma_f32 v91, v87, s8, -v89
	v_rndne_f32_e32 v92, v89
	v_fmac_f32_e32 v91, 0x32a5705f, v87
	v_sub_f32_e32 v89, v89, v92
	v_add_f32_e32 v89, v89, v91
	v_exp_f32_e32 v89, v89
	v_cvt_i32_f32_e32 v91, v92
	v_cmp_ngt_f32_e32 vcc, s9, v87
	v_cvt_pk_f16_f32 v35, v54, v55
	v_ldexp_f32 v89, v89, v91
	v_cndmask_b32_e32 v89, 0, v89, vcc
	v_cmp_nlt_f32_e32 vcc, s14, v87
	v_mul_f32_e32 v87, 0x3fb8aa3b, v86
	v_fma_f32 v91, v86, s8, -v87
	v_rndne_f32_e32 v92, v87
	v_fmac_f32_e32 v91, 0x32a5705f, v86
	v_sub_f32_e32 v87, v87, v92
	v_add_f32_e32 v87, v87, v91
	v_exp_f32_e32 v87, v87
	v_cvt_i32_f32_e32 v91, v92
	v_cndmask_b32_e32 v89, v82, v89, vcc
	v_cmp_ngt_f32_e32 vcc, s9, v86
	v_pk_add_f32 v[92:93], v[14:15], v[16:17]
	v_ldexp_f32 v87, v87, v91
	v_cndmask_b32_e32 v87, 0, v87, vcc
	v_cmp_nlt_f32_e32 vcc, s14, v86
	v_pk_fma_f32 v[44:45], v[44:45], v[32:33], v[92:93]
	v_cvt_pk_f16_f32 v33, v14, v15
	v_cndmask_b32_e32 v91, v82, v87, vcc
	v_pk_add_f32 v[86:87], v[8:9], v[10:11]
	v_cvt_pk_f16_f32 v32, v8, v9
	v_lshl_add_u64 v[8:9], s[6:7], 2, v[50:51]
	ds_write_b128 v83, v[32:35]
	v_cvt_pk_f16_f32 v32, v10, v11
	global_load_dwordx4 v[8:11], v[8:9], off
	v_pk_fma_f32 v[46:47], v[46:47], v[12:13], v[86:87]
	v_cvt_f16_f32_e32 v12, v91
	v_cvt_pk_f16_f32 v35, v88, v89
	v_cvt_pk_f16_f32 v34, v38, v39
	;; [unrolled: 1-line block ×3, first 2 shown]
	v_pk_add_f32 v[96:97], v[54:55], v[88:89]
	ds_write_b128 v83, v[32:35] offset:512
	v_mul_u32_u24_e32 v12, 0x10001, v12
	v_pk_mul_f16 v13, v85, v12
	v_pk_mul_f16 v12, v53, v12
	s_or_b32 s6, s2, 16
	s_mul_hi_i32 s7, s6, s10
	s_mul_i32 s6, s6, s10
	v_pk_fma_f32 v[40:41], v[40:41], v[90:91], v[96:97]
	s_waitcnt vmcnt(0)
	ds_write_b128 v80, v[8:11]
	s_waitcnt lgkmcnt(0)
	s_barrier
	ds_read2_b64 v[8:11], v81 offset1:32
	ds_read_b128 v[14:17], v79
	ds_read_b128 v[32:35], v79 offset:16
	ds_read_b128 v[36:39], v79 offset:32
	;; [unrolled: 1-line block ×3, first 2 shown]
	s_waitcnt lgkmcnt(3)
	v_mul_u32_u24_sdwa v53, v14, s15 dst_sel:DWORD dst_unused:UNUSED_PAD src0_sel:WORD_0 src1_sel:DWORD
	v_mul_u32_u24_sdwa v14, v14, s15 dst_sel:DWORD dst_unused:UNUSED_PAD src0_sel:WORD_1 src1_sel:DWORD
	v_mul_u32_u24_sdwa v54, v15, s15 dst_sel:DWORD dst_unused:UNUSED_PAD src0_sel:WORD_0 src1_sel:DWORD
	v_mul_u32_u24_sdwa v15, v15, s15 dst_sel:DWORD dst_unused:UNUSED_PAD src0_sel:WORD_1 src1_sel:DWORD
	;; [unrolled: 2-line block ×4, first 2 shown]
	v_pk_fma_f16 v19, v8, v53, v19
	v_pk_fma_f16 v21, v8, v14, v21
	v_pk_fma_f16 v23, v8, v54, v23
	v_pk_fma_f16 v25, v8, v15, v25
	v_pk_fma_f16 v27, v8, v55, v27
	v_pk_fma_f16 v29, v8, v16, v29
	v_pk_fma_f16 v31, v8, v85, v31
	v_pk_fma_f16 v8, v8, v17, v13
	v_pk_fma_f16 v13, v9, v53, v18
	v_pk_fma_f16 v14, v9, v14, v20
	v_pk_fma_f16 v18, v9, v54, v22
	v_pk_fma_f16 v15, v9, v15, v24
	v_pk_fma_f16 v20, v9, v55, v26
	v_pk_fma_f16 v16, v9, v16, v28
	v_pk_fma_f16 v22, v9, v85, v30
	v_pk_fma_f16 v9, v9, v17, v12
	s_waitcnt lgkmcnt(2)
	v_mul_u32_u24_sdwa v12, v32, s15 dst_sel:DWORD dst_unused:UNUSED_PAD src0_sel:WORD_0 src1_sel:DWORD
	v_mul_u32_u24_sdwa v17, v32, s15 dst_sel:DWORD dst_unused:UNUSED_PAD src0_sel:WORD_1 src1_sel:DWORD
	v_mul_u32_u24_sdwa v24, v33, s15 dst_sel:DWORD dst_unused:UNUSED_PAD src0_sel:WORD_0 src1_sel:DWORD
	v_mul_u32_u24_sdwa v26, v33, s15 dst_sel:DWORD dst_unused:UNUSED_PAD src0_sel:WORD_1 src1_sel:DWORD
	;; [unrolled: 2-line block ×4, first 2 shown]
	v_pk_fma_f16 v19, v10, v12, v19
	v_pk_fma_f16 v21, v10, v17, v21
	;; [unrolled: 1-line block ×16, first 2 shown]
	ds_read2_b64 v[8:11], v81 offset0:64 offset1:96
	s_waitcnt lgkmcnt(2)
	v_mul_u32_u24_sdwa v22, v36, s15 dst_sel:DWORD dst_unused:UNUSED_PAD src0_sel:WORD_0 src1_sel:DWORD
	v_mul_u32_u24_sdwa v24, v36, s15 dst_sel:DWORD dst_unused:UNUSED_PAD src0_sel:WORD_1 src1_sel:DWORD
	v_mul_u32_u24_sdwa v26, v37, s15 dst_sel:DWORD dst_unused:UNUSED_PAD src0_sel:WORD_0 src1_sel:DWORD
	v_mul_u32_u24_sdwa v28, v37, s15 dst_sel:DWORD dst_unused:UNUSED_PAD src0_sel:WORD_1 src1_sel:DWORD
	;; [unrolled: 2-line block ×4, first 2 shown]
	s_waitcnt lgkmcnt(0)
	v_pk_fma_f16 v19, v8, v22, v19
	v_pk_fma_f16 v21, v8, v24, v21
	;; [unrolled: 1-line block ×16, first 2 shown]
	v_mul_u32_u24_sdwa v20, v86, s15 dst_sel:DWORD dst_unused:UNUSED_PAD src0_sel:WORD_0 src1_sel:DWORD
	v_mul_u32_u24_sdwa v22, v86, s15 dst_sel:DWORD dst_unused:UNUSED_PAD src0_sel:WORD_1 src1_sel:DWORD
	v_mul_u32_u24_sdwa v24, v87, s15 dst_sel:DWORD dst_unused:UNUSED_PAD src0_sel:WORD_0 src1_sel:DWORD
	v_mul_u32_u24_sdwa v26, v87, s15 dst_sel:DWORD dst_unused:UNUSED_PAD src0_sel:WORD_1 src1_sel:DWORD
	;; [unrolled: 2-line block ×4, first 2 shown]
	v_pk_fma_f16 v19, v10, v20, v19
	v_pk_fma_f16 v21, v10, v22, v21
	;; [unrolled: 1-line block ×16, first 2 shown]
	ds_read2_b64 v[8:11], v81 offset0:128 offset1:160
	ds_read_b128 v[12:15], v79 offset:64
	s_waitcnt lgkmcnt(0)
	v_mul_u32_u24_sdwa v30, v12, s15 dst_sel:DWORD dst_unused:UNUSED_PAD src0_sel:WORD_0 src1_sel:DWORD
	v_mul_u32_u24_sdwa v12, v12, s15 dst_sel:DWORD dst_unused:UNUSED_PAD src0_sel:WORD_1 src1_sel:DWORD
	v_mul_u32_u24_sdwa v32, v13, s15 dst_sel:DWORD dst_unused:UNUSED_PAD src0_sel:WORD_0 src1_sel:DWORD
	v_mul_u32_u24_sdwa v13, v13, s15 dst_sel:DWORD dst_unused:UNUSED_PAD src0_sel:WORD_1 src1_sel:DWORD
	;; [unrolled: 2-line block ×4, first 2 shown]
	v_pk_fma_f16 v19, v8, v30, v19
	v_pk_fma_f16 v21, v8, v12, v21
	;; [unrolled: 1-line block ×16, first 2 shown]
	ds_read_b128 v[12:15], v79 offset:80
	s_waitcnt lgkmcnt(0)
	v_mul_u32_u24_sdwa v28, v12, s15 dst_sel:DWORD dst_unused:UNUSED_PAD src0_sel:WORD_0 src1_sel:DWORD
	v_mul_u32_u24_sdwa v12, v12, s15 dst_sel:DWORD dst_unused:UNUSED_PAD src0_sel:WORD_1 src1_sel:DWORD
	v_mul_u32_u24_sdwa v30, v13, s15 dst_sel:DWORD dst_unused:UNUSED_PAD src0_sel:WORD_0 src1_sel:DWORD
	v_mul_u32_u24_sdwa v13, v13, s15 dst_sel:DWORD dst_unused:UNUSED_PAD src0_sel:WORD_1 src1_sel:DWORD
	;; [unrolled: 2-line block ×4, first 2 shown]
	v_pk_fma_f16 v19, v10, v28, v19
	v_pk_fma_f16 v21, v10, v12, v21
	;; [unrolled: 1-line block ×16, first 2 shown]
	ds_read2_b64 v[8:11], v81 offset0:192 offset1:224
	ds_read_b128 v[12:15], v79 offset:96
	s_waitcnt lgkmcnt(0)
	v_mul_u32_u24_sdwa v30, v12, s15 dst_sel:DWORD dst_unused:UNUSED_PAD src0_sel:WORD_0 src1_sel:DWORD
	v_mul_u32_u24_sdwa v12, v12, s15 dst_sel:DWORD dst_unused:UNUSED_PAD src0_sel:WORD_1 src1_sel:DWORD
	v_mul_u32_u24_sdwa v32, v13, s15 dst_sel:DWORD dst_unused:UNUSED_PAD src0_sel:WORD_0 src1_sel:DWORD
	v_mul_u32_u24_sdwa v13, v13, s15 dst_sel:DWORD dst_unused:UNUSED_PAD src0_sel:WORD_1 src1_sel:DWORD
	;; [unrolled: 2-line block ×4, first 2 shown]
	v_pk_fma_f16 v19, v8, v30, v19
	v_pk_fma_f16 v21, v8, v12, v21
	;; [unrolled: 1-line block ×16, first 2 shown]
	ds_read_b128 v[12:15], v79 offset:112
	s_waitcnt lgkmcnt(0)
	v_mul_u32_u24_sdwa v28, v12, s15 dst_sel:DWORD dst_unused:UNUSED_PAD src0_sel:WORD_0 src1_sel:DWORD
	v_mul_u32_u24_sdwa v12, v12, s15 dst_sel:DWORD dst_unused:UNUSED_PAD src0_sel:WORD_1 src1_sel:DWORD
	v_mul_u32_u24_sdwa v30, v13, s15 dst_sel:DWORD dst_unused:UNUSED_PAD src0_sel:WORD_0 src1_sel:DWORD
	v_mul_u32_u24_sdwa v13, v13, s15 dst_sel:DWORD dst_unused:UNUSED_PAD src0_sel:WORD_1 src1_sel:DWORD
	;; [unrolled: 2-line block ×4, first 2 shown]
	v_pk_fma_f16 v19, v10, v28, v19
	v_pk_fma_f16 v21, v10, v12, v21
	;; [unrolled: 1-line block ×16, first 2 shown]
	ds_read2_b64 v[8:11], v84 offset1:32
	ds_read_b128 v[12:15], v79 offset:128
	s_waitcnt lgkmcnt(0)
	v_mul_u32_u24_sdwa v30, v12, s15 dst_sel:DWORD dst_unused:UNUSED_PAD src0_sel:WORD_0 src1_sel:DWORD
	v_mul_u32_u24_sdwa v12, v12, s15 dst_sel:DWORD dst_unused:UNUSED_PAD src0_sel:WORD_1 src1_sel:DWORD
	v_mul_u32_u24_sdwa v32, v13, s15 dst_sel:DWORD dst_unused:UNUSED_PAD src0_sel:WORD_0 src1_sel:DWORD
	v_mul_u32_u24_sdwa v13, v13, s15 dst_sel:DWORD dst_unused:UNUSED_PAD src0_sel:WORD_1 src1_sel:DWORD
	v_mul_u32_u24_sdwa v33, v14, s15 dst_sel:DWORD dst_unused:UNUSED_PAD src0_sel:WORD_0 src1_sel:DWORD
	v_mul_u32_u24_sdwa v14, v14, s15 dst_sel:DWORD dst_unused:UNUSED_PAD src0_sel:WORD_1 src1_sel:DWORD
	v_mul_u32_u24_sdwa v35, v15, s15 dst_sel:DWORD dst_unused:UNUSED_PAD src0_sel:WORD_0 src1_sel:DWORD
	v_mul_u32_u24_sdwa v15, v15, s15 dst_sel:DWORD dst_unused:UNUSED_PAD src0_sel:WORD_1 src1_sel:DWORD
	v_pk_fma_f16 v19, v8, v30, v19
	v_pk_fma_f16 v21, v8, v12, v21
	v_pk_fma_f16 v23, v8, v32, v23
	v_pk_fma_f16 v25, v8, v13, v25
	v_pk_fma_f16 v27, v8, v33, v27
	v_pk_fma_f16 v29, v8, v14, v29
	v_pk_fma_f16 v31, v8, v35, v31
	v_pk_fma_f16 v8, v8, v15, v34
	v_pk_fma_f16 v20, v9, v30, v20
	v_pk_fma_f16 v22, v9, v12, v22
	v_pk_fma_f16 v24, v9, v32, v24
	v_pk_fma_f16 v26, v9, v13, v26
	v_pk_fma_f16 v17, v9, v33, v17
	v_pk_fma_f16 v16, v9, v14, v16
	v_pk_fma_f16 v18, v9, v35, v18
	v_pk_fma_f16 v9, v9, v15, v28
	ds_read_b128 v[12:15], v79 offset:144
	s_waitcnt lgkmcnt(0)
	v_mul_u32_u24_sdwa v28, v12, s15 dst_sel:DWORD dst_unused:UNUSED_PAD src0_sel:WORD_0 src1_sel:DWORD
	v_mul_u32_u24_sdwa v12, v12, s15 dst_sel:DWORD dst_unused:UNUSED_PAD src0_sel:WORD_1 src1_sel:DWORD
	v_mul_u32_u24_sdwa v30, v13, s15 dst_sel:DWORD dst_unused:UNUSED_PAD src0_sel:WORD_0 src1_sel:DWORD
	v_mul_u32_u24_sdwa v13, v13, s15 dst_sel:DWORD dst_unused:UNUSED_PAD src0_sel:WORD_1 src1_sel:DWORD
	v_mul_u32_u24_sdwa v32, v14, s15 dst_sel:DWORD dst_unused:UNUSED_PAD src0_sel:WORD_0 src1_sel:DWORD
	v_mul_u32_u24_sdwa v14, v14, s15 dst_sel:DWORD dst_unused:UNUSED_PAD src0_sel:WORD_1 src1_sel:DWORD
	v_mul_u32_u24_sdwa v33, v15, s15 dst_sel:DWORD dst_unused:UNUSED_PAD src0_sel:WORD_0 src1_sel:DWORD
	v_mul_u32_u24_sdwa v15, v15, s15 dst_sel:DWORD dst_unused:UNUSED_PAD src0_sel:WORD_1 src1_sel:DWORD
	v_pk_fma_f16 v19, v10, v28, v19
	v_pk_fma_f16 v21, v10, v12, v21
	v_pk_fma_f16 v23, v10, v30, v23
	v_pk_fma_f16 v25, v10, v13, v25
	v_pk_fma_f16 v27, v10, v32, v27
	v_pk_fma_f16 v29, v10, v14, v29
	v_pk_fma_f16 v31, v10, v33, v31
	v_pk_fma_f16 v34, v10, v15, v8
	v_pk_fma_f16 v20, v11, v28, v20
	v_pk_fma_f16 v22, v11, v12, v22
	v_pk_fma_f16 v24, v11, v30, v24
	v_pk_fma_f16 v26, v11, v13, v26
	v_pk_fma_f16 v17, v11, v32, v17
	v_pk_fma_f16 v16, v11, v14, v16
	v_pk_fma_f16 v18, v11, v33, v18
	v_pk_fma_f16 v28, v11, v15, v9
	ds_read2_b64 v[8:11], v84 offset0:64 offset1:96
	ds_read_b128 v[12:15], v79 offset:160
	s_waitcnt lgkmcnt(0)
	v_mul_u32_u24_sdwa v30, v12, s15 dst_sel:DWORD dst_unused:UNUSED_PAD src0_sel:WORD_0 src1_sel:DWORD
	v_mul_u32_u24_sdwa v12, v12, s15 dst_sel:DWORD dst_unused:UNUSED_PAD src0_sel:WORD_1 src1_sel:DWORD
	v_mul_u32_u24_sdwa v32, v13, s15 dst_sel:DWORD dst_unused:UNUSED_PAD src0_sel:WORD_0 src1_sel:DWORD
	v_mul_u32_u24_sdwa v13, v13, s15 dst_sel:DWORD dst_unused:UNUSED_PAD src0_sel:WORD_1 src1_sel:DWORD
	v_mul_u32_u24_sdwa v33, v14, s15 dst_sel:DWORD dst_unused:UNUSED_PAD src0_sel:WORD_0 src1_sel:DWORD
	v_mul_u32_u24_sdwa v14, v14, s15 dst_sel:DWORD dst_unused:UNUSED_PAD src0_sel:WORD_1 src1_sel:DWORD
	v_mul_u32_u24_sdwa v35, v15, s15 dst_sel:DWORD dst_unused:UNUSED_PAD src0_sel:WORD_0 src1_sel:DWORD
	v_mul_u32_u24_sdwa v15, v15, s15 dst_sel:DWORD dst_unused:UNUSED_PAD src0_sel:WORD_1 src1_sel:DWORD
	v_pk_fma_f16 v19, v8, v30, v19
	v_pk_fma_f16 v21, v8, v12, v21
	v_pk_fma_f16 v23, v8, v32, v23
	v_pk_fma_f16 v25, v8, v13, v25
	v_pk_fma_f16 v27, v8, v33, v27
	v_pk_fma_f16 v29, v8, v14, v29
	v_pk_fma_f16 v31, v8, v35, v31
	v_pk_fma_f16 v8, v8, v15, v34
	v_pk_fma_f16 v20, v9, v30, v20
	v_pk_fma_f16 v22, v9, v12, v22
	v_pk_fma_f16 v24, v9, v32, v24
	v_pk_fma_f16 v26, v9, v13, v26
	v_pk_fma_f16 v17, v9, v33, v17
	v_pk_fma_f16 v16, v9, v14, v16
	v_pk_fma_f16 v18, v9, v35, v18
	v_pk_fma_f16 v9, v9, v15, v28
	ds_read_b128 v[12:15], v79 offset:176
	s_waitcnt lgkmcnt(0)
	v_mul_u32_u24_sdwa v28, v12, s15 dst_sel:DWORD dst_unused:UNUSED_PAD src0_sel:WORD_0 src1_sel:DWORD
	v_mul_u32_u24_sdwa v12, v12, s15 dst_sel:DWORD dst_unused:UNUSED_PAD src0_sel:WORD_1 src1_sel:DWORD
	v_mul_u32_u24_sdwa v30, v13, s15 dst_sel:DWORD dst_unused:UNUSED_PAD src0_sel:WORD_0 src1_sel:DWORD
	v_mul_u32_u24_sdwa v13, v13, s15 dst_sel:DWORD dst_unused:UNUSED_PAD src0_sel:WORD_1 src1_sel:DWORD
	v_mul_u32_u24_sdwa v32, v14, s15 dst_sel:DWORD dst_unused:UNUSED_PAD src0_sel:WORD_0 src1_sel:DWORD
	v_mul_u32_u24_sdwa v14, v14, s15 dst_sel:DWORD dst_unused:UNUSED_PAD src0_sel:WORD_1 src1_sel:DWORD
	v_mul_u32_u24_sdwa v33, v15, s15 dst_sel:DWORD dst_unused:UNUSED_PAD src0_sel:WORD_0 src1_sel:DWORD
	v_mul_u32_u24_sdwa v15, v15, s15 dst_sel:DWORD dst_unused:UNUSED_PAD src0_sel:WORD_1 src1_sel:DWORD
	v_pk_fma_f16 v19, v10, v28, v19
	v_pk_fma_f16 v21, v10, v12, v21
	v_pk_fma_f16 v23, v10, v30, v23
	v_pk_fma_f16 v25, v10, v13, v25
	v_pk_fma_f16 v27, v10, v32, v27
	v_pk_fma_f16 v29, v10, v14, v29
	v_pk_fma_f16 v31, v10, v33, v31
	v_pk_fma_f16 v34, v10, v15, v8
	v_pk_fma_f16 v20, v11, v28, v20
	v_pk_fma_f16 v22, v11, v12, v22
	v_pk_fma_f16 v24, v11, v30, v24
	v_pk_fma_f16 v26, v11, v13, v26
	v_pk_fma_f16 v17, v11, v32, v17
	v_pk_fma_f16 v16, v11, v14, v16
	v_pk_fma_f16 v18, v11, v33, v18
	v_pk_fma_f16 v28, v11, v15, v9
	ds_read2_b64 v[8:11], v84 offset0:128 offset1:160
	;; [unrolled: 53-line block ×3, first 2 shown]
	ds_read_b128 v[12:15], v79 offset:224
	s_waitcnt lgkmcnt(0)
	v_mul_u32_u24_sdwa v30, v12, s15 dst_sel:DWORD dst_unused:UNUSED_PAD src0_sel:WORD_0 src1_sel:DWORD
	v_mul_u32_u24_sdwa v12, v12, s15 dst_sel:DWORD dst_unused:UNUSED_PAD src0_sel:WORD_1 src1_sel:DWORD
	v_mul_u32_u24_sdwa v32, v13, s15 dst_sel:DWORD dst_unused:UNUSED_PAD src0_sel:WORD_0 src1_sel:DWORD
	v_mul_u32_u24_sdwa v13, v13, s15 dst_sel:DWORD dst_unused:UNUSED_PAD src0_sel:WORD_1 src1_sel:DWORD
	;; [unrolled: 2-line block ×4, first 2 shown]
	v_pk_fma_f16 v19, v8, v30, v19
	v_pk_fma_f16 v21, v8, v12, v21
	;; [unrolled: 1-line block ×16, first 2 shown]
	ds_read_b128 v[12:15], v79 offset:240
	s_waitcnt lgkmcnt(0)
	s_barrier
	v_mul_u32_u24_sdwa v33, v15, s15 dst_sel:DWORD dst_unused:UNUSED_PAD src0_sel:WORD_0 src1_sel:DWORD
	v_mul_u32_u24_sdwa v15, v15, s15 dst_sel:DWORD dst_unused:UNUSED_PAD src0_sel:WORD_1 src1_sel:DWORD
	v_mul_u32_u24_sdwa v28, v12, s15 dst_sel:DWORD dst_unused:UNUSED_PAD src0_sel:WORD_0 src1_sel:DWORD
	v_mul_u32_u24_sdwa v12, v12, s15 dst_sel:DWORD dst_unused:UNUSED_PAD src0_sel:WORD_1 src1_sel:DWORD
	;; [unrolled: 2-line block ×4, first 2 shown]
	v_pk_fma_f16 v39, v10, v15, v8
	v_pk_fma_f16 v85, v11, v15, v9
	v_lshl_add_u64 v[8:9], s[6:7], 2, v[50:51]
	v_pk_fma_f16 v34, v10, v28, v19
	v_pk_fma_f16 v35, v10, v12, v21
	;; [unrolled: 1-line block ×14, first 2 shown]
	global_load_dwordx4 v[8:11], v[8:9], off
	s_or_b32 s6, s2, 32
	s_mul_hi_i32 s7, s6, s10
	s_mul_i32 s6, s6, s10
	s_waitcnt vmcnt(0)
	ds_write_b128 v80, v[8:11]
	s_waitcnt lgkmcnt(0)
	s_barrier
	ds_read2_b64 v[8:11], v81 offset1:32
	ds_read_b128 v[12:15], v79 offset:256
	ds_read_b128 v[16:19], v79 offset:272
	;; [unrolled: 1-line block ×4, first 2 shown]
	s_waitcnt lgkmcnt(3)
	v_mul_u32_u24_sdwa v86, v12, s15 dst_sel:DWORD dst_unused:UNUSED_PAD src0_sel:WORD_0 src1_sel:DWORD
	v_mul_u32_u24_sdwa v12, v12, s15 dst_sel:DWORD dst_unused:UNUSED_PAD src0_sel:WORD_1 src1_sel:DWORD
	v_mul_u32_u24_sdwa v87, v13, s15 dst_sel:DWORD dst_unused:UNUSED_PAD src0_sel:WORD_0 src1_sel:DWORD
	v_mul_u32_u24_sdwa v13, v13, s15 dst_sel:DWORD dst_unused:UNUSED_PAD src0_sel:WORD_1 src1_sel:DWORD
	;; [unrolled: 2-line block ×4, first 2 shown]
	v_pk_fma_f16 v34, v8, v86, v34
	v_pk_fma_f16 v35, v8, v12, v35
	;; [unrolled: 1-line block ×16, first 2 shown]
	s_waitcnt lgkmcnt(2)
	v_mul_u32_u24_sdwa v15, v16, s15 dst_sel:DWORD dst_unused:UNUSED_PAD src0_sel:WORD_0 src1_sel:DWORD
	v_mul_u32_u24_sdwa v16, v16, s15 dst_sel:DWORD dst_unused:UNUSED_PAD src0_sel:WORD_1 src1_sel:DWORD
	v_mul_u32_u24_sdwa v39, v17, s15 dst_sel:DWORD dst_unused:UNUSED_PAD src0_sel:WORD_0 src1_sel:DWORD
	v_mul_u32_u24_sdwa v17, v17, s15 dst_sel:DWORD dst_unused:UNUSED_PAD src0_sel:WORD_1 src1_sel:DWORD
	;; [unrolled: 2-line block ×4, first 2 shown]
	v_pk_fma_f16 v34, v10, v15, v34
	v_pk_fma_f16 v35, v10, v16, v35
	;; [unrolled: 1-line block ×16, first 2 shown]
	ds_read2_b64 v[8:11], v81 offset0:64 offset1:96
	s_waitcnt lgkmcnt(2)
	v_mul_u32_u24_sdwa v28, v20, s15 dst_sel:DWORD dst_unused:UNUSED_PAD src0_sel:WORD_0 src1_sel:DWORD
	v_mul_u32_u24_sdwa v20, v20, s15 dst_sel:DWORD dst_unused:UNUSED_PAD src0_sel:WORD_1 src1_sel:DWORD
	v_mul_u32_u24_sdwa v30, v21, s15 dst_sel:DWORD dst_unused:UNUSED_PAD src0_sel:WORD_0 src1_sel:DWORD
	v_mul_u32_u24_sdwa v21, v21, s15 dst_sel:DWORD dst_unused:UNUSED_PAD src0_sel:WORD_1 src1_sel:DWORD
	;; [unrolled: 2-line block ×4, first 2 shown]
	s_waitcnt lgkmcnt(0)
	v_pk_fma_f16 v34, v8, v28, v34
	v_pk_fma_f16 v35, v8, v20, v35
	;; [unrolled: 1-line block ×16, first 2 shown]
	v_mul_u32_u24_sdwa v19, v24, s15 dst_sel:DWORD dst_unused:UNUSED_PAD src0_sel:WORD_0 src1_sel:DWORD
	v_mul_u32_u24_sdwa v20, v24, s15 dst_sel:DWORD dst_unused:UNUSED_PAD src0_sel:WORD_1 src1_sel:DWORD
	v_mul_u32_u24_sdwa v21, v25, s15 dst_sel:DWORD dst_unused:UNUSED_PAD src0_sel:WORD_0 src1_sel:DWORD
	v_mul_u32_u24_sdwa v22, v25, s15 dst_sel:DWORD dst_unused:UNUSED_PAD src0_sel:WORD_1 src1_sel:DWORD
	;; [unrolled: 2-line block ×4, first 2 shown]
	v_pk_fma_f16 v27, v10, v19, v34
	v_pk_fma_f16 v28, v10, v20, v35
	v_pk_fma_f16 v30, v10, v21, v36
	v_pk_fma_f16 v32, v10, v22, v37
	v_pk_fma_f16 v33, v10, v23, v38
	v_pk_fma_f16 v29, v10, v24, v29
	v_pk_fma_f16 v31, v10, v25, v31
	v_pk_fma_f16 v34, v10, v26, v8
	v_pk_fma_f16 v19, v11, v19, v15
	v_pk_fma_f16 v20, v11, v20, v12
	v_pk_fma_f16 v16, v11, v21, v16
	v_pk_fma_f16 v21, v11, v22, v13
	v_pk_fma_f16 v17, v11, v23, v17
	v_pk_fma_f16 v22, v11, v24, v14
	v_pk_fma_f16 v18, v11, v25, v18
	v_pk_fma_f16 v23, v11, v26, v9
	ds_read2_b64 v[8:11], v81 offset0:128 offset1:160
	ds_read_b128 v[12:15], v79 offset:320
	s_waitcnt lgkmcnt(0)
	v_mul_u32_u24_sdwa v24, v12, s15 dst_sel:DWORD dst_unused:UNUSED_PAD src0_sel:WORD_0 src1_sel:DWORD
	v_mul_u32_u24_sdwa v12, v12, s15 dst_sel:DWORD dst_unused:UNUSED_PAD src0_sel:WORD_1 src1_sel:DWORD
	v_mul_u32_u24_sdwa v25, v13, s15 dst_sel:DWORD dst_unused:UNUSED_PAD src0_sel:WORD_0 src1_sel:DWORD
	v_mul_u32_u24_sdwa v13, v13, s15 dst_sel:DWORD dst_unused:UNUSED_PAD src0_sel:WORD_1 src1_sel:DWORD
	;; [unrolled: 2-line block ×4, first 2 shown]
	v_pk_fma_f16 v27, v8, v24, v27
	v_pk_fma_f16 v28, v8, v12, v28
	;; [unrolled: 1-line block ×16, first 2 shown]
	ds_read_b128 v[12:15], v79 offset:336
	s_waitcnt lgkmcnt(0)
	v_mul_u32_u24_sdwa v23, v12, s15 dst_sel:DWORD dst_unused:UNUSED_PAD src0_sel:WORD_0 src1_sel:DWORD
	v_mul_u32_u24_sdwa v12, v12, s15 dst_sel:DWORD dst_unused:UNUSED_PAD src0_sel:WORD_1 src1_sel:DWORD
	v_mul_u32_u24_sdwa v24, v13, s15 dst_sel:DWORD dst_unused:UNUSED_PAD src0_sel:WORD_0 src1_sel:DWORD
	v_mul_u32_u24_sdwa v13, v13, s15 dst_sel:DWORD dst_unused:UNUSED_PAD src0_sel:WORD_1 src1_sel:DWORD
	;; [unrolled: 2-line block ×4, first 2 shown]
	v_pk_fma_f16 v27, v10, v23, v27
	v_pk_fma_f16 v28, v10, v12, v28
	;; [unrolled: 1-line block ×16, first 2 shown]
	ds_read2_b64 v[8:11], v81 offset0:192 offset1:224
	ds_read_b128 v[12:15], v79 offset:352
	s_waitcnt lgkmcnt(0)
	v_mul_u32_u24_sdwa v24, v12, s15 dst_sel:DWORD dst_unused:UNUSED_PAD src0_sel:WORD_0 src1_sel:DWORD
	v_mul_u32_u24_sdwa v12, v12, s15 dst_sel:DWORD dst_unused:UNUSED_PAD src0_sel:WORD_1 src1_sel:DWORD
	v_mul_u32_u24_sdwa v25, v13, s15 dst_sel:DWORD dst_unused:UNUSED_PAD src0_sel:WORD_0 src1_sel:DWORD
	v_mul_u32_u24_sdwa v13, v13, s15 dst_sel:DWORD dst_unused:UNUSED_PAD src0_sel:WORD_1 src1_sel:DWORD
	v_mul_u32_u24_sdwa v26, v14, s15 dst_sel:DWORD dst_unused:UNUSED_PAD src0_sel:WORD_0 src1_sel:DWORD
	v_mul_u32_u24_sdwa v14, v14, s15 dst_sel:DWORD dst_unused:UNUSED_PAD src0_sel:WORD_1 src1_sel:DWORD
	v_mul_u32_u24_sdwa v35, v15, s15 dst_sel:DWORD dst_unused:UNUSED_PAD src0_sel:WORD_0 src1_sel:DWORD
	v_mul_u32_u24_sdwa v15, v15, s15 dst_sel:DWORD dst_unused:UNUSED_PAD src0_sel:WORD_1 src1_sel:DWORD
	v_pk_fma_f16 v27, v8, v24, v27
	v_pk_fma_f16 v28, v8, v12, v28
	;; [unrolled: 1-line block ×16, first 2 shown]
	ds_read_b128 v[12:15], v79 offset:368
	s_waitcnt lgkmcnt(0)
	v_mul_u32_u24_sdwa v23, v12, s15 dst_sel:DWORD dst_unused:UNUSED_PAD src0_sel:WORD_0 src1_sel:DWORD
	v_mul_u32_u24_sdwa v12, v12, s15 dst_sel:DWORD dst_unused:UNUSED_PAD src0_sel:WORD_1 src1_sel:DWORD
	v_mul_u32_u24_sdwa v24, v13, s15 dst_sel:DWORD dst_unused:UNUSED_PAD src0_sel:WORD_0 src1_sel:DWORD
	v_mul_u32_u24_sdwa v13, v13, s15 dst_sel:DWORD dst_unused:UNUSED_PAD src0_sel:WORD_1 src1_sel:DWORD
	;; [unrolled: 2-line block ×4, first 2 shown]
	v_pk_fma_f16 v27, v10, v23, v27
	v_pk_fma_f16 v28, v10, v12, v28
	;; [unrolled: 1-line block ×16, first 2 shown]
	ds_read2_b64 v[8:11], v84 offset1:32
	ds_read_b128 v[12:15], v79 offset:384
	s_waitcnt lgkmcnt(0)
	v_mul_u32_u24_sdwa v24, v12, s15 dst_sel:DWORD dst_unused:UNUSED_PAD src0_sel:WORD_0 src1_sel:DWORD
	v_mul_u32_u24_sdwa v12, v12, s15 dst_sel:DWORD dst_unused:UNUSED_PAD src0_sel:WORD_1 src1_sel:DWORD
	v_mul_u32_u24_sdwa v25, v13, s15 dst_sel:DWORD dst_unused:UNUSED_PAD src0_sel:WORD_0 src1_sel:DWORD
	v_mul_u32_u24_sdwa v13, v13, s15 dst_sel:DWORD dst_unused:UNUSED_PAD src0_sel:WORD_1 src1_sel:DWORD
	v_mul_u32_u24_sdwa v26, v14, s15 dst_sel:DWORD dst_unused:UNUSED_PAD src0_sel:WORD_0 src1_sel:DWORD
	v_mul_u32_u24_sdwa v14, v14, s15 dst_sel:DWORD dst_unused:UNUSED_PAD src0_sel:WORD_1 src1_sel:DWORD
	v_mul_u32_u24_sdwa v35, v15, s15 dst_sel:DWORD dst_unused:UNUSED_PAD src0_sel:WORD_0 src1_sel:DWORD
	v_mul_u32_u24_sdwa v15, v15, s15 dst_sel:DWORD dst_unused:UNUSED_PAD src0_sel:WORD_1 src1_sel:DWORD
	v_pk_fma_f16 v27, v8, v24, v27
	v_pk_fma_f16 v28, v8, v12, v28
	v_pk_fma_f16 v30, v8, v25, v30
	v_pk_fma_f16 v32, v8, v13, v32
	v_pk_fma_f16 v33, v8, v26, v33
	v_pk_fma_f16 v29, v8, v14, v29
	v_pk_fma_f16 v31, v8, v35, v31
	v_pk_fma_f16 v8, v8, v15, v34
	v_pk_fma_f16 v19, v9, v24, v19
	v_pk_fma_f16 v20, v9, v12, v20
	v_pk_fma_f16 v16, v9, v25, v16
	v_pk_fma_f16 v21, v9, v13, v21
	v_pk_fma_f16 v17, v9, v26, v17
	v_pk_fma_f16 v22, v9, v14, v22
	v_pk_fma_f16 v18, v9, v35, v18
	v_pk_fma_f16 v9, v9, v15, v23
	ds_read_b128 v[12:15], v79 offset:400
	s_waitcnt lgkmcnt(0)
	v_mul_u32_u24_sdwa v23, v12, s15 dst_sel:DWORD dst_unused:UNUSED_PAD src0_sel:WORD_0 src1_sel:DWORD
	v_mul_u32_u24_sdwa v12, v12, s15 dst_sel:DWORD dst_unused:UNUSED_PAD src0_sel:WORD_1 src1_sel:DWORD
	v_mul_u32_u24_sdwa v24, v13, s15 dst_sel:DWORD dst_unused:UNUSED_PAD src0_sel:WORD_0 src1_sel:DWORD
	v_mul_u32_u24_sdwa v13, v13, s15 dst_sel:DWORD dst_unused:UNUSED_PAD src0_sel:WORD_1 src1_sel:DWORD
	v_mul_u32_u24_sdwa v25, v14, s15 dst_sel:DWORD dst_unused:UNUSED_PAD src0_sel:WORD_0 src1_sel:DWORD
	v_mul_u32_u24_sdwa v14, v14, s15 dst_sel:DWORD dst_unused:UNUSED_PAD src0_sel:WORD_1 src1_sel:DWORD
	v_mul_u32_u24_sdwa v26, v15, s15 dst_sel:DWORD dst_unused:UNUSED_PAD src0_sel:WORD_0 src1_sel:DWORD
	v_mul_u32_u24_sdwa v15, v15, s15 dst_sel:DWORD dst_unused:UNUSED_PAD src0_sel:WORD_1 src1_sel:DWORD
	v_pk_fma_f16 v27, v10, v23, v27
	v_pk_fma_f16 v28, v10, v12, v28
	v_pk_fma_f16 v30, v10, v24, v30
	v_pk_fma_f16 v32, v10, v13, v32
	v_pk_fma_f16 v33, v10, v25, v33
	v_pk_fma_f16 v29, v10, v14, v29
	v_pk_fma_f16 v31, v10, v26, v31
	v_pk_fma_f16 v34, v10, v15, v8
	v_pk_fma_f16 v19, v11, v23, v19
	v_pk_fma_f16 v20, v11, v12, v20
	v_pk_fma_f16 v16, v11, v24, v16
	v_pk_fma_f16 v21, v11, v13, v21
	v_pk_fma_f16 v17, v11, v25, v17
	v_pk_fma_f16 v22, v11, v14, v22
	v_pk_fma_f16 v18, v11, v26, v18
	v_pk_fma_f16 v23, v11, v15, v9
	ds_read2_b64 v[8:11], v84 offset0:64 offset1:96
	ds_read_b128 v[12:15], v79 offset:416
	s_waitcnt lgkmcnt(0)
	v_mul_u32_u24_sdwa v24, v12, s15 dst_sel:DWORD dst_unused:UNUSED_PAD src0_sel:WORD_0 src1_sel:DWORD
	v_mul_u32_u24_sdwa v12, v12, s15 dst_sel:DWORD dst_unused:UNUSED_PAD src0_sel:WORD_1 src1_sel:DWORD
	v_mul_u32_u24_sdwa v25, v13, s15 dst_sel:DWORD dst_unused:UNUSED_PAD src0_sel:WORD_0 src1_sel:DWORD
	v_mul_u32_u24_sdwa v13, v13, s15 dst_sel:DWORD dst_unused:UNUSED_PAD src0_sel:WORD_1 src1_sel:DWORD
	v_mul_u32_u24_sdwa v26, v14, s15 dst_sel:DWORD dst_unused:UNUSED_PAD src0_sel:WORD_0 src1_sel:DWORD
	v_mul_u32_u24_sdwa v14, v14, s15 dst_sel:DWORD dst_unused:UNUSED_PAD src0_sel:WORD_1 src1_sel:DWORD
	v_mul_u32_u24_sdwa v35, v15, s15 dst_sel:DWORD dst_unused:UNUSED_PAD src0_sel:WORD_0 src1_sel:DWORD
	v_mul_u32_u24_sdwa v15, v15, s15 dst_sel:DWORD dst_unused:UNUSED_PAD src0_sel:WORD_1 src1_sel:DWORD
	v_pk_fma_f16 v27, v8, v24, v27
	v_pk_fma_f16 v28, v8, v12, v28
	v_pk_fma_f16 v30, v8, v25, v30
	v_pk_fma_f16 v32, v8, v13, v32
	v_pk_fma_f16 v33, v8, v26, v33
	v_pk_fma_f16 v29, v8, v14, v29
	v_pk_fma_f16 v31, v8, v35, v31
	v_pk_fma_f16 v8, v8, v15, v34
	v_pk_fma_f16 v19, v9, v24, v19
	v_pk_fma_f16 v20, v9, v12, v20
	v_pk_fma_f16 v16, v9, v25, v16
	v_pk_fma_f16 v21, v9, v13, v21
	v_pk_fma_f16 v17, v9, v26, v17
	v_pk_fma_f16 v22, v9, v14, v22
	v_pk_fma_f16 v18, v9, v35, v18
	v_pk_fma_f16 v9, v9, v15, v23
	ds_read_b128 v[12:15], v79 offset:432
	s_waitcnt lgkmcnt(0)
	v_mul_u32_u24_sdwa v23, v12, s15 dst_sel:DWORD dst_unused:UNUSED_PAD src0_sel:WORD_0 src1_sel:DWORD
	v_mul_u32_u24_sdwa v12, v12, s15 dst_sel:DWORD dst_unused:UNUSED_PAD src0_sel:WORD_1 src1_sel:DWORD
	v_mul_u32_u24_sdwa v24, v13, s15 dst_sel:DWORD dst_unused:UNUSED_PAD src0_sel:WORD_0 src1_sel:DWORD
	v_mul_u32_u24_sdwa v13, v13, s15 dst_sel:DWORD dst_unused:UNUSED_PAD src0_sel:WORD_1 src1_sel:DWORD
	v_mul_u32_u24_sdwa v25, v14, s15 dst_sel:DWORD dst_unused:UNUSED_PAD src0_sel:WORD_0 src1_sel:DWORD
	v_mul_u32_u24_sdwa v14, v14, s15 dst_sel:DWORD dst_unused:UNUSED_PAD src0_sel:WORD_1 src1_sel:DWORD
	v_mul_u32_u24_sdwa v26, v15, s15 dst_sel:DWORD dst_unused:UNUSED_PAD src0_sel:WORD_0 src1_sel:DWORD
	v_mul_u32_u24_sdwa v15, v15, s15 dst_sel:DWORD dst_unused:UNUSED_PAD src0_sel:WORD_1 src1_sel:DWORD
	v_pk_fma_f16 v27, v10, v23, v27
	v_pk_fma_f16 v28, v10, v12, v28
	v_pk_fma_f16 v30, v10, v24, v30
	v_pk_fma_f16 v32, v10, v13, v32
	v_pk_fma_f16 v33, v10, v25, v33
	v_pk_fma_f16 v29, v10, v14, v29
	v_pk_fma_f16 v31, v10, v26, v31
	v_pk_fma_f16 v34, v10, v15, v8
	v_pk_fma_f16 v19, v11, v23, v19
	v_pk_fma_f16 v20, v11, v12, v20
	v_pk_fma_f16 v16, v11, v24, v16
	v_pk_fma_f16 v21, v11, v13, v21
	v_pk_fma_f16 v17, v11, v25, v17
	v_pk_fma_f16 v22, v11, v14, v22
	v_pk_fma_f16 v18, v11, v26, v18
	v_pk_fma_f16 v23, v11, v15, v9
	ds_read2_b64 v[8:11], v84 offset0:128 offset1:160
	;; [unrolled: 53-line block ×3, first 2 shown]
	ds_read_b128 v[12:15], v79 offset:480
	s_waitcnt lgkmcnt(0)
	v_mul_u32_u24_sdwa v24, v12, s15 dst_sel:DWORD dst_unused:UNUSED_PAD src0_sel:WORD_0 src1_sel:DWORD
	v_mul_u32_u24_sdwa v12, v12, s15 dst_sel:DWORD dst_unused:UNUSED_PAD src0_sel:WORD_1 src1_sel:DWORD
	v_mul_u32_u24_sdwa v25, v13, s15 dst_sel:DWORD dst_unused:UNUSED_PAD src0_sel:WORD_0 src1_sel:DWORD
	v_mul_u32_u24_sdwa v13, v13, s15 dst_sel:DWORD dst_unused:UNUSED_PAD src0_sel:WORD_1 src1_sel:DWORD
	;; [unrolled: 2-line block ×4, first 2 shown]
	v_pk_fma_f16 v27, v8, v24, v27
	v_pk_fma_f16 v28, v8, v12, v28
	;; [unrolled: 1-line block ×16, first 2 shown]
	ds_read_b128 v[12:15], v79 offset:496
	s_waitcnt lgkmcnt(0)
	s_barrier
	v_mul_u32_u24_sdwa v26, v15, s15 dst_sel:DWORD dst_unused:UNUSED_PAD src0_sel:WORD_0 src1_sel:DWORD
	v_mul_u32_u24_sdwa v15, v15, s15 dst_sel:DWORD dst_unused:UNUSED_PAD src0_sel:WORD_1 src1_sel:DWORD
	v_mul_u32_u24_sdwa v23, v12, s15 dst_sel:DWORD dst_unused:UNUSED_PAD src0_sel:WORD_0 src1_sel:DWORD
	v_mul_u32_u24_sdwa v12, v12, s15 dst_sel:DWORD dst_unused:UNUSED_PAD src0_sel:WORD_1 src1_sel:DWORD
	;; [unrolled: 2-line block ×4, first 2 shown]
	v_pk_fma_f16 v35, v10, v15, v8
	v_pk_fma_f16 v85, v11, v15, v9
	v_lshl_add_u64 v[8:9], s[6:7], 2, v[50:51]
	v_pk_fma_f16 v34, v10, v23, v27
	v_pk_fma_f16 v28, v10, v12, v28
	;; [unrolled: 1-line block ×14, first 2 shown]
	global_load_dwordx4 v[8:11], v[8:9], off
	s_or_b32 s6, s2, 48
	s_mul_hi_i32 s7, s6, s10
	s_mul_i32 s6, s6, s10
	s_waitcnt vmcnt(0)
	ds_write_b128 v80, v[8:11]
	s_waitcnt lgkmcnt(0)
	s_barrier
	ds_read2_b64 v[8:11], v81 offset1:32
	ds_read_b128 v[12:15], v79 offset:512
	ds_read_b128 v[16:19], v79 offset:528
	;; [unrolled: 1-line block ×4, first 2 shown]
	s_waitcnt lgkmcnt(3)
	v_mul_u32_u24_sdwa v86, v12, s15 dst_sel:DWORD dst_unused:UNUSED_PAD src0_sel:WORD_0 src1_sel:DWORD
	v_mul_u32_u24_sdwa v12, v12, s15 dst_sel:DWORD dst_unused:UNUSED_PAD src0_sel:WORD_1 src1_sel:DWORD
	v_mul_u32_u24_sdwa v87, v13, s15 dst_sel:DWORD dst_unused:UNUSED_PAD src0_sel:WORD_0 src1_sel:DWORD
	v_mul_u32_u24_sdwa v13, v13, s15 dst_sel:DWORD dst_unused:UNUSED_PAD src0_sel:WORD_1 src1_sel:DWORD
	;; [unrolled: 2-line block ×4, first 2 shown]
	v_pk_fma_f16 v34, v8, v86, v34
	v_pk_fma_f16 v28, v8, v12, v28
	;; [unrolled: 1-line block ×16, first 2 shown]
	s_waitcnt lgkmcnt(2)
	v_mul_u32_u24_sdwa v15, v16, s15 dst_sel:DWORD dst_unused:UNUSED_PAD src0_sel:WORD_0 src1_sel:DWORD
	v_mul_u32_u24_sdwa v16, v16, s15 dst_sel:DWORD dst_unused:UNUSED_PAD src0_sel:WORD_1 src1_sel:DWORD
	v_mul_u32_u24_sdwa v39, v17, s15 dst_sel:DWORD dst_unused:UNUSED_PAD src0_sel:WORD_0 src1_sel:DWORD
	v_mul_u32_u24_sdwa v17, v17, s15 dst_sel:DWORD dst_unused:UNUSED_PAD src0_sel:WORD_1 src1_sel:DWORD
	;; [unrolled: 2-line block ×4, first 2 shown]
	v_pk_fma_f16 v34, v10, v15, v34
	v_pk_fma_f16 v28, v10, v16, v28
	;; [unrolled: 1-line block ×16, first 2 shown]
	ds_read2_b64 v[8:11], v81 offset0:64 offset1:96
	s_waitcnt lgkmcnt(2)
	v_mul_u32_u24_sdwa v35, v20, s15 dst_sel:DWORD dst_unused:UNUSED_PAD src0_sel:WORD_0 src1_sel:DWORD
	v_mul_u32_u24_sdwa v20, v20, s15 dst_sel:DWORD dst_unused:UNUSED_PAD src0_sel:WORD_1 src1_sel:DWORD
	v_mul_u32_u24_sdwa v36, v21, s15 dst_sel:DWORD dst_unused:UNUSED_PAD src0_sel:WORD_0 src1_sel:DWORD
	v_mul_u32_u24_sdwa v21, v21, s15 dst_sel:DWORD dst_unused:UNUSED_PAD src0_sel:WORD_1 src1_sel:DWORD
	;; [unrolled: 2-line block ×4, first 2 shown]
	s_waitcnt lgkmcnt(0)
	v_pk_fma_f16 v34, v8, v35, v34
	v_pk_fma_f16 v28, v8, v20, v28
	;; [unrolled: 1-line block ×16, first 2 shown]
	v_mul_u32_u24_sdwa v19, v24, s15 dst_sel:DWORD dst_unused:UNUSED_PAD src0_sel:WORD_0 src1_sel:DWORD
	v_mul_u32_u24_sdwa v20, v24, s15 dst_sel:DWORD dst_unused:UNUSED_PAD src0_sel:WORD_1 src1_sel:DWORD
	v_mul_u32_u24_sdwa v21, v25, s15 dst_sel:DWORD dst_unused:UNUSED_PAD src0_sel:WORD_0 src1_sel:DWORD
	v_mul_u32_u24_sdwa v22, v25, s15 dst_sel:DWORD dst_unused:UNUSED_PAD src0_sel:WORD_1 src1_sel:DWORD
	;; [unrolled: 2-line block ×4, first 2 shown]
	v_pk_fma_f16 v27, v10, v19, v34
	v_pk_fma_f16 v28, v10, v20, v28
	;; [unrolled: 1-line block ×16, first 2 shown]
	ds_read2_b64 v[8:11], v81 offset0:128 offset1:160
	ds_read_b128 v[12:15], v79 offset:576
	s_waitcnt lgkmcnt(0)
	v_mul_u32_u24_sdwa v24, v12, s15 dst_sel:DWORD dst_unused:UNUSED_PAD src0_sel:WORD_0 src1_sel:DWORD
	v_mul_u32_u24_sdwa v12, v12, s15 dst_sel:DWORD dst_unused:UNUSED_PAD src0_sel:WORD_1 src1_sel:DWORD
	v_mul_u32_u24_sdwa v25, v13, s15 dst_sel:DWORD dst_unused:UNUSED_PAD src0_sel:WORD_0 src1_sel:DWORD
	v_mul_u32_u24_sdwa v13, v13, s15 dst_sel:DWORD dst_unused:UNUSED_PAD src0_sel:WORD_1 src1_sel:DWORD
	;; [unrolled: 2-line block ×4, first 2 shown]
	v_pk_fma_f16 v27, v8, v24, v27
	v_pk_fma_f16 v28, v8, v12, v28
	;; [unrolled: 1-line block ×16, first 2 shown]
	ds_read_b128 v[12:15], v79 offset:592
	s_waitcnt lgkmcnt(0)
	v_mul_u32_u24_sdwa v23, v12, s15 dst_sel:DWORD dst_unused:UNUSED_PAD src0_sel:WORD_0 src1_sel:DWORD
	v_mul_u32_u24_sdwa v12, v12, s15 dst_sel:DWORD dst_unused:UNUSED_PAD src0_sel:WORD_1 src1_sel:DWORD
	v_mul_u32_u24_sdwa v24, v13, s15 dst_sel:DWORD dst_unused:UNUSED_PAD src0_sel:WORD_0 src1_sel:DWORD
	v_mul_u32_u24_sdwa v13, v13, s15 dst_sel:DWORD dst_unused:UNUSED_PAD src0_sel:WORD_1 src1_sel:DWORD
	;; [unrolled: 2-line block ×4, first 2 shown]
	v_pk_fma_f16 v27, v10, v23, v27
	v_pk_fma_f16 v28, v10, v12, v28
	;; [unrolled: 1-line block ×16, first 2 shown]
	ds_read2_b64 v[8:11], v81 offset0:192 offset1:224
	ds_read_b128 v[12:15], v79 offset:608
	s_waitcnt lgkmcnt(0)
	v_mul_u32_u24_sdwa v24, v12, s15 dst_sel:DWORD dst_unused:UNUSED_PAD src0_sel:WORD_0 src1_sel:DWORD
	v_mul_u32_u24_sdwa v12, v12, s15 dst_sel:DWORD dst_unused:UNUSED_PAD src0_sel:WORD_1 src1_sel:DWORD
	v_mul_u32_u24_sdwa v25, v13, s15 dst_sel:DWORD dst_unused:UNUSED_PAD src0_sel:WORD_0 src1_sel:DWORD
	v_mul_u32_u24_sdwa v13, v13, s15 dst_sel:DWORD dst_unused:UNUSED_PAD src0_sel:WORD_1 src1_sel:DWORD
	;; [unrolled: 2-line block ×4, first 2 shown]
	v_pk_fma_f16 v27, v8, v24, v27
	v_pk_fma_f16 v28, v8, v12, v28
	;; [unrolled: 1-line block ×16, first 2 shown]
	ds_read_b128 v[12:15], v79 offset:624
	s_waitcnt lgkmcnt(0)
	v_mul_u32_u24_sdwa v23, v12, s15 dst_sel:DWORD dst_unused:UNUSED_PAD src0_sel:WORD_0 src1_sel:DWORD
	v_mul_u32_u24_sdwa v12, v12, s15 dst_sel:DWORD dst_unused:UNUSED_PAD src0_sel:WORD_1 src1_sel:DWORD
	v_mul_u32_u24_sdwa v24, v13, s15 dst_sel:DWORD dst_unused:UNUSED_PAD src0_sel:WORD_0 src1_sel:DWORD
	v_mul_u32_u24_sdwa v13, v13, s15 dst_sel:DWORD dst_unused:UNUSED_PAD src0_sel:WORD_1 src1_sel:DWORD
	;; [unrolled: 2-line block ×4, first 2 shown]
	v_pk_fma_f16 v27, v10, v23, v27
	v_pk_fma_f16 v28, v10, v12, v28
	;; [unrolled: 1-line block ×16, first 2 shown]
	ds_read2_b64 v[8:11], v84 offset1:32
	ds_read_b128 v[12:15], v79 offset:640
	s_waitcnt lgkmcnt(0)
	v_mul_u32_u24_sdwa v24, v12, s15 dst_sel:DWORD dst_unused:UNUSED_PAD src0_sel:WORD_0 src1_sel:DWORD
	v_mul_u32_u24_sdwa v12, v12, s15 dst_sel:DWORD dst_unused:UNUSED_PAD src0_sel:WORD_1 src1_sel:DWORD
	v_mul_u32_u24_sdwa v25, v13, s15 dst_sel:DWORD dst_unused:UNUSED_PAD src0_sel:WORD_0 src1_sel:DWORD
	v_mul_u32_u24_sdwa v13, v13, s15 dst_sel:DWORD dst_unused:UNUSED_PAD src0_sel:WORD_1 src1_sel:DWORD
	v_mul_u32_u24_sdwa v26, v14, s15 dst_sel:DWORD dst_unused:UNUSED_PAD src0_sel:WORD_0 src1_sel:DWORD
	v_mul_u32_u24_sdwa v14, v14, s15 dst_sel:DWORD dst_unused:UNUSED_PAD src0_sel:WORD_1 src1_sel:DWORD
	v_mul_u32_u24_sdwa v35, v15, s15 dst_sel:DWORD dst_unused:UNUSED_PAD src0_sel:WORD_0 src1_sel:DWORD
	v_mul_u32_u24_sdwa v15, v15, s15 dst_sel:DWORD dst_unused:UNUSED_PAD src0_sel:WORD_1 src1_sel:DWORD
	v_pk_fma_f16 v27, v8, v24, v27
	v_pk_fma_f16 v28, v8, v12, v28
	v_pk_fma_f16 v30, v8, v25, v30
	v_pk_fma_f16 v32, v8, v13, v32
	v_pk_fma_f16 v33, v8, v26, v33
	v_pk_fma_f16 v29, v8, v14, v29
	v_pk_fma_f16 v31, v8, v35, v31
	v_pk_fma_f16 v8, v8, v15, v34
	v_pk_fma_f16 v19, v9, v24, v19
	v_pk_fma_f16 v20, v9, v12, v20
	v_pk_fma_f16 v16, v9, v25, v16
	v_pk_fma_f16 v21, v9, v13, v21
	v_pk_fma_f16 v17, v9, v26, v17
	v_pk_fma_f16 v22, v9, v14, v22
	v_pk_fma_f16 v18, v9, v35, v18
	v_pk_fma_f16 v9, v9, v15, v23
	ds_read_b128 v[12:15], v79 offset:656
	s_waitcnt lgkmcnt(0)
	v_mul_u32_u24_sdwa v23, v12, s15 dst_sel:DWORD dst_unused:UNUSED_PAD src0_sel:WORD_0 src1_sel:DWORD
	v_mul_u32_u24_sdwa v12, v12, s15 dst_sel:DWORD dst_unused:UNUSED_PAD src0_sel:WORD_1 src1_sel:DWORD
	v_mul_u32_u24_sdwa v24, v13, s15 dst_sel:DWORD dst_unused:UNUSED_PAD src0_sel:WORD_0 src1_sel:DWORD
	v_mul_u32_u24_sdwa v13, v13, s15 dst_sel:DWORD dst_unused:UNUSED_PAD src0_sel:WORD_1 src1_sel:DWORD
	v_mul_u32_u24_sdwa v25, v14, s15 dst_sel:DWORD dst_unused:UNUSED_PAD src0_sel:WORD_0 src1_sel:DWORD
	v_mul_u32_u24_sdwa v14, v14, s15 dst_sel:DWORD dst_unused:UNUSED_PAD src0_sel:WORD_1 src1_sel:DWORD
	v_mul_u32_u24_sdwa v26, v15, s15 dst_sel:DWORD dst_unused:UNUSED_PAD src0_sel:WORD_0 src1_sel:DWORD
	v_mul_u32_u24_sdwa v15, v15, s15 dst_sel:DWORD dst_unused:UNUSED_PAD src0_sel:WORD_1 src1_sel:DWORD
	v_pk_fma_f16 v27, v10, v23, v27
	v_pk_fma_f16 v28, v10, v12, v28
	v_pk_fma_f16 v30, v10, v24, v30
	v_pk_fma_f16 v32, v10, v13, v32
	v_pk_fma_f16 v33, v10, v25, v33
	v_pk_fma_f16 v29, v10, v14, v29
	v_pk_fma_f16 v31, v10, v26, v31
	v_pk_fma_f16 v34, v10, v15, v8
	v_pk_fma_f16 v19, v11, v23, v19
	v_pk_fma_f16 v20, v11, v12, v20
	v_pk_fma_f16 v16, v11, v24, v16
	v_pk_fma_f16 v21, v11, v13, v21
	v_pk_fma_f16 v17, v11, v25, v17
	v_pk_fma_f16 v22, v11, v14, v22
	v_pk_fma_f16 v18, v11, v26, v18
	v_pk_fma_f16 v23, v11, v15, v9
	ds_read2_b64 v[8:11], v84 offset0:64 offset1:96
	ds_read_b128 v[12:15], v79 offset:672
	s_waitcnt lgkmcnt(0)
	v_mul_u32_u24_sdwa v24, v12, s15 dst_sel:DWORD dst_unused:UNUSED_PAD src0_sel:WORD_0 src1_sel:DWORD
	v_mul_u32_u24_sdwa v12, v12, s15 dst_sel:DWORD dst_unused:UNUSED_PAD src0_sel:WORD_1 src1_sel:DWORD
	v_mul_u32_u24_sdwa v25, v13, s15 dst_sel:DWORD dst_unused:UNUSED_PAD src0_sel:WORD_0 src1_sel:DWORD
	v_mul_u32_u24_sdwa v13, v13, s15 dst_sel:DWORD dst_unused:UNUSED_PAD src0_sel:WORD_1 src1_sel:DWORD
	v_mul_u32_u24_sdwa v26, v14, s15 dst_sel:DWORD dst_unused:UNUSED_PAD src0_sel:WORD_0 src1_sel:DWORD
	v_mul_u32_u24_sdwa v14, v14, s15 dst_sel:DWORD dst_unused:UNUSED_PAD src0_sel:WORD_1 src1_sel:DWORD
	v_mul_u32_u24_sdwa v35, v15, s15 dst_sel:DWORD dst_unused:UNUSED_PAD src0_sel:WORD_0 src1_sel:DWORD
	v_mul_u32_u24_sdwa v15, v15, s15 dst_sel:DWORD dst_unused:UNUSED_PAD src0_sel:WORD_1 src1_sel:DWORD
	v_pk_fma_f16 v27, v8, v24, v27
	v_pk_fma_f16 v28, v8, v12, v28
	v_pk_fma_f16 v30, v8, v25, v30
	v_pk_fma_f16 v32, v8, v13, v32
	v_pk_fma_f16 v33, v8, v26, v33
	v_pk_fma_f16 v29, v8, v14, v29
	v_pk_fma_f16 v31, v8, v35, v31
	v_pk_fma_f16 v8, v8, v15, v34
	v_pk_fma_f16 v19, v9, v24, v19
	v_pk_fma_f16 v20, v9, v12, v20
	v_pk_fma_f16 v16, v9, v25, v16
	v_pk_fma_f16 v21, v9, v13, v21
	v_pk_fma_f16 v17, v9, v26, v17
	v_pk_fma_f16 v22, v9, v14, v22
	v_pk_fma_f16 v18, v9, v35, v18
	v_pk_fma_f16 v9, v9, v15, v23
	ds_read_b128 v[12:15], v79 offset:688
	s_waitcnt lgkmcnt(0)
	v_mul_u32_u24_sdwa v23, v12, s15 dst_sel:DWORD dst_unused:UNUSED_PAD src0_sel:WORD_0 src1_sel:DWORD
	v_mul_u32_u24_sdwa v12, v12, s15 dst_sel:DWORD dst_unused:UNUSED_PAD src0_sel:WORD_1 src1_sel:DWORD
	v_mul_u32_u24_sdwa v24, v13, s15 dst_sel:DWORD dst_unused:UNUSED_PAD src0_sel:WORD_0 src1_sel:DWORD
	v_mul_u32_u24_sdwa v13, v13, s15 dst_sel:DWORD dst_unused:UNUSED_PAD src0_sel:WORD_1 src1_sel:DWORD
	v_mul_u32_u24_sdwa v25, v14, s15 dst_sel:DWORD dst_unused:UNUSED_PAD src0_sel:WORD_0 src1_sel:DWORD
	v_mul_u32_u24_sdwa v14, v14, s15 dst_sel:DWORD dst_unused:UNUSED_PAD src0_sel:WORD_1 src1_sel:DWORD
	v_mul_u32_u24_sdwa v26, v15, s15 dst_sel:DWORD dst_unused:UNUSED_PAD src0_sel:WORD_0 src1_sel:DWORD
	v_mul_u32_u24_sdwa v15, v15, s15 dst_sel:DWORD dst_unused:UNUSED_PAD src0_sel:WORD_1 src1_sel:DWORD
	v_pk_fma_f16 v27, v10, v23, v27
	v_pk_fma_f16 v28, v10, v12, v28
	v_pk_fma_f16 v30, v10, v24, v30
	v_pk_fma_f16 v32, v10, v13, v32
	v_pk_fma_f16 v33, v10, v25, v33
	v_pk_fma_f16 v29, v10, v14, v29
	v_pk_fma_f16 v31, v10, v26, v31
	v_pk_fma_f16 v34, v10, v15, v8
	v_pk_fma_f16 v19, v11, v23, v19
	v_pk_fma_f16 v20, v11, v12, v20
	v_pk_fma_f16 v16, v11, v24, v16
	v_pk_fma_f16 v21, v11, v13, v21
	v_pk_fma_f16 v17, v11, v25, v17
	v_pk_fma_f16 v22, v11, v14, v22
	v_pk_fma_f16 v18, v11, v26, v18
	v_pk_fma_f16 v23, v11, v15, v9
	ds_read2_b64 v[8:11], v84 offset0:128 offset1:160
	;; [unrolled: 53-line block ×3, first 2 shown]
	ds_read_b128 v[12:15], v79 offset:736
	s_waitcnt lgkmcnt(0)
	v_mul_u32_u24_sdwa v24, v12, s15 dst_sel:DWORD dst_unused:UNUSED_PAD src0_sel:WORD_0 src1_sel:DWORD
	v_mul_u32_u24_sdwa v12, v12, s15 dst_sel:DWORD dst_unused:UNUSED_PAD src0_sel:WORD_1 src1_sel:DWORD
	v_mul_u32_u24_sdwa v25, v13, s15 dst_sel:DWORD dst_unused:UNUSED_PAD src0_sel:WORD_0 src1_sel:DWORD
	v_mul_u32_u24_sdwa v13, v13, s15 dst_sel:DWORD dst_unused:UNUSED_PAD src0_sel:WORD_1 src1_sel:DWORD
	;; [unrolled: 2-line block ×4, first 2 shown]
	v_pk_fma_f16 v27, v8, v24, v27
	v_pk_fma_f16 v28, v8, v12, v28
	;; [unrolled: 1-line block ×16, first 2 shown]
	ds_read_b128 v[12:15], v79 offset:752
	s_waitcnt lgkmcnt(0)
	s_barrier
	v_mul_u32_u24_sdwa v26, v15, s15 dst_sel:DWORD dst_unused:UNUSED_PAD src0_sel:WORD_0 src1_sel:DWORD
	v_mul_u32_u24_sdwa v15, v15, s15 dst_sel:DWORD dst_unused:UNUSED_PAD src0_sel:WORD_1 src1_sel:DWORD
	v_mul_u32_u24_sdwa v23, v12, s15 dst_sel:DWORD dst_unused:UNUSED_PAD src0_sel:WORD_0 src1_sel:DWORD
	v_mul_u32_u24_sdwa v12, v12, s15 dst_sel:DWORD dst_unused:UNUSED_PAD src0_sel:WORD_1 src1_sel:DWORD
	;; [unrolled: 2-line block ×4, first 2 shown]
	v_pk_fma_f16 v35, v10, v15, v8
	v_pk_fma_f16 v85, v11, v15, v9
	v_lshl_add_u64 v[8:9], s[6:7], 2, v[50:51]
	v_pk_fma_f16 v34, v10, v23, v27
	v_pk_fma_f16 v28, v10, v12, v28
	;; [unrolled: 1-line block ×14, first 2 shown]
	global_load_dwordx4 v[8:11], v[8:9], off
	s_waitcnt vmcnt(0)
	ds_write_b128 v80, v[8:11]
	s_waitcnt lgkmcnt(0)
	s_barrier
	ds_read2_b64 v[8:11], v81 offset1:32
	ds_read_b128 v[12:15], v79 offset:768
	ds_read_b128 v[16:19], v79 offset:784
	;; [unrolled: 1-line block ×4, first 2 shown]
	s_waitcnt lgkmcnt(3)
	v_mul_u32_u24_sdwa v86, v12, s15 dst_sel:DWORD dst_unused:UNUSED_PAD src0_sel:WORD_0 src1_sel:DWORD
	v_mul_u32_u24_sdwa v12, v12, s15 dst_sel:DWORD dst_unused:UNUSED_PAD src0_sel:WORD_1 src1_sel:DWORD
	v_mul_u32_u24_sdwa v87, v13, s15 dst_sel:DWORD dst_unused:UNUSED_PAD src0_sel:WORD_0 src1_sel:DWORD
	v_mul_u32_u24_sdwa v13, v13, s15 dst_sel:DWORD dst_unused:UNUSED_PAD src0_sel:WORD_1 src1_sel:DWORD
	;; [unrolled: 2-line block ×4, first 2 shown]
	v_pk_fma_f16 v34, v8, v86, v34
	v_pk_fma_f16 v28, v8, v12, v28
	;; [unrolled: 1-line block ×16, first 2 shown]
	s_waitcnt lgkmcnt(2)
	v_mul_u32_u24_sdwa v15, v16, s15 dst_sel:DWORD dst_unused:UNUSED_PAD src0_sel:WORD_0 src1_sel:DWORD
	v_mul_u32_u24_sdwa v16, v16, s15 dst_sel:DWORD dst_unused:UNUSED_PAD src0_sel:WORD_1 src1_sel:DWORD
	v_mul_u32_u24_sdwa v39, v17, s15 dst_sel:DWORD dst_unused:UNUSED_PAD src0_sel:WORD_0 src1_sel:DWORD
	v_mul_u32_u24_sdwa v17, v17, s15 dst_sel:DWORD dst_unused:UNUSED_PAD src0_sel:WORD_1 src1_sel:DWORD
	;; [unrolled: 2-line block ×4, first 2 shown]
	v_pk_fma_f16 v34, v10, v15, v34
	v_pk_fma_f16 v28, v10, v16, v28
	;; [unrolled: 1-line block ×16, first 2 shown]
	ds_read2_b64 v[8:11], v81 offset0:64 offset1:96
	s_waitcnt lgkmcnt(2)
	v_mul_u32_u24_sdwa v35, v20, s15 dst_sel:DWORD dst_unused:UNUSED_PAD src0_sel:WORD_0 src1_sel:DWORD
	v_mul_u32_u24_sdwa v20, v20, s15 dst_sel:DWORD dst_unused:UNUSED_PAD src0_sel:WORD_1 src1_sel:DWORD
	v_mul_u32_u24_sdwa v36, v21, s15 dst_sel:DWORD dst_unused:UNUSED_PAD src0_sel:WORD_0 src1_sel:DWORD
	v_mul_u32_u24_sdwa v21, v21, s15 dst_sel:DWORD dst_unused:UNUSED_PAD src0_sel:WORD_1 src1_sel:DWORD
	;; [unrolled: 2-line block ×4, first 2 shown]
	s_waitcnt lgkmcnt(0)
	v_pk_fma_f16 v34, v8, v35, v34
	v_pk_fma_f16 v28, v8, v20, v28
	v_pk_fma_f16 v30, v8, v36, v30
	v_pk_fma_f16 v32, v8, v21, v32
	v_pk_fma_f16 v33, v8, v37, v33
	v_pk_fma_f16 v29, v8, v22, v29
	v_pk_fma_f16 v31, v8, v38, v31
	v_pk_fma_f16 v8, v8, v23, v55
	v_pk_fma_f16 v15, v9, v35, v15
	v_pk_fma_f16 v12, v9, v20, v12
	v_pk_fma_f16 v16, v9, v36, v16
	v_pk_fma_f16 v13, v9, v21, v13
	v_pk_fma_f16 v17, v9, v37, v17
	v_pk_fma_f16 v14, v9, v22, v14
	v_pk_fma_f16 v18, v9, v38, v18
	v_pk_fma_f16 v9, v9, v23, v19
	v_mul_u32_u24_sdwa v19, v24, s15 dst_sel:DWORD dst_unused:UNUSED_PAD src0_sel:WORD_0 src1_sel:DWORD
	v_mul_u32_u24_sdwa v20, v24, s15 dst_sel:DWORD dst_unused:UNUSED_PAD src0_sel:WORD_1 src1_sel:DWORD
	v_mul_u32_u24_sdwa v21, v25, s15 dst_sel:DWORD dst_unused:UNUSED_PAD src0_sel:WORD_0 src1_sel:DWORD
	v_mul_u32_u24_sdwa v22, v25, s15 dst_sel:DWORD dst_unused:UNUSED_PAD src0_sel:WORD_1 src1_sel:DWORD
	;; [unrolled: 2-line block ×4, first 2 shown]
	v_pk_fma_f16 v27, v10, v19, v34
	v_pk_fma_f16 v28, v10, v20, v28
	;; [unrolled: 1-line block ×16, first 2 shown]
	ds_read2_b64 v[8:11], v81 offset0:128 offset1:160
	ds_read_b128 v[12:15], v79 offset:832
	s_waitcnt lgkmcnt(0)
	v_mul_u32_u24_sdwa v24, v12, s15 dst_sel:DWORD dst_unused:UNUSED_PAD src0_sel:WORD_0 src1_sel:DWORD
	v_mul_u32_u24_sdwa v12, v12, s15 dst_sel:DWORD dst_unused:UNUSED_PAD src0_sel:WORD_1 src1_sel:DWORD
	v_mul_u32_u24_sdwa v25, v13, s15 dst_sel:DWORD dst_unused:UNUSED_PAD src0_sel:WORD_0 src1_sel:DWORD
	v_mul_u32_u24_sdwa v13, v13, s15 dst_sel:DWORD dst_unused:UNUSED_PAD src0_sel:WORD_1 src1_sel:DWORD
	;; [unrolled: 2-line block ×4, first 2 shown]
	v_pk_fma_f16 v27, v8, v24, v27
	v_pk_fma_f16 v28, v8, v12, v28
	;; [unrolled: 1-line block ×16, first 2 shown]
	ds_read_b128 v[12:15], v79 offset:848
	s_waitcnt lgkmcnt(0)
	v_mul_u32_u24_sdwa v23, v12, s15 dst_sel:DWORD dst_unused:UNUSED_PAD src0_sel:WORD_0 src1_sel:DWORD
	v_mul_u32_u24_sdwa v12, v12, s15 dst_sel:DWORD dst_unused:UNUSED_PAD src0_sel:WORD_1 src1_sel:DWORD
	v_mul_u32_u24_sdwa v24, v13, s15 dst_sel:DWORD dst_unused:UNUSED_PAD src0_sel:WORD_0 src1_sel:DWORD
	v_mul_u32_u24_sdwa v13, v13, s15 dst_sel:DWORD dst_unused:UNUSED_PAD src0_sel:WORD_1 src1_sel:DWORD
	;; [unrolled: 2-line block ×4, first 2 shown]
	v_pk_fma_f16 v27, v10, v23, v27
	v_pk_fma_f16 v28, v10, v12, v28
	;; [unrolled: 1-line block ×16, first 2 shown]
	ds_read2_b64 v[8:11], v81 offset0:192 offset1:224
	ds_read_b128 v[12:15], v79 offset:864
	s_waitcnt lgkmcnt(0)
	v_mul_u32_u24_sdwa v24, v12, s15 dst_sel:DWORD dst_unused:UNUSED_PAD src0_sel:WORD_0 src1_sel:DWORD
	v_mul_u32_u24_sdwa v12, v12, s15 dst_sel:DWORD dst_unused:UNUSED_PAD src0_sel:WORD_1 src1_sel:DWORD
	v_mul_u32_u24_sdwa v25, v13, s15 dst_sel:DWORD dst_unused:UNUSED_PAD src0_sel:WORD_0 src1_sel:DWORD
	v_mul_u32_u24_sdwa v13, v13, s15 dst_sel:DWORD dst_unused:UNUSED_PAD src0_sel:WORD_1 src1_sel:DWORD
	;; [unrolled: 2-line block ×4, first 2 shown]
	v_pk_fma_f16 v27, v8, v24, v27
	v_pk_fma_f16 v28, v8, v12, v28
	;; [unrolled: 1-line block ×16, first 2 shown]
	ds_read_b128 v[12:15], v79 offset:880
	s_waitcnt lgkmcnt(0)
	v_mul_u32_u24_sdwa v23, v12, s15 dst_sel:DWORD dst_unused:UNUSED_PAD src0_sel:WORD_0 src1_sel:DWORD
	v_mul_u32_u24_sdwa v12, v12, s15 dst_sel:DWORD dst_unused:UNUSED_PAD src0_sel:WORD_1 src1_sel:DWORD
	v_mul_u32_u24_sdwa v24, v13, s15 dst_sel:DWORD dst_unused:UNUSED_PAD src0_sel:WORD_0 src1_sel:DWORD
	v_mul_u32_u24_sdwa v13, v13, s15 dst_sel:DWORD dst_unused:UNUSED_PAD src0_sel:WORD_1 src1_sel:DWORD
	;; [unrolled: 2-line block ×4, first 2 shown]
	v_pk_fma_f16 v27, v10, v23, v27
	v_pk_fma_f16 v28, v10, v12, v28
	;; [unrolled: 1-line block ×16, first 2 shown]
	ds_read2_b64 v[8:11], v84 offset1:32
	ds_read_b128 v[12:15], v79 offset:896
	s_waitcnt lgkmcnt(0)
	v_mul_u32_u24_sdwa v24, v12, s15 dst_sel:DWORD dst_unused:UNUSED_PAD src0_sel:WORD_0 src1_sel:DWORD
	v_mul_u32_u24_sdwa v12, v12, s15 dst_sel:DWORD dst_unused:UNUSED_PAD src0_sel:WORD_1 src1_sel:DWORD
	v_mul_u32_u24_sdwa v25, v13, s15 dst_sel:DWORD dst_unused:UNUSED_PAD src0_sel:WORD_0 src1_sel:DWORD
	v_mul_u32_u24_sdwa v13, v13, s15 dst_sel:DWORD dst_unused:UNUSED_PAD src0_sel:WORD_1 src1_sel:DWORD
	v_mul_u32_u24_sdwa v26, v14, s15 dst_sel:DWORD dst_unused:UNUSED_PAD src0_sel:WORD_0 src1_sel:DWORD
	v_mul_u32_u24_sdwa v14, v14, s15 dst_sel:DWORD dst_unused:UNUSED_PAD src0_sel:WORD_1 src1_sel:DWORD
	v_mul_u32_u24_sdwa v35, v15, s15 dst_sel:DWORD dst_unused:UNUSED_PAD src0_sel:WORD_0 src1_sel:DWORD
	v_mul_u32_u24_sdwa v15, v15, s15 dst_sel:DWORD dst_unused:UNUSED_PAD src0_sel:WORD_1 src1_sel:DWORD
	v_pk_fma_f16 v27, v8, v24, v27
	v_pk_fma_f16 v28, v8, v12, v28
	v_pk_fma_f16 v30, v8, v25, v30
	v_pk_fma_f16 v32, v8, v13, v32
	v_pk_fma_f16 v33, v8, v26, v33
	v_pk_fma_f16 v29, v8, v14, v29
	v_pk_fma_f16 v31, v8, v35, v31
	v_pk_fma_f16 v8, v8, v15, v34
	v_pk_fma_f16 v19, v9, v24, v19
	v_pk_fma_f16 v20, v9, v12, v20
	v_pk_fma_f16 v16, v9, v25, v16
	v_pk_fma_f16 v21, v9, v13, v21
	v_pk_fma_f16 v17, v9, v26, v17
	v_pk_fma_f16 v22, v9, v14, v22
	v_pk_fma_f16 v18, v9, v35, v18
	v_pk_fma_f16 v9, v9, v15, v23
	ds_read_b128 v[12:15], v79 offset:912
	s_waitcnt lgkmcnt(0)
	v_mul_u32_u24_sdwa v23, v12, s15 dst_sel:DWORD dst_unused:UNUSED_PAD src0_sel:WORD_0 src1_sel:DWORD
	v_mul_u32_u24_sdwa v12, v12, s15 dst_sel:DWORD dst_unused:UNUSED_PAD src0_sel:WORD_1 src1_sel:DWORD
	v_mul_u32_u24_sdwa v24, v13, s15 dst_sel:DWORD dst_unused:UNUSED_PAD src0_sel:WORD_0 src1_sel:DWORD
	v_mul_u32_u24_sdwa v13, v13, s15 dst_sel:DWORD dst_unused:UNUSED_PAD src0_sel:WORD_1 src1_sel:DWORD
	v_mul_u32_u24_sdwa v25, v14, s15 dst_sel:DWORD dst_unused:UNUSED_PAD src0_sel:WORD_0 src1_sel:DWORD
	v_mul_u32_u24_sdwa v14, v14, s15 dst_sel:DWORD dst_unused:UNUSED_PAD src0_sel:WORD_1 src1_sel:DWORD
	v_mul_u32_u24_sdwa v26, v15, s15 dst_sel:DWORD dst_unused:UNUSED_PAD src0_sel:WORD_0 src1_sel:DWORD
	v_mul_u32_u24_sdwa v15, v15, s15 dst_sel:DWORD dst_unused:UNUSED_PAD src0_sel:WORD_1 src1_sel:DWORD
	v_pk_fma_f16 v27, v10, v23, v27
	v_pk_fma_f16 v28, v10, v12, v28
	v_pk_fma_f16 v30, v10, v24, v30
	v_pk_fma_f16 v32, v10, v13, v32
	v_pk_fma_f16 v33, v10, v25, v33
	v_pk_fma_f16 v29, v10, v14, v29
	v_pk_fma_f16 v31, v10, v26, v31
	v_pk_fma_f16 v34, v10, v15, v8
	v_pk_fma_f16 v19, v11, v23, v19
	v_pk_fma_f16 v20, v11, v12, v20
	v_pk_fma_f16 v16, v11, v24, v16
	v_pk_fma_f16 v21, v11, v13, v21
	v_pk_fma_f16 v17, v11, v25, v17
	v_pk_fma_f16 v22, v11, v14, v22
	v_pk_fma_f16 v18, v11, v26, v18
	v_pk_fma_f16 v23, v11, v15, v9
	ds_read2_b64 v[8:11], v84 offset0:64 offset1:96
	ds_read_b128 v[12:15], v79 offset:928
	s_waitcnt lgkmcnt(0)
	v_mul_u32_u24_sdwa v24, v12, s15 dst_sel:DWORD dst_unused:UNUSED_PAD src0_sel:WORD_0 src1_sel:DWORD
	v_mul_u32_u24_sdwa v12, v12, s15 dst_sel:DWORD dst_unused:UNUSED_PAD src0_sel:WORD_1 src1_sel:DWORD
	v_mul_u32_u24_sdwa v25, v13, s15 dst_sel:DWORD dst_unused:UNUSED_PAD src0_sel:WORD_0 src1_sel:DWORD
	v_mul_u32_u24_sdwa v13, v13, s15 dst_sel:DWORD dst_unused:UNUSED_PAD src0_sel:WORD_1 src1_sel:DWORD
	v_mul_u32_u24_sdwa v26, v14, s15 dst_sel:DWORD dst_unused:UNUSED_PAD src0_sel:WORD_0 src1_sel:DWORD
	v_mul_u32_u24_sdwa v14, v14, s15 dst_sel:DWORD dst_unused:UNUSED_PAD src0_sel:WORD_1 src1_sel:DWORD
	v_mul_u32_u24_sdwa v35, v15, s15 dst_sel:DWORD dst_unused:UNUSED_PAD src0_sel:WORD_0 src1_sel:DWORD
	v_mul_u32_u24_sdwa v15, v15, s15 dst_sel:DWORD dst_unused:UNUSED_PAD src0_sel:WORD_1 src1_sel:DWORD
	v_pk_fma_f16 v27, v8, v24, v27
	v_pk_fma_f16 v28, v8, v12, v28
	v_pk_fma_f16 v30, v8, v25, v30
	v_pk_fma_f16 v32, v8, v13, v32
	v_pk_fma_f16 v33, v8, v26, v33
	v_pk_fma_f16 v29, v8, v14, v29
	v_pk_fma_f16 v31, v8, v35, v31
	v_pk_fma_f16 v8, v8, v15, v34
	v_pk_fma_f16 v19, v9, v24, v19
	v_pk_fma_f16 v20, v9, v12, v20
	v_pk_fma_f16 v16, v9, v25, v16
	v_pk_fma_f16 v21, v9, v13, v21
	v_pk_fma_f16 v17, v9, v26, v17
	v_pk_fma_f16 v22, v9, v14, v22
	v_pk_fma_f16 v18, v9, v35, v18
	v_pk_fma_f16 v9, v9, v15, v23
	ds_read_b128 v[12:15], v79 offset:944
	s_waitcnt lgkmcnt(0)
	v_mul_u32_u24_sdwa v23, v12, s15 dst_sel:DWORD dst_unused:UNUSED_PAD src0_sel:WORD_0 src1_sel:DWORD
	v_mul_u32_u24_sdwa v12, v12, s15 dst_sel:DWORD dst_unused:UNUSED_PAD src0_sel:WORD_1 src1_sel:DWORD
	v_mul_u32_u24_sdwa v24, v13, s15 dst_sel:DWORD dst_unused:UNUSED_PAD src0_sel:WORD_0 src1_sel:DWORD
	v_mul_u32_u24_sdwa v13, v13, s15 dst_sel:DWORD dst_unused:UNUSED_PAD src0_sel:WORD_1 src1_sel:DWORD
	v_mul_u32_u24_sdwa v25, v14, s15 dst_sel:DWORD dst_unused:UNUSED_PAD src0_sel:WORD_0 src1_sel:DWORD
	v_mul_u32_u24_sdwa v14, v14, s15 dst_sel:DWORD dst_unused:UNUSED_PAD src0_sel:WORD_1 src1_sel:DWORD
	v_mul_u32_u24_sdwa v26, v15, s15 dst_sel:DWORD dst_unused:UNUSED_PAD src0_sel:WORD_0 src1_sel:DWORD
	v_mul_u32_u24_sdwa v15, v15, s15 dst_sel:DWORD dst_unused:UNUSED_PAD src0_sel:WORD_1 src1_sel:DWORD
	v_pk_fma_f16 v27, v10, v23, v27
	v_pk_fma_f16 v28, v10, v12, v28
	v_pk_fma_f16 v30, v10, v24, v30
	v_pk_fma_f16 v32, v10, v13, v32
	v_pk_fma_f16 v33, v10, v25, v33
	v_pk_fma_f16 v29, v10, v14, v29
	v_pk_fma_f16 v31, v10, v26, v31
	v_pk_fma_f16 v34, v10, v15, v8
	v_pk_fma_f16 v19, v11, v23, v19
	v_pk_fma_f16 v20, v11, v12, v20
	v_pk_fma_f16 v16, v11, v24, v16
	v_pk_fma_f16 v21, v11, v13, v21
	v_pk_fma_f16 v17, v11, v25, v17
	v_pk_fma_f16 v22, v11, v14, v22
	v_pk_fma_f16 v18, v11, v26, v18
	v_pk_fma_f16 v23, v11, v15, v9
	ds_read2_b64 v[8:11], v84 offset0:128 offset1:160
	;; [unrolled: 53-line block ×3, first 2 shown]
	ds_read_b128 v[12:15], v79 offset:992
	s_waitcnt lgkmcnt(0)
	v_mul_u32_u24_sdwa v24, v12, s15 dst_sel:DWORD dst_unused:UNUSED_PAD src0_sel:WORD_0 src1_sel:DWORD
	v_mul_u32_u24_sdwa v12, v12, s15 dst_sel:DWORD dst_unused:UNUSED_PAD src0_sel:WORD_1 src1_sel:DWORD
	v_mul_u32_u24_sdwa v25, v13, s15 dst_sel:DWORD dst_unused:UNUSED_PAD src0_sel:WORD_0 src1_sel:DWORD
	v_mul_u32_u24_sdwa v13, v13, s15 dst_sel:DWORD dst_unused:UNUSED_PAD src0_sel:WORD_1 src1_sel:DWORD
	;; [unrolled: 2-line block ×4, first 2 shown]
	v_pk_fma_f16 v27, v8, v24, v27
	v_pk_fma_f16 v28, v8, v12, v28
	;; [unrolled: 1-line block ×16, first 2 shown]
	ds_read_b128 v[12:15], v79 offset:1008
	s_waitcnt lgkmcnt(0)
	s_barrier
	s_load_dword s6, s[4:5], 0x4
	v_mul_u32_u24_sdwa v23, v12, s15 dst_sel:DWORD dst_unused:UNUSED_PAD src0_sel:WORD_0 src1_sel:DWORD
	v_mul_u32_u24_sdwa v12, v12, s15 dst_sel:DWORD dst_unused:UNUSED_PAD src0_sel:WORD_1 src1_sel:DWORD
	v_mul_u32_u24_sdwa v24, v13, s15 dst_sel:DWORD dst_unused:UNUSED_PAD src0_sel:WORD_0 src1_sel:DWORD
	v_mul_u32_u24_sdwa v13, v13, s15 dst_sel:DWORD dst_unused:UNUSED_PAD src0_sel:WORD_1 src1_sel:DWORD
	s_waitcnt lgkmcnt(0)
	s_lshl_b32 s6, s6, 6
	v_mul_u32_u24_sdwa v25, v14, s15 dst_sel:DWORD dst_unused:UNUSED_PAD src0_sel:WORD_0 src1_sel:DWORD
	v_mul_u32_u24_sdwa v14, v14, s15 dst_sel:DWORD dst_unused:UNUSED_PAD src0_sel:WORD_1 src1_sel:DWORD
	v_mul_u32_u24_sdwa v26, v15, s15 dst_sel:DWORD dst_unused:UNUSED_PAD src0_sel:WORD_0 src1_sel:DWORD
	v_mul_u32_u24_sdwa v15, v15, s15 dst_sel:DWORD dst_unused:UNUSED_PAD src0_sel:WORD_1 src1_sel:DWORD
	s_add_i32 s2, s6, s2
	v_pk_fma_f16 v98, v10, v23, v27
	v_pk_fma_f16 v96, v10, v12, v28
	;; [unrolled: 1-line block ×16, first 2 shown]
	s_cmp_ge_i32 s2, s30
	s_cbranch_scc0 .LBB17_9
.LBB17_10:
	v_cmp_lt_i32_e32 vcc, v73, v69
	s_cmp_lg_u64 s[12:13], 0
	s_cselect_b64 s[4:5], -1, 0
	v_cndmask_b32_e32 v8, v52, v73, vcc
	v_lshlrev_b32_e32 v17, 2, v8
	ds_bpermute_b32 v12, v17, v44
	ds_bpermute_b32 v13, v17, v45
	v_cmp_lt_i32_e32 vcc, v74, v69
	ds_bpermute_b32 v8, v17, v46
	ds_bpermute_b32 v9, v17, v47
	v_cndmask_b32_e32 v10, v52, v74, vcc
	v_cmp_lt_i32_e32 vcc, v72, v69
	v_lshlrev_b32_e32 v23, 2, v10
	s_waitcnt lgkmcnt(2)
	v_pk_add_f32 v[12:13], v[44:45], v[12:13]
	v_cndmask_b32_e32 v10, v52, v72, vcc
	v_cmp_lt_i32_e32 vcc, v71, v69
	ds_bpermute_b32 v15, v23, v13
	v_lshlrev_b32_e32 v24, 2, v10
	v_cndmask_b32_e32 v14, v52, v71, vcc
	v_lshlrev_b32_e32 v25, 2, v14
	ds_bpermute_b32 v14, v23, v12
	ds_bpermute_b32 v18, v17, v40
	;; [unrolled: 1-line block ×3, first 2 shown]
	s_waitcnt lgkmcnt(4)
	v_pk_add_f32 v[8:9], v[46:47], v[8:9]
	v_cmp_lt_i32_e32 vcc, v70, v69
	s_waitcnt lgkmcnt(2)
	v_pk_add_f32 v[12:13], v[12:13], v[14:15]
	ds_bpermute_b32 v14, v24, v12
	ds_bpermute_b32 v15, v24, v13
	s_waitcnt lgkmcnt(2)
	v_pk_add_f32 v[18:19], v[40:41], v[18:19]
	ds_bpermute_b32 v10, v23, v8
	ds_bpermute_b32 v11, v23, v9
	v_cndmask_b32_e32 v16, v52, v70, vcc
	s_waitcnt lgkmcnt(2)
	v_pk_add_f32 v[12:13], v[12:13], v[14:15]
	ds_bpermute_b32 v14, v17, v42
	ds_bpermute_b32 v15, v17, v43
	;; [unrolled: 1-line block ×3, first 2 shown]
	v_lshlrev_b32_e32 v27, 2, v16
	ds_bpermute_b32 v16, v25, v12
	ds_bpermute_b32 v17, v25, v13
	s_waitcnt lgkmcnt(3)
	v_pk_add_f32 v[14:15], v[42:43], v[14:15]
	ds_bpermute_b32 v20, v23, v14
	ds_bpermute_b32 v21, v23, v15
	;; [unrolled: 1-line block ×3, first 2 shown]
	v_pk_add_f32 v[8:9], v[8:9], v[10:11]
	ds_bpermute_b32 v10, v24, v8
	ds_bpermute_b32 v11, v24, v9
	s_waitcnt lgkmcnt(3)
	v_pk_add_f32 v[14:15], v[14:15], v[20:21]
	s_waitcnt lgkmcnt(2)
	v_pk_add_f32 v[18:19], v[18:19], v[22:23]
	v_pk_add_f32 v[12:13], v[12:13], v[16:17]
	ds_bpermute_b32 v16, v24, v14
	ds_bpermute_b32 v17, v24, v15
	;; [unrolled: 1-line block ×4, first 2 shown]
	s_waitcnt lgkmcnt(4)
	v_pk_add_f32 v[8:9], v[8:9], v[10:11]
	ds_bpermute_b32 v10, v25, v8
	s_waitcnt lgkmcnt(3)
	v_pk_add_f32 v[14:15], v[14:15], v[16:17]
	ds_bpermute_b32 v11, v25, v9
	;; [unrolled: 3-line block ×3, first 2 shown]
	ds_bpermute_b32 v17, v25, v15
	ds_bpermute_b32 v20, v25, v18
	;; [unrolled: 1-line block ×3, first 2 shown]
	s_waitcnt lgkmcnt(4)
	v_pk_add_f32 v[8:9], v[8:9], v[10:11]
	ds_bpermute_b32 v10, v27, v8
	s_waitcnt lgkmcnt(3)
	v_pk_add_f32 v[14:15], v[14:15], v[16:17]
	ds_bpermute_b32 v11, v27, v9
	;; [unrolled: 3-line block ×3, first 2 shown]
	ds_bpermute_b32 v23, v27, v13
	ds_bpermute_b32 v16, v27, v14
	;; [unrolled: 1-line block ×5, first 2 shown]
	s_cmp_eq_u32 s3, 0
	s_cselect_b64 s[6:7], -1, 0
	s_and_b64 s[4:5], s[6:7], s[4:5]
	s_waitcnt lgkmcnt(6)
	v_pk_add_f32 v[24:25], v[8:9], v[10:11]
	s_waitcnt lgkmcnt(4)
	v_pk_add_f32 v[22:23], v[12:13], v[22:23]
	;; [unrolled: 2-line block ×4, first 2 shown]
	s_and_b64 vcc, exec, s[4:5]
	s_cbranch_vccz .LBB17_12
; %bb.11:
	s_ashr_i32 s29, s28, 31
	s_lshl_b64 s[4:5], s[28:29], 2
	s_add_u32 s4, s12, s4
	s_addc_u32 s5, s13, s5
	v_mov_b32_e32 v8, 0
	global_load_dwordx4 v[14:17], v8, s[4:5]
	v_max_f32_e32 v8, v0, v0
	v_max_f32_e32 v9, v1, v1
	s_mov_b32 s5, 0x3fb8aa3b
	v_max_f32_e32 v10, v2, v2
	s_mov_b32 s2, 0xc2ce8ed0
	s_mov_b32 s4, 0x42b17218
	v_mov_b32_e32 v32, 0x7f800000
	s_waitcnt vmcnt(0)
	v_max_f32_e32 v12, v14, v14
	v_max_f32_e32 v8, v8, v12
	v_max_f32_e32 v13, v15, v15
	v_sub_f32_e32 v0, v0, v8
	v_max_f32_e32 v9, v9, v13
	v_sub_f32_e32 v11, v14, v8
	v_mul_f32_e32 v26, 0x3fb8aa3b, v0
	v_max_f32_e32 v33, v16, v16
	v_sub_f32_e32 v1, v1, v9
	v_mul_f32_e32 v29, 0x3fb8aa3b, v11
	v_fma_f32 v36, v0, s5, -v26
	v_rndne_f32_e32 v37, v26
	v_max_f32_e32 v10, v10, v33
	v_sub_f32_e32 v27, v15, v9
	v_mul_f32_e32 v30, 0x3fb8aa3b, v1
	v_fma_f32 v38, v11, s5, -v29
	v_rndne_f32_e32 v39, v29
	v_fmac_f32_e32 v36, 0x32a5705f, v0
	v_sub_f32_e32 v26, v26, v37
	v_sub_f32_e32 v2, v2, v10
	v_mul_f32_e32 v31, 0x3fb8aa3b, v27
	v_fma_f32 v40, v1, s5, -v30
	v_rndne_f32_e32 v41, v30
	v_fmac_f32_e32 v38, 0x32a5705f, v11
	v_sub_f32_e32 v29, v29, v39
	v_add_f32_e32 v26, v26, v36
	v_mul_f32_e32 v34, 0x3fb8aa3b, v2
	v_fma_f32 v42, v27, s5, -v31
	v_rndne_f32_e32 v43, v31
	v_cvt_i32_f32_e32 v37, v37
	v_fmac_f32_e32 v40, 0x32a5705f, v1
	v_sub_f32_e32 v30, v30, v41
	v_add_f32_e32 v29, v29, v38
	v_exp_f32_e32 v26, v26
	v_fma_f32 v44, v2, s5, -v34
	v_rndne_f32_e32 v45, v34
	v_cvt_i32_f32_e32 v39, v39
	v_fmac_f32_e32 v42, 0x32a5705f, v27
	v_sub_f32_e32 v31, v31, v43
	v_add_f32_e32 v30, v30, v40
	v_exp_f32_e32 v29, v29
	v_cvt_i32_f32_e32 v41, v41
	v_fmac_f32_e32 v44, 0x32a5705f, v2
	v_sub_f32_e32 v34, v34, v45
	v_add_f32_e32 v31, v31, v42
	v_exp_f32_e32 v30, v30
	v_cvt_i32_f32_e32 v43, v43
	v_add_f32_e32 v34, v34, v44
	v_exp_f32_e32 v31, v31
	v_cvt_i32_f32_e32 v45, v45
	v_exp_f32_e32 v34, v34
	v_ldexp_f32 v26, v26, v37
	v_cmp_ngt_f32_e32 vcc, s2, v0
	v_ldexp_f32 v29, v29, v39
	v_ldexp_f32 v30, v30, v41
	v_cndmask_b32_e32 v26, 0, v26, vcc
	v_cmp_ngt_f32_e32 vcc, s2, v11
	v_sub_f32_e32 v28, v16, v10
	v_ldexp_f32 v31, v31, v43
	v_cndmask_b32_e32 v29, 0, v29, vcc
	v_cmp_ngt_f32_e32 vcc, s2, v1
	v_mul_f32_e32 v35, 0x3fb8aa3b, v28
	v_ldexp_f32 v34, v34, v45
	v_cndmask_b32_e32 v30, 0, v30, vcc
	v_cmp_ngt_f32_e32 vcc, s2, v27
	v_fma_f32 v46, v28, s5, -v35
	v_rndne_f32_e32 v47, v35
	v_cndmask_b32_e32 v31, 0, v31, vcc
	v_cmp_ngt_f32_e32 vcc, s2, v2
	v_fmac_f32_e32 v46, 0x32a5705f, v28
	v_sub_f32_e32 v35, v35, v47
	v_cndmask_b32_e32 v34, 0, v34, vcc
	v_cmp_nlt_f32_e32 vcc, s4, v0
	v_add_f32_e32 v35, v35, v46
	v_cvt_i32_f32_e32 v47, v47
	v_cndmask_b32_e32 v0, v32, v26, vcc
	v_cmp_nlt_f32_e32 vcc, s4, v11
	v_cvt_f16_f32_e32 v11, v0
	v_exp_f32_e32 v35, v35
	v_cndmask_b32_e32 v26, v32, v29, vcc
	v_cmp_nlt_f32_e32 vcc, s4, v1
	v_mul_u32_u24_e32 v11, 0x10001, v11
	v_pk_mul_f16 v98, v98, v11
	v_cndmask_b32_e32 v1, v32, v30, vcc
	v_cmp_nlt_f32_e32 vcc, s4, v27
	v_pk_mul_f16 v99, v99, v11
	v_ldexp_f32 v11, v35, v47
	v_cndmask_b32_e32 v27, v32, v31, vcc
	v_cmp_nlt_f32_e32 vcc, s4, v2
	v_cvt_f16_f32_e32 v29, v1
	v_pk_fma_f32 v[24:25], v[24:25], v[0:1], v[26:27]
	v_cndmask_b32_e32 v2, v32, v34, vcc
	v_cmp_ngt_f32_e32 vcc, s2, v28
	v_max_f32_e32 v34, v17, v17
	v_mul_u32_u24_e32 v29, 0x10001, v29
	v_cndmask_b32_e32 v11, 0, v11, vcc
	v_cmp_nlt_f32_e32 vcc, s4, v28
	v_pk_mul_f16 v96, v96, v29
	v_pk_mul_f16 v97, v97, v29
	v_cndmask_b32_e32 v28, v32, v11, vcc
	v_max_f32_e32 v11, v3, v3
	v_max_f32_e32 v11, v11, v34
	v_sub_f32_e32 v3, v3, v11
	v_mul_f32_e32 v30, 0x3fb8aa3b, v3
	v_fma_f32 v31, v3, s5, -v30
	v_rndne_f32_e32 v35, v30
	v_fmac_f32_e32 v31, 0x32a5705f, v3
	v_sub_f32_e32 v30, v30, v35
	v_cvt_f16_f32_e32 v29, v2
	v_add_f32_e32 v30, v30, v31
	v_exp_f32_e32 v30, v30
	v_cvt_i32_f32_e32 v31, v35
	v_mul_u32_u24_e32 v29, 0x10001, v29
	v_pk_mul_f16 v94, v94, v29
	v_pk_mul_f16 v95, v95, v29
	v_ldexp_f32 v29, v30, v31
	v_sub_f32_e32 v30, v17, v11
	v_mul_f32_e32 v31, 0x3fb8aa3b, v30
	v_fma_f32 v35, v30, s5, -v31
	v_rndne_f32_e32 v36, v31
	v_fmac_f32_e32 v35, 0x32a5705f, v30
	v_sub_f32_e32 v31, v31, v36
	v_add_f32_e32 v31, v31, v35
	v_exp_f32_e32 v31, v31
	v_cvt_i32_f32_e32 v35, v36
	v_cmp_ngt_f32_e32 vcc, s2, v3
	s_nop 1
	v_cndmask_b32_e32 v29, 0, v29, vcc
	v_cmp_nlt_f32_e32 vcc, s4, v3
	s_nop 1
	v_cndmask_b32_e32 v3, v32, v29, vcc
	v_ldexp_f32 v29, v31, v35
	v_max_f32_e32 v31, v4, v4
	v_max_f32_e32 v12, v31, v12
	v_sub_f32_e32 v4, v4, v12
	v_mul_f32_e32 v31, 0x3fb8aa3b, v4
	v_fma_f32 v35, v4, s5, -v31
	v_rndne_f32_e32 v36, v31
	v_cmp_ngt_f32_e32 vcc, s2, v30
	v_fmac_f32_e32 v35, 0x32a5705f, v4
	v_sub_f32_e32 v31, v31, v36
	v_cndmask_b32_e32 v29, 0, v29, vcc
	v_cmp_nlt_f32_e32 vcc, s4, v30
	v_cvt_f16_f32_e32 v30, v3
	v_add_f32_e32 v31, v31, v35
	v_exp_f32_e32 v31, v31
	v_cvt_i32_f32_e32 v35, v36
	v_mul_u32_u24_e32 v30, 0x10001, v30
	v_sub_f32_e32 v14, v14, v12
	v_pk_mul_f16 v92, v92, v30
	v_pk_mul_f16 v93, v93, v30
	v_ldexp_f32 v30, v31, v35
	v_mul_f32_e32 v31, 0x3fb8aa3b, v14
	v_fma_f32 v35, v14, s5, -v31
	v_rndne_f32_e32 v36, v31
	v_fmac_f32_e32 v35, 0x32a5705f, v14
	v_sub_f32_e32 v31, v31, v36
	v_add_f32_e32 v31, v31, v35
	v_exp_f32_e32 v31, v31
	v_cvt_i32_f32_e32 v35, v36
	v_cndmask_b32_e32 v29, v32, v29, vcc
	v_cmp_ngt_f32_e32 vcc, s2, v4
	v_pk_fma_f32 v[22:23], v[22:23], v[2:3], v[28:29]
	s_nop 0
	v_cndmask_b32_e32 v30, 0, v30, vcc
	v_cmp_nlt_f32_e32 vcc, s4, v4
	s_nop 1
	v_cndmask_b32_e32 v4, v32, v30, vcc
	v_ldexp_f32 v30, v31, v35
	v_max_f32_e32 v31, v5, v5
	v_max_f32_e32 v13, v31, v13
	v_sub_f32_e32 v5, v5, v13
	v_mul_f32_e32 v31, 0x3fb8aa3b, v5
	v_fma_f32 v35, v5, s5, -v31
	v_rndne_f32_e32 v36, v31
	v_cmp_ngt_f32_e32 vcc, s2, v14
	v_fmac_f32_e32 v35, 0x32a5705f, v5
	v_sub_f32_e32 v31, v31, v36
	v_cndmask_b32_e32 v30, 0, v30, vcc
	v_cmp_nlt_f32_e32 vcc, s4, v14
	v_cvt_f16_f32_e32 v14, v4
	v_add_f32_e32 v31, v31, v35
	v_exp_f32_e32 v31, v31
	v_cvt_i32_f32_e32 v35, v36
	v_mul_u32_u24_e32 v14, 0x10001, v14
	v_sub_f32_e32 v15, v15, v13
	v_pk_mul_f16 v90, v90, v14
	v_pk_mul_f16 v91, v91, v14
	v_ldexp_f32 v14, v31, v35
	v_mul_f32_e32 v31, 0x3fb8aa3b, v15
	v_fma_f32 v35, v15, s5, -v31
	v_rndne_f32_e32 v36, v31
	v_fmac_f32_e32 v35, 0x32a5705f, v15
	v_sub_f32_e32 v31, v31, v36
	v_add_f32_e32 v31, v31, v35
	v_exp_f32_e32 v31, v31
	v_cvt_i32_f32_e32 v35, v36
	v_cndmask_b32_e32 v30, v32, v30, vcc
	v_cmp_ngt_f32_e32 vcc, s2, v5
	s_nop 1
	v_cndmask_b32_e32 v14, 0, v14, vcc
	v_cmp_nlt_f32_e32 vcc, s4, v5
	s_nop 1
	v_cndmask_b32_e32 v5, v32, v14, vcc
	v_ldexp_f32 v14, v31, v35
	v_cmp_ngt_f32_e32 vcc, s2, v15
	s_nop 1
	v_cndmask_b32_e32 v14, 0, v14, vcc
	v_cmp_nlt_f32_e32 vcc, s4, v15
	v_cvt_f16_f32_e32 v15, v5
	v_mul_u32_u24_e32 v15, 0x10001, v15
	v_cndmask_b32_e32 v31, v32, v14, vcc
	v_max_f32_e32 v14, v6, v6
	v_max_f32_e32 v14, v14, v33
	v_sub_f32_e32 v6, v6, v14
	v_mul_f32_e32 v33, 0x3fb8aa3b, v6
	v_fma_f32 v35, v6, s5, -v33
	v_rndne_f32_e32 v36, v33
	v_fmac_f32_e32 v35, 0x32a5705f, v6
	v_sub_f32_e32 v33, v33, v36
	v_add_f32_e32 v33, v33, v35
	v_exp_f32_e32 v33, v33
	v_cvt_i32_f32_e32 v35, v36
	v_sub_f32_e32 v16, v16, v14
	v_pk_mul_f16 v88, v88, v15
	v_pk_mul_f16 v89, v89, v15
	v_ldexp_f32 v15, v33, v35
	v_mul_f32_e32 v33, 0x3fb8aa3b, v16
	v_fma_f32 v35, v16, s5, -v33
	v_rndne_f32_e32 v36, v33
	v_fmac_f32_e32 v35, 0x32a5705f, v16
	v_sub_f32_e32 v33, v33, v36
	v_add_f32_e32 v33, v33, v35
	v_exp_f32_e32 v33, v33
	v_cvt_i32_f32_e32 v35, v36
	v_cmp_ngt_f32_e32 vcc, s2, v6
	v_pk_fma_f32 v[20:21], v[20:21], v[4:5], v[30:31]
	s_nop 0
	v_cndmask_b32_e32 v15, 0, v15, vcc
	v_cmp_nlt_f32_e32 vcc, s4, v6
	s_nop 1
	v_cndmask_b32_e32 v6, v32, v15, vcc
	v_ldexp_f32 v15, v33, v35
	v_cmp_ngt_f32_e32 vcc, s2, v16
	v_cvt_f16_f32_e32 v33, v6
	v_mul_u32_u24_e32 v33, 0x10001, v33
	v_cndmask_b32_e32 v15, 0, v15, vcc
	v_cmp_nlt_f32_e32 vcc, s4, v16
	v_pk_mul_f16 v86, v86, v33
	v_pk_mul_f16 v87, v87, v33
	v_cndmask_b32_e32 v16, v32, v15, vcc
	v_max_f32_e32 v15, v7, v7
	v_max_f32_e32 v15, v15, v34
	v_sub_f32_e32 v7, v7, v15
	v_mul_f32_e32 v34, 0x3fb8aa3b, v7
	v_fma_f32 v35, v7, s5, -v34
	v_rndne_f32_e32 v36, v34
	v_fmac_f32_e32 v35, 0x32a5705f, v7
	v_sub_f32_e32 v34, v34, v36
	v_add_f32_e32 v34, v34, v35
	v_exp_f32_e32 v34, v34
	v_cvt_i32_f32_e32 v35, v36
	v_sub_f32_e32 v17, v17, v15
	v_cmp_ngt_f32_e32 vcc, s2, v7
	v_ldexp_f32 v33, v34, v35
	v_mul_f32_e32 v34, 0x3fb8aa3b, v17
	v_fma_f32 v35, v17, s5, -v34
	v_rndne_f32_e32 v36, v34
	v_fmac_f32_e32 v35, 0x32a5705f, v17
	v_sub_f32_e32 v34, v34, v36
	v_add_f32_e32 v34, v34, v35
	v_exp_f32_e32 v34, v34
	v_cvt_i32_f32_e32 v35, v36
	v_cndmask_b32_e32 v33, 0, v33, vcc
	v_cmp_nlt_f32_e32 vcc, s4, v7
	s_nop 1
	v_cndmask_b32_e32 v7, v32, v33, vcc
	v_ldexp_f32 v33, v34, v35
	v_cvt_f16_f32_e32 v34, v7
	v_cmp_ngt_f32_e32 vcc, s2, v17
	s_nop 1
	v_cndmask_b32_e32 v33, 0, v33, vcc
	v_cmp_nlt_f32_e32 vcc, s4, v17
	s_nop 1
	v_cndmask_b32_e32 v17, v32, v33, vcc
	v_mul_u32_u24_e32 v32, 0x10001, v34
	v_pk_fma_f32 v[18:19], v[18:19], v[6:7], v[16:17]
	v_mov_b64_e32 v[0:1], v[8:9]
	v_pk_mul_f16 v85, v85, v32
	v_pk_mul_f16 v53, v53, v32
	v_mov_b64_e32 v[2:3], v[10:11]
	v_mov_b64_e32 v[4:5], v[12:13]
	;; [unrolled: 1-line block ×3, first 2 shown]
.LBB17_12:
	v_cmp_gt_i32_e32 vcc, s22, v67
	s_and_saveexec_b64 s[4:5], vcc
	s_cbranch_execz .LBB17_49
; %bb.13:
	s_load_dword s2, s[0:1], 0xd4
	v_mov_b32_e32 v8, 1.0
	s_waitcnt lgkmcnt(0)
	s_cmp_lg_u32 s2, 1
	s_cselect_b64 s[0:1], -1, 0
	s_cmp_eq_u32 s2, 1
	s_cselect_b64 s[6:7], -1, 0
	s_and_b64 vcc, exec, s[0:1]
	s_cbranch_vccnz .LBB17_15
; %bb.14:
	v_div_scale_f32 v8, s[4:5], v24, v24, 1.0
	v_rcp_f32_e32 v9, v8
	v_div_scale_f32 v10, vcc, 1.0, v24, 1.0
	v_fma_f32 v11, -v8, v9, 1.0
	v_fmac_f32_e32 v9, v11, v9
	v_mul_f32_e32 v11, v10, v9
	v_fma_f32 v12, -v8, v11, v10
	v_fmac_f32_e32 v11, v12, v9
	v_fma_f32 v8, -v8, v11, v10
	v_div_fmas_f32 v8, v8, v9, v11
	v_div_fixup_f32 v8, v8, v24, 1.0
.LBB17_15:
	s_mul_i32 s8, s33, s22
	s_add_i32 s8, s8, s27
	v_add_u32_e32 v9, s8, v65
	v_mul_lo_u32 v12, v9, s23
	v_add_u32_e32 v9, s28, v12
	v_cvt_f32_f16_sdwa v17, v98 dst_sel:DWORD dst_unused:UNUSED_PAD src0_sel:WORD_1
	v_cvt_f32_f16_e32 v16, v98
	v_cvt_f32_f16_sdwa v27, v99 dst_sel:DWORD dst_unused:UNUSED_PAD src0_sel:WORD_1
	v_cvt_f32_f16_e32 v26, v99
	v_mul_lo_u32 v9, s2, v9
	v_add_u32_e32 v10, s3, v9
	v_cmp_eq_u32_e32 vcc, 0, v66
	v_lshl_add_u32 v14, v10, 7, v64
	v_mov_b32_e32 v15, 0
	v_lshl_add_u64 v[28:29], v[14:15], 2, s[16:17]
	v_pk_mul_f32 v[14:15], v[8:9], v[16:17] op_sel_hi:[0,1]
	v_pk_mul_f32 v[16:17], v[8:9], v[26:27] op_sel_hi:[0,1]
	s_and_b64 s[4:5], vcc, s[0:1]
	global_store_dwordx4 v[28:29], v[14:17], off
	s_and_saveexec_b64 s[0:1], s[4:5]
	s_cbranch_execz .LBB17_17
; %bb.16:
	v_ashrrev_i32_e32 v11, 31, v10
	v_lshl_add_u64 v[8:9], v[10:11], 3, s[18:19]
	v_mov_b32_e32 v10, v0
	v_mov_b32_e32 v11, v24
	global_store_dwordx2 v[8:9], v[10:11], off
.LBB17_17:
	s_or_b64 exec, exec, s[0:1]
	v_cndmask_b32_e64 v0, 0, 1, s[6:7]
	v_cmp_ne_u32_e64 s[0:1], 1, v0
	s_andn2_b64 vcc, exec, s[6:7]
	v_mov_b32_e32 v0, 1.0
	s_cbranch_vccnz .LBB17_19
; %bb.18:
	v_div_scale_f32 v0, s[6:7], v25, v25, 1.0
	v_rcp_f32_e32 v8, v0
	v_div_scale_f32 v9, vcc, 1.0, v25, 1.0
	v_fma_f32 v10, -v0, v8, 1.0
	v_fmac_f32_e32 v8, v10, v8
	v_mul_f32_e32 v10, v9, v8
	v_fma_f32 v11, -v0, v10, v9
	v_fmac_f32_e32 v10, v11, v8
	v_fma_f32 v0, -v0, v10, v9
	v_div_fmas_f32 v0, v0, v8, v10
	v_div_fixup_f32 v0, v0, v25, 1.0
.LBB17_19:
	s_add_i32 s11, s28, 1
	v_add_u32_e32 v8, s11, v12
	v_cvt_f32_f16_sdwa v15, v96 dst_sel:DWORD dst_unused:UNUSED_PAD src0_sel:WORD_1
	v_cvt_f32_f16_e32 v14, v96
	v_cvt_f32_f16_sdwa v17, v97 dst_sel:DWORD dst_unused:UNUSED_PAD src0_sel:WORD_1
	v_cvt_f32_f16_e32 v16, v97
	v_mul_lo_u32 v8, s2, v8
	v_add_u32_e32 v8, s3, v8
	v_lshl_add_u32 v10, v8, 7, v64
	v_mov_b32_e32 v11, 0
	v_lshl_add_u64 v[10:11], v[10:11], 2, s[16:17]
	v_pk_mul_f32 v[14:15], v[0:1], v[14:15] op_sel_hi:[0,1]
	v_pk_mul_f32 v[16:17], v[0:1], v[16:17] op_sel_hi:[0,1]
	global_store_dwordx4 v[10:11], v[14:17], off
	s_and_saveexec_b64 s[6:7], s[4:5]
	s_cbranch_execz .LBB17_21
; %bb.20:
	v_ashrrev_i32_e32 v9, 31, v8
	v_lshl_add_u64 v[8:9], v[8:9], 3, s[18:19]
	v_mov_b32_e32 v24, v1
	global_store_dwordx2 v[8:9], v[24:25], off
.LBB17_21:
	s_or_b64 exec, exec, s[6:7]
	s_and_b64 vcc, exec, s[0:1]
	v_mov_b32_e32 v8, 1.0
	s_cbranch_vccnz .LBB17_23
; %bb.22:
	v_div_scale_f32 v0, s[6:7], v22, v22, 1.0
	v_rcp_f32_e32 v1, v0
	v_div_scale_f32 v8, vcc, 1.0, v22, 1.0
	v_fma_f32 v9, -v0, v1, 1.0
	v_fmac_f32_e32 v1, v9, v1
	v_mul_f32_e32 v9, v8, v1
	v_fma_f32 v10, -v0, v9, v8
	v_fmac_f32_e32 v9, v10, v1
	v_fma_f32 v0, -v0, v9, v8
	v_div_fmas_f32 v0, v0, v1, v9
	v_div_fixup_f32 v8, v0, v22, 1.0
.LBB17_23:
	s_add_i32 s10, s28, 2
	v_add_u32_e32 v0, s10, v12
	v_cvt_f32_f16_sdwa v15, v94 dst_sel:DWORD dst_unused:UNUSED_PAD src0_sel:WORD_1
	v_cvt_f32_f16_e32 v14, v94
	v_cvt_f32_f16_sdwa v17, v95 dst_sel:DWORD dst_unused:UNUSED_PAD src0_sel:WORD_1
	v_cvt_f32_f16_e32 v16, v95
	v_mul_lo_u32 v0, s2, v0
	v_add_u32_e32 v0, s3, v0
	v_lshl_add_u32 v10, v0, 7, v64
	v_mov_b32_e32 v11, 0
	v_lshl_add_u64 v[10:11], v[10:11], 2, s[16:17]
	v_pk_mul_f32 v[14:15], v[8:9], v[14:15] op_sel_hi:[0,1]
	v_pk_mul_f32 v[16:17], v[8:9], v[16:17] op_sel_hi:[0,1]
	global_store_dwordx4 v[10:11], v[14:17], off
	s_and_saveexec_b64 s[6:7], s[4:5]
	s_cbranch_execz .LBB17_25
; %bb.24:
	v_ashrrev_i32_e32 v1, 31, v0
	v_lshl_add_u64 v[0:1], v[0:1], 3, s[18:19]
	v_mov_b32_e32 v8, v2
	v_mov_b32_e32 v9, v22
	global_store_dwordx2 v[0:1], v[8:9], off
.LBB17_25:
	s_or_b64 exec, exec, s[6:7]
	s_and_b64 vcc, exec, s[0:1]
	v_mov_b32_e32 v2, 1.0
	s_cbranch_vccnz .LBB17_27
; %bb.26:
	v_div_scale_f32 v0, s[6:7], v23, v23, 1.0
	v_rcp_f32_e32 v1, v0
	v_div_scale_f32 v2, vcc, 1.0, v23, 1.0
	v_fma_f32 v8, -v0, v1, 1.0
	v_fmac_f32_e32 v1, v8, v1
	v_mul_f32_e32 v8, v2, v1
	v_fma_f32 v9, -v0, v8, v2
	v_fmac_f32_e32 v8, v9, v1
	v_fma_f32 v0, -v0, v8, v2
	v_div_fmas_f32 v0, v0, v1, v8
	v_div_fixup_f32 v2, v0, v23, 1.0
.LBB17_27:
	s_add_i32 s9, s28, 3
	v_add_u32_e32 v0, s9, v12
	v_cvt_f32_f16_sdwa v11, v92 dst_sel:DWORD dst_unused:UNUSED_PAD src0_sel:WORD_1
	v_cvt_f32_f16_e32 v10, v92
	v_cvt_f32_f16_sdwa v13, v93 dst_sel:DWORD dst_unused:UNUSED_PAD src0_sel:WORD_1
	v_cvt_f32_f16_e32 v12, v93
	v_mul_lo_u32 v0, s2, v0
	v_add_u32_e32 v0, s3, v0
	v_lshl_add_u32 v8, v0, 7, v64
	v_mov_b32_e32 v9, 0
	v_lshl_add_u64 v[14:15], v[8:9], 2, s[16:17]
	v_pk_mul_f32 v[8:9], v[2:3], v[10:11] op_sel_hi:[0,1]
	v_pk_mul_f32 v[10:11], v[2:3], v[12:13] op_sel_hi:[0,1]
	global_store_dwordx4 v[14:15], v[8:11], off
	s_and_saveexec_b64 s[6:7], s[4:5]
	s_cbranch_execz .LBB17_29
; %bb.28:
	v_ashrrev_i32_e32 v1, 31, v0
	v_lshl_add_u64 v[0:1], v[0:1], 3, s[18:19]
	v_mov_b32_e32 v22, v3
	global_store_dwordx2 v[0:1], v[22:23], off
.LBB17_29:
	s_or_b64 exec, exec, s[6:7]
	v_cmp_gt_i32_e32 vcc, s22, v63
	s_and_b64 exec, exec, vcc
	s_cbranch_execz .LBB17_49
; %bb.30:
	s_and_b64 vcc, exec, s[0:1]
	v_mov_b32_e32 v2, 1.0
	s_cbranch_vccnz .LBB17_32
; %bb.31:
	v_div_scale_f32 v0, s[6:7], v20, v20, 1.0
	v_rcp_f32_e32 v1, v0
	v_div_scale_f32 v2, vcc, 1.0, v20, 1.0
	v_fma_f32 v3, -v0, v1, 1.0
	v_fmac_f32_e32 v1, v3, v1
	v_mul_f32_e32 v3, v2, v1
	v_fma_f32 v8, -v0, v3, v2
	v_fmac_f32_e32 v3, v8, v1
	v_fma_f32 v0, -v0, v3, v2
	v_div_fmas_f32 v0, v0, v1, v3
	v_div_fixup_f32 v2, v0, v20, 1.0
.LBB17_32:
	v_add_u32_e32 v0, s8, v62
	v_mul_lo_u32 v0, v0, s23
	v_add_u32_e32 v0, s28, v0
	v_cvt_f32_f16_sdwa v11, v90 dst_sel:DWORD dst_unused:UNUSED_PAD src0_sel:WORD_1
	v_cvt_f32_f16_e32 v10, v90
	v_cvt_f32_f16_sdwa v13, v91 dst_sel:DWORD dst_unused:UNUSED_PAD src0_sel:WORD_1
	v_cvt_f32_f16_e32 v12, v91
	v_mul_lo_u32 v0, s2, v0
	v_add_u32_e32 v0, s3, v0
	v_lshl_add_u32 v8, v0, 7, v64
	v_mov_b32_e32 v9, 0
	v_lshl_add_u64 v[14:15], v[8:9], 2, s[16:17]
	v_pk_mul_f32 v[8:9], v[2:3], v[10:11] op_sel_hi:[0,1]
	v_pk_mul_f32 v[10:11], v[2:3], v[12:13] op_sel_hi:[0,1]
	global_store_dwordx4 v[14:15], v[8:11], off
	s_and_saveexec_b64 s[6:7], s[4:5]
	s_cbranch_execz .LBB17_34
; %bb.33:
	v_ashrrev_i32_e32 v1, 31, v0
	v_lshl_add_u64 v[0:1], v[0:1], 3, s[18:19]
	v_mov_b32_e32 v2, v4
	v_mov_b32_e32 v3, v20
	global_store_dwordx2 v[0:1], v[2:3], off
.LBB17_34:
	s_or_b64 exec, exec, s[6:7]
	v_cmp_gt_i32_e32 vcc, s22, v61
	s_and_b64 exec, exec, vcc
	s_cbranch_execz .LBB17_49
; %bb.35:
	s_and_b64 vcc, exec, s[0:1]
	v_mov_b32_e32 v2, 1.0
	s_cbranch_vccnz .LBB17_37
; %bb.36:
	v_div_scale_f32 v0, s[6:7], v21, v21, 1.0
	v_rcp_f32_e32 v1, v0
	v_div_scale_f32 v2, vcc, 1.0, v21, 1.0
	v_fma_f32 v3, -v0, v1, 1.0
	v_fmac_f32_e32 v1, v3, v1
	v_mul_f32_e32 v3, v2, v1
	v_fma_f32 v4, -v0, v3, v2
	v_fmac_f32_e32 v3, v4, v1
	v_fma_f32 v0, -v0, v3, v2
	v_div_fmas_f32 v0, v0, v1, v3
	v_div_fixup_f32 v2, v0, v21, 1.0
.LBB17_37:
	v_add_u32_e32 v0, s8, v59
	v_mul_lo_u32 v0, v0, s23
	v_add_u32_e32 v0, s11, v0
	v_cvt_f32_f16_sdwa v11, v88 dst_sel:DWORD dst_unused:UNUSED_PAD src0_sel:WORD_1
	v_cvt_f32_f16_e32 v10, v88
	v_cvt_f32_f16_sdwa v13, v89 dst_sel:DWORD dst_unused:UNUSED_PAD src0_sel:WORD_1
	v_cvt_f32_f16_e32 v12, v89
	v_mul_lo_u32 v0, s2, v0
	v_add_u32_e32 v0, s3, v0
	v_lshl_add_u32 v8, v0, 7, v64
	v_mov_b32_e32 v9, 0
	v_lshl_add_u64 v[14:15], v[8:9], 2, s[16:17]
	v_pk_mul_f32 v[8:9], v[2:3], v[10:11] op_sel_hi:[0,1]
	v_pk_mul_f32 v[10:11], v[2:3], v[12:13] op_sel_hi:[0,1]
	global_store_dwordx4 v[14:15], v[8:11], off
	s_and_saveexec_b64 s[6:7], s[4:5]
	s_cbranch_execz .LBB17_39
; %bb.38:
	v_ashrrev_i32_e32 v1, 31, v0
	v_lshl_add_u64 v[0:1], v[0:1], 3, s[18:19]
	v_mov_b32_e32 v20, v5
	global_store_dwordx2 v[0:1], v[20:21], off
.LBB17_39:
	s_or_b64 exec, exec, s[6:7]
	v_cmp_gt_i32_e32 vcc, s22, v60
	s_and_b64 exec, exec, vcc
	s_cbranch_execz .LBB17_49
; %bb.40:
	s_and_b64 vcc, exec, s[0:1]
	v_mov_b32_e32 v2, 1.0
	s_cbranch_vccnz .LBB17_42
; %bb.41:
	v_div_scale_f32 v0, s[6:7], v18, v18, 1.0
	v_rcp_f32_e32 v1, v0
	v_div_scale_f32 v2, vcc, 1.0, v18, 1.0
	v_fma_f32 v3, -v0, v1, 1.0
	v_fmac_f32_e32 v1, v3, v1
	v_mul_f32_e32 v3, v2, v1
	v_fma_f32 v4, -v0, v3, v2
	v_fmac_f32_e32 v3, v4, v1
	v_fma_f32 v0, -v0, v3, v2
	v_div_fmas_f32 v0, v0, v1, v3
	v_div_fixup_f32 v2, v0, v18, 1.0
.LBB17_42:
	v_add_u32_e32 v0, s8, v58
	v_mul_lo_u32 v0, v0, s23
	v_add_u32_e32 v0, s10, v0
	v_cvt_f32_f16_sdwa v9, v86 dst_sel:DWORD dst_unused:UNUSED_PAD src0_sel:WORD_1
	v_cvt_f32_f16_e32 v8, v86
	v_cvt_f32_f16_sdwa v11, v87 dst_sel:DWORD dst_unused:UNUSED_PAD src0_sel:WORD_1
	v_cvt_f32_f16_e32 v10, v87
	v_mul_lo_u32 v0, s2, v0
	v_add_u32_e32 v0, s3, v0
	v_lshl_add_u32 v4, v0, 7, v64
	v_mov_b32_e32 v5, 0
	v_lshl_add_u64 v[4:5], v[4:5], 2, s[16:17]
	v_pk_mul_f32 v[8:9], v[2:3], v[8:9] op_sel_hi:[0,1]
	v_pk_mul_f32 v[10:11], v[2:3], v[10:11] op_sel_hi:[0,1]
	global_store_dwordx4 v[4:5], v[8:11], off
	s_and_saveexec_b64 s[6:7], s[4:5]
	s_cbranch_execz .LBB17_44
; %bb.43:
	v_ashrrev_i32_e32 v1, 31, v0
	v_lshl_add_u64 v[0:1], v[0:1], 3, s[18:19]
	v_mov_b32_e32 v2, v6
	v_mov_b32_e32 v3, v18
	global_store_dwordx2 v[0:1], v[2:3], off
.LBB17_44:
	s_or_b64 exec, exec, s[6:7]
	v_cmp_gt_i32_e32 vcc, s22, v57
	s_and_b64 exec, exec, vcc
	s_cbranch_execz .LBB17_49
; %bb.45:
	s_and_b64 vcc, exec, s[0:1]
	v_mov_b32_e32 v2, 1.0
	s_cbranch_vccnz .LBB17_47
; %bb.46:
	v_div_scale_f32 v0, s[0:1], v19, v19, 1.0
	v_rcp_f32_e32 v1, v0
	v_div_scale_f32 v2, vcc, 1.0, v19, 1.0
	v_fma_f32 v3, -v0, v1, 1.0
	v_fmac_f32_e32 v1, v3, v1
	v_mul_f32_e32 v3, v2, v1
	v_fma_f32 v4, -v0, v3, v2
	v_fmac_f32_e32 v3, v4, v1
	v_fma_f32 v0, -v0, v3, v2
	v_div_fmas_f32 v0, v0, v1, v3
	v_div_fixup_f32 v2, v0, v19, 1.0
.LBB17_47:
	v_add_u32_e32 v0, s8, v56
	v_mul_lo_u32 v0, v0, s23
	v_add_u32_e32 v0, s9, v0
	v_cvt_f32_f16_sdwa v9, v85 dst_sel:DWORD dst_unused:UNUSED_PAD src0_sel:WORD_1
	v_cvt_f32_f16_e32 v8, v85
	v_cvt_f32_f16_sdwa v11, v53 dst_sel:DWORD dst_unused:UNUSED_PAD src0_sel:WORD_1
	v_cvt_f32_f16_e32 v10, v53
	v_mul_lo_u32 v0, s2, v0
	v_add_u32_e32 v0, s3, v0
	v_lshl_add_u32 v4, v0, 7, v64
	v_mov_b32_e32 v5, 0
	v_lshl_add_u64 v[4:5], v[4:5], 2, s[16:17]
	v_pk_mul_f32 v[8:9], v[2:3], v[8:9] op_sel_hi:[0,1]
	v_pk_mul_f32 v[10:11], v[2:3], v[10:11] op_sel_hi:[0,1]
	global_store_dwordx4 v[4:5], v[8:11], off
	s_and_b64 exec, exec, s[4:5]
	s_cbranch_execz .LBB17_49
; %bb.48:
	v_ashrrev_i32_e32 v1, 31, v0
	v_lshl_add_u64 v[0:1], v[0:1], 3, s[18:19]
	v_mov_b32_e32 v18, v7
	global_store_dwordx2 v[0:1], v[18:19], off
.LBB17_49:
	s_endpgm
	.section	.rodata,"a",@progbits
	.p2align	6, 0x0
	.amdhsa_kernel _ZL15flash_attn_tileILi128ELi128ELi16ELi4ELb0EEvPKcS1_S1_S1_S1_PKiPfP15HIP_vector_typeIfLj2EEffffjfiS5_IjLj3EEiiiiiiiiiiiliiliiiiil
		.amdhsa_group_segment_fixed_size 29696
		.amdhsa_private_segment_fixed_size 0
		.amdhsa_kernarg_size 464
		.amdhsa_user_sgpr_count 2
		.amdhsa_user_sgpr_dispatch_ptr 0
		.amdhsa_user_sgpr_queue_ptr 0
		.amdhsa_user_sgpr_kernarg_segment_ptr 1
		.amdhsa_user_sgpr_dispatch_id 0
		.amdhsa_user_sgpr_kernarg_preload_length 0
		.amdhsa_user_sgpr_kernarg_preload_offset 0
		.amdhsa_user_sgpr_private_segment_size 0
		.amdhsa_uses_dynamic_stack 0
		.amdhsa_enable_private_segment 0
		.amdhsa_system_sgpr_workgroup_id_x 1
		.amdhsa_system_sgpr_workgroup_id_y 1
		.amdhsa_system_sgpr_workgroup_id_z 1
		.amdhsa_system_sgpr_workgroup_info 0
		.amdhsa_system_vgpr_workitem_id 1
		.amdhsa_next_free_vgpr 148
		.amdhsa_next_free_sgpr 96
		.amdhsa_accum_offset 148
		.amdhsa_reserve_vcc 1
		.amdhsa_float_round_mode_32 0
		.amdhsa_float_round_mode_16_64 0
		.amdhsa_float_denorm_mode_32 3
		.amdhsa_float_denorm_mode_16_64 3
		.amdhsa_dx10_clamp 1
		.amdhsa_ieee_mode 1
		.amdhsa_fp16_overflow 0
		.amdhsa_tg_split 0
		.amdhsa_exception_fp_ieee_invalid_op 0
		.amdhsa_exception_fp_denorm_src 0
		.amdhsa_exception_fp_ieee_div_zero 0
		.amdhsa_exception_fp_ieee_overflow 0
		.amdhsa_exception_fp_ieee_underflow 0
		.amdhsa_exception_fp_ieee_inexact 0
		.amdhsa_exception_int_div_zero 0
	.end_amdhsa_kernel
	.section	.text._ZL15flash_attn_tileILi128ELi128ELi16ELi4ELb0EEvPKcS1_S1_S1_S1_PKiPfP15HIP_vector_typeIfLj2EEffffjfiS5_IjLj3EEiiiiiiiiiiiliiliiiiil,"axG",@progbits,_ZL15flash_attn_tileILi128ELi128ELi16ELi4ELb0EEvPKcS1_S1_S1_S1_PKiPfP15HIP_vector_typeIfLj2EEffffjfiS5_IjLj3EEiiiiiiiiiiiliiliiiiil,comdat
.Lfunc_end17:
	.size	_ZL15flash_attn_tileILi128ELi128ELi16ELi4ELb0EEvPKcS1_S1_S1_S1_PKiPfP15HIP_vector_typeIfLj2EEffffjfiS5_IjLj3EEiiiiiiiiiiiliiliiiiil, .Lfunc_end17-_ZL15flash_attn_tileILi128ELi128ELi16ELi4ELb0EEvPKcS1_S1_S1_S1_PKiPfP15HIP_vector_typeIfLj2EEffffjfiS5_IjLj3EEiiiiiiiiiiiliiliiiiil
                                        ; -- End function
	.set _ZL15flash_attn_tileILi128ELi128ELi16ELi4ELb0EEvPKcS1_S1_S1_S1_PKiPfP15HIP_vector_typeIfLj2EEffffjfiS5_IjLj3EEiiiiiiiiiiiliiliiiiil.num_vgpr, 148
	.set _ZL15flash_attn_tileILi128ELi128ELi16ELi4ELb0EEvPKcS1_S1_S1_S1_PKiPfP15HIP_vector_typeIfLj2EEffffjfiS5_IjLj3EEiiiiiiiiiiiliiliiiiil.num_agpr, 0
	.set _ZL15flash_attn_tileILi128ELi128ELi16ELi4ELb0EEvPKcS1_S1_S1_S1_PKiPfP15HIP_vector_typeIfLj2EEffffjfiS5_IjLj3EEiiiiiiiiiiiliiliiiiil.numbered_sgpr, 48
	.set _ZL15flash_attn_tileILi128ELi128ELi16ELi4ELb0EEvPKcS1_S1_S1_S1_PKiPfP15HIP_vector_typeIfLj2EEffffjfiS5_IjLj3EEiiiiiiiiiiiliiliiiiil.num_named_barrier, 0
	.set _ZL15flash_attn_tileILi128ELi128ELi16ELi4ELb0EEvPKcS1_S1_S1_S1_PKiPfP15HIP_vector_typeIfLj2EEffffjfiS5_IjLj3EEiiiiiiiiiiiliiliiiiil.private_seg_size, 0
	.set _ZL15flash_attn_tileILi128ELi128ELi16ELi4ELb0EEvPKcS1_S1_S1_S1_PKiPfP15HIP_vector_typeIfLj2EEffffjfiS5_IjLj3EEiiiiiiiiiiiliiliiiiil.uses_vcc, 1
	.set _ZL15flash_attn_tileILi128ELi128ELi16ELi4ELb0EEvPKcS1_S1_S1_S1_PKiPfP15HIP_vector_typeIfLj2EEffffjfiS5_IjLj3EEiiiiiiiiiiiliiliiiiil.uses_flat_scratch, 0
	.set _ZL15flash_attn_tileILi128ELi128ELi16ELi4ELb0EEvPKcS1_S1_S1_S1_PKiPfP15HIP_vector_typeIfLj2EEffffjfiS5_IjLj3EEiiiiiiiiiiiliiliiiiil.has_dyn_sized_stack, 0
	.set _ZL15flash_attn_tileILi128ELi128ELi16ELi4ELb0EEvPKcS1_S1_S1_S1_PKiPfP15HIP_vector_typeIfLj2EEffffjfiS5_IjLj3EEiiiiiiiiiiiliiliiiiil.has_recursion, 0
	.set _ZL15flash_attn_tileILi128ELi128ELi16ELi4ELb0EEvPKcS1_S1_S1_S1_PKiPfP15HIP_vector_typeIfLj2EEffffjfiS5_IjLj3EEiiiiiiiiiiiliiliiiiil.has_indirect_call, 0
	.section	.AMDGPU.csdata,"",@progbits
; Kernel info:
; codeLenInByte = 45384
; TotalNumSgprs: 54
; NumVgprs: 148
; NumAgprs: 0
; TotalNumVgprs: 148
; ScratchSize: 0
; MemoryBound: 0
; FloatMode: 240
; IeeeMode: 1
; LDSByteSize: 29696 bytes/workgroup (compile time only)
; SGPRBlocks: 12
; VGPRBlocks: 18
; NumSGPRsForWavesPerEU: 102
; NumVGPRsForWavesPerEU: 148
; AccumOffset: 148
; Occupancy: 3
; WaveLimiterHint : 1
; COMPUTE_PGM_RSRC2:SCRATCH_EN: 0
; COMPUTE_PGM_RSRC2:USER_SGPR: 2
; COMPUTE_PGM_RSRC2:TRAP_HANDLER: 0
; COMPUTE_PGM_RSRC2:TGID_X_EN: 1
; COMPUTE_PGM_RSRC2:TGID_Y_EN: 1
; COMPUTE_PGM_RSRC2:TGID_Z_EN: 1
; COMPUTE_PGM_RSRC2:TIDIG_COMP_CNT: 1
; COMPUTE_PGM_RSRC3_GFX90A:ACCUM_OFFSET: 36
; COMPUTE_PGM_RSRC3_GFX90A:TG_SPLIT: 0
	.section	.text._ZL25flash_attn_mask_to_KV_maxILi16EEvPK7__half2Piiii,"axG",@progbits,_ZL25flash_attn_mask_to_KV_maxILi16EEvPK7__half2Piiii,comdat
	.globl	_ZL25flash_attn_mask_to_KV_maxILi16EEvPK7__half2Piiii ; -- Begin function _ZL25flash_attn_mask_to_KV_maxILi16EEvPK7__half2Piiii
	.p2align	8
	.type	_ZL25flash_attn_mask_to_KV_maxILi16EEvPK7__half2Piiii,@function
_ZL25flash_attn_mask_to_KV_maxILi16EEvPK7__half2Piiii: ; @_ZL25flash_attn_mask_to_KV_maxILi16EEvPK7__half2Piiii
; %bb.0:
	s_load_dwordx4 s[4:7], s[0:1], 0x0
	v_cmp_gt_u32_e32 vcc, 32, v0
	s_and_saveexec_b64 s[8:9], vcc
; %bb.1:
	v_lshlrev_b32_e32 v1, 2, v0
	v_mov_b32_e32 v2, 1
	ds_write_b32 v1, v2
; %bb.2:
	s_or_b64 exec, exec, s[8:9]
	s_load_dwordx4 s[8:11], s[0:1], 0x10
	s_load_dword s33, s[0:1], 0x20
	v_and_b32_e32 v2, 31, v0
	v_lshlrev_b32_e32 v6, 2, v2
	v_lshrrev_b32_e32 v1, 3, v0
	s_waitcnt lgkmcnt(0)
	s_mul_i32 s1, s2, s9
	s_mul_i32 s0, s10, s3
	s_lshl_b32 s1, s1, 4
	s_add_i32 s0, s0, s1
	s_ashr_i32 s1, s0, 31
	s_lshl_b64 s[0:1], s[0:1], 2
	s_add_u32 s10, s4, s0
	s_addc_u32 s11, s5, s1
	v_cmp_eq_u32_e64 s[0:1], 0, v2
	v_mbcnt_lo_u32_b32 v2, -1, 0
	s_lshl_b32 s8, s8, 8
	s_mov_b64 s[12:13], 0
	v_mov_b32_e32 v3, 0
	s_movk_i32 s74, 0x204
	v_mbcnt_hi_u32_b32 v7, -1, v2
	s_barrier
                                        ; implicit-def: $sgpr4_sgpr5
	s_branch .LBB18_5
.LBB18_3:                               ;   in Loop: Header=BB18_5 Depth=1
	s_or_b64 exec, exec, s[14:15]
	s_waitcnt lgkmcnt(0)
	s_barrier
	ds_read_b32 v10, v6
	s_waitcnt lgkmcnt(0)
	s_barrier
	ds_bpermute_b32 v2, v2, v10
	v_cmp_ne_u32_e32 vcc, 0, v10
	s_waitcnt lgkmcnt(0)
	v_cmp_ne_u32_e64 s[4:5], 0, v2
	s_and_b64 s[4:5], vcc, s[4:5]
	s_nop 0
	v_cndmask_b32_e64 v2, 0, 1, s[4:5]
	ds_bpermute_b32 v2, v4, v2
	s_waitcnt lgkmcnt(0)
	v_cmp_ne_u32_e32 vcc, 0, v2
	s_and_b64 s[4:5], vcc, s[4:5]
	v_cndmask_b32_e64 v2, 0, 1, s[4:5]
	ds_bpermute_b32 v2, v5, v2
	s_waitcnt lgkmcnt(0)
	v_cmp_ne_u32_e32 vcc, 0, v2
	s_and_b64 s[4:5], vcc, s[4:5]
	;; [unrolled: 5-line block ×3, first 2 shown]
	v_cndmask_b32_e64 v2, 0, 1, s[4:5]
	ds_bpermute_b32 v2, v9, v2
	s_xor_b64 s[4:5], s[4:5], -1
	s_waitcnt lgkmcnt(0)
	v_cmp_eq_u32_e32 vcc, 0, v2
	s_or_b64 s[4:5], vcc, s[4:5]
.LBB18_4:                               ;   in Loop: Header=BB18_5 Depth=1
	s_and_b64 s[14:15], exec, s[4:5]
	s_or_b64 s[12:13], s[14:15], s[12:13]
	v_mov_b32_e32 v2, s8
	s_mov_b32 s8, s75
	s_andn2_b64 exec, exec, s[12:13]
	s_cbranch_execz .LBB18_68
.LBB18_5:                               ; =>This Inner Loop Header: Depth=1
	s_add_i32 s75, s8, 0xffffff00
	s_or_b64 s[4:5], s[4:5], exec
	s_cmp_lt_i32 s75, 0
	s_cbranch_scc1 .LBB18_4
; %bb.6:                                ;   in Loop: Header=BB18_5 Depth=1
	s_lshr_b32 s4, s75, 1
	v_add_u32_e32 v2, s4, v0
	v_lshl_add_u64 v[4:5], v[2:3], 2, s[10:11]
	global_load_dword v4, v[4:5], off
	v_mov_b32_e32 v5, 0
	s_waitcnt vmcnt(0)
	v_cmp_class_f16_e64 s[4:5], v4, s74
	v_cmp_class_f16_sdwa s[14:15], v4, s74 src0_sel:WORD_1 src1_sel:DWORD
	s_and_b64 s[14:15], s[4:5], s[14:15]
	s_and_saveexec_b64 s[4:5], s[14:15]
	s_cbranch_execz .LBB18_66
; %bb.7:                                ;   in Loop: Header=BB18_5 Depth=1
	v_add_u32_e32 v4, s9, v2
	v_ashrrev_i32_e32 v5, 31, v4
	v_lshl_add_u64 v[8:9], v[4:5], 2, s[10:11]
	global_load_dword v2, v[8:9], off
	v_mov_b32_e32 v5, 0
	s_waitcnt vmcnt(0)
	v_cmp_class_f16_e64 s[16:17], v2, s74
	s_and_saveexec_b64 s[14:15], s[16:17]
	s_cbranch_execz .LBB18_65
; %bb.8:                                ;   in Loop: Header=BB18_5 Depth=1
	v_cmp_class_f16_sdwa s[18:19], v2, s74 src0_sel:WORD_1 src1_sel:DWORD
	v_mov_b32_e32 v5, 0
	s_and_saveexec_b64 s[16:17], s[18:19]
	s_cbranch_execz .LBB18_64
; %bb.9:                                ;   in Loop: Header=BB18_5 Depth=1
	v_add_u32_e32 v4, s9, v4
	v_ashrrev_i32_e32 v5, 31, v4
	v_lshl_add_u64 v[8:9], v[4:5], 2, s[10:11]
	global_load_dword v2, v[8:9], off
	v_mov_b32_e32 v5, 0
	s_waitcnt vmcnt(0)
	v_cmp_class_f16_e64 s[20:21], v2, s74
	s_and_saveexec_b64 s[18:19], s[20:21]
	s_cbranch_execz .LBB18_63
; %bb.10:                               ;   in Loop: Header=BB18_5 Depth=1
	v_cmp_class_f16_sdwa s[22:23], v2, s74 src0_sel:WORD_1 src1_sel:DWORD
	v_mov_b32_e32 v5, 0
	s_and_saveexec_b64 s[20:21], s[22:23]
	s_cbranch_execz .LBB18_62
; %bb.11:                               ;   in Loop: Header=BB18_5 Depth=1
	v_add_u32_e32 v4, s9, v4
	v_ashrrev_i32_e32 v5, 31, v4
	v_lshl_add_u64 v[8:9], v[4:5], 2, s[10:11]
	global_load_dword v2, v[8:9], off
	v_mov_b32_e32 v5, 0
	s_waitcnt vmcnt(0)
	v_cmp_class_f16_e64 s[24:25], v2, s74
	s_and_saveexec_b64 s[22:23], s[24:25]
	s_cbranch_execz .LBB18_61
; %bb.12:                               ;   in Loop: Header=BB18_5 Depth=1
	v_cmp_class_f16_sdwa s[26:27], v2, s74 src0_sel:WORD_1 src1_sel:DWORD
	v_mov_b32_e32 v5, 0
	s_and_saveexec_b64 s[24:25], s[26:27]
	s_cbranch_execz .LBB18_60
; %bb.13:                               ;   in Loop: Header=BB18_5 Depth=1
	;; [unrolled: 15-line block ×13, first 2 shown]
	v_add_u32_e32 v4, s9, v4
	v_ashrrev_i32_e32 v5, 31, v4
	v_lshl_add_u64 v[4:5], v[4:5], 2, s[10:11]
	global_load_dword v2, v[4:5], off
	v_mov_b32_e32 v5, 0
	s_waitcnt vmcnt(0)
	v_cmp_class_f16_e64 s[76:77], v2, s74
	s_and_saveexec_b64 s[72:73], s[76:77]
; %bb.36:                               ;   in Loop: Header=BB18_5 Depth=1
	v_cmp_class_f16_sdwa s[76:77], v2, s74 src0_sel:WORD_1 src1_sel:DWORD
	s_nop 1
	v_cndmask_b32_e64 v5, 0, 1, s[76:77]
; %bb.37:                               ;   in Loop: Header=BB18_5 Depth=1
	s_or_b64 exec, exec, s[72:73]
.LBB18_38:                              ;   in Loop: Header=BB18_5 Depth=1
	s_or_b64 exec, exec, s[70:71]
.LBB18_39:                              ;   in Loop: Header=BB18_5 Depth=1
	s_or_b64 exec, exec, s[68:69]
.LBB18_40:                              ;   in Loop: Header=BB18_5 Depth=1
	s_or_b64 exec, exec, s[66:67]
.LBB18_41:                              ;   in Loop: Header=BB18_5 Depth=1
	s_or_b64 exec, exec, s[64:65]
.LBB18_42:                              ;   in Loop: Header=BB18_5 Depth=1
	s_or_b64 exec, exec, s[62:63]
.LBB18_43:                              ;   in Loop: Header=BB18_5 Depth=1
	s_or_b64 exec, exec, s[60:61]
.LBB18_44:                              ;   in Loop: Header=BB18_5 Depth=1
	s_or_b64 exec, exec, s[58:59]
.LBB18_45:                              ;   in Loop: Header=BB18_5 Depth=1
	s_or_b64 exec, exec, s[56:57]
.LBB18_46:                              ;   in Loop: Header=BB18_5 Depth=1
	s_or_b64 exec, exec, s[54:55]
.LBB18_47:                              ;   in Loop: Header=BB18_5 Depth=1
	s_or_b64 exec, exec, s[52:53]
.LBB18_48:                              ;   in Loop: Header=BB18_5 Depth=1
	s_or_b64 exec, exec, s[50:51]
.LBB18_49:                              ;   in Loop: Header=BB18_5 Depth=1
	s_or_b64 exec, exec, s[48:49]
.LBB18_50:                              ;   in Loop: Header=BB18_5 Depth=1
	s_or_b64 exec, exec, s[46:47]
.LBB18_51:                              ;   in Loop: Header=BB18_5 Depth=1
	s_or_b64 exec, exec, s[44:45]
.LBB18_52:                              ;   in Loop: Header=BB18_5 Depth=1
	s_or_b64 exec, exec, s[42:43]
.LBB18_53:                              ;   in Loop: Header=BB18_5 Depth=1
	s_or_b64 exec, exec, s[40:41]
.LBB18_54:                              ;   in Loop: Header=BB18_5 Depth=1
	s_or_b64 exec, exec, s[38:39]
.LBB18_55:                              ;   in Loop: Header=BB18_5 Depth=1
	s_or_b64 exec, exec, s[36:37]
.LBB18_56:                              ;   in Loop: Header=BB18_5 Depth=1
	s_or_b64 exec, exec, s[34:35]
.LBB18_57:                              ;   in Loop: Header=BB18_5 Depth=1
	s_or_b64 exec, exec, s[30:31]
.LBB18_58:                              ;   in Loop: Header=BB18_5 Depth=1
	s_or_b64 exec, exec, s[28:29]
.LBB18_59:                              ;   in Loop: Header=BB18_5 Depth=1
	s_or_b64 exec, exec, s[26:27]
.LBB18_60:                              ;   in Loop: Header=BB18_5 Depth=1
	s_or_b64 exec, exec, s[24:25]
.LBB18_61:                              ;   in Loop: Header=BB18_5 Depth=1
	s_or_b64 exec, exec, s[22:23]
.LBB18_62:                              ;   in Loop: Header=BB18_5 Depth=1
	s_or_b64 exec, exec, s[20:21]
.LBB18_63:                              ;   in Loop: Header=BB18_5 Depth=1
	s_or_b64 exec, exec, s[18:19]
.LBB18_64:                              ;   in Loop: Header=BB18_5 Depth=1
	s_or_b64 exec, exec, s[16:17]
.LBB18_65:                              ;   in Loop: Header=BB18_5 Depth=1
	s_or_b64 exec, exec, s[14:15]
.LBB18_66:                              ;   in Loop: Header=BB18_5 Depth=1
	s_or_b64 exec, exec, s[4:5]
	v_and_b32_e32 v2, 0x60, v7
	v_add_u32_e32 v9, 32, v2
	v_xor_b32_e32 v2, 16, v7
	v_cmp_lt_i32_e32 vcc, v2, v9
	v_xor_b32_e32 v11, 1, v7
	s_nop 0
	v_cndmask_b32_e32 v2, v7, v2, vcc
	v_lshlrev_b32_e32 v2, 2, v2
	ds_bpermute_b32 v4, v2, v5
	v_cmp_ne_u32_e32 vcc, 0, v5
	s_waitcnt lgkmcnt(0)
	v_cmp_ne_u32_e64 s[4:5], 0, v4
	v_xor_b32_e32 v4, 8, v7
	s_and_b64 s[4:5], vcc, s[4:5]
	v_cmp_lt_i32_e32 vcc, v4, v9
	v_cndmask_b32_e64 v5, 0, 1, s[4:5]
	s_nop 0
	v_cndmask_b32_e32 v4, v7, v4, vcc
	v_lshlrev_b32_e32 v4, 2, v4
	ds_bpermute_b32 v5, v4, v5
	s_waitcnt lgkmcnt(0)
	v_cmp_ne_u32_e32 vcc, 0, v5
	v_xor_b32_e32 v5, 4, v7
	s_and_b64 s[4:5], vcc, s[4:5]
	v_cmp_lt_i32_e32 vcc, v5, v9
	v_cndmask_b32_e64 v8, 0, 1, s[4:5]
	s_nop 0
	v_cndmask_b32_e32 v5, v7, v5, vcc
	v_lshlrev_b32_e32 v5, 2, v5
	ds_bpermute_b32 v8, v5, v8
	s_waitcnt lgkmcnt(0)
	v_cmp_ne_u32_e32 vcc, 0, v8
	;; [unrolled: 10-line block ×3, first 2 shown]
	s_and_b64 s[4:5], vcc, s[4:5]
	v_cmp_lt_i32_e32 vcc, v11, v9
	v_cndmask_b32_e64 v10, 0, 1, s[4:5]
	s_nop 0
	v_cndmask_b32_e32 v9, v7, v11, vcc
	v_lshlrev_b32_e32 v9, 2, v9
	ds_bpermute_b32 v10, v9, v10
	s_and_saveexec_b64 s[14:15], s[0:1]
	s_cbranch_execz .LBB18_3
; %bb.67:                               ;   in Loop: Header=BB18_5 Depth=1
	s_waitcnt lgkmcnt(0)
	v_cmp_ne_u32_e32 vcc, 0, v10
	s_and_b64 s[4:5], vcc, s[4:5]
	v_cndmask_b32_e64 v10, 0, 1, s[4:5]
	ds_write_b32 v1, v10
	s_branch .LBB18_3
.LBB18_68:
	s_or_b64 exec, exec, s[12:13]
	v_cmp_eq_u32_e32 vcc, 0, v0
	s_and_saveexec_b64 s[0:1], vcc
	s_cbranch_execz .LBB18_70
; %bb.69:
	s_mul_i32 s0, s33, s3
	s_add_i32 s0, s0, s2
	s_ashr_i32 s1, s0, 31
	s_lshl_b64 s[0:1], s[0:1], 2
	s_add_u32 s0, s6, s0
	s_addc_u32 s1, s7, s1
	v_mov_b32_e32 v0, 0
	global_store_dword v0, v2, s[0:1]
.LBB18_70:
	s_endpgm
	.section	.rodata,"a",@progbits
	.p2align	6, 0x0
	.amdhsa_kernel _ZL25flash_attn_mask_to_KV_maxILi16EEvPK7__half2Piiii
		.amdhsa_group_segment_fixed_size 128
		.amdhsa_private_segment_fixed_size 0
		.amdhsa_kernarg_size 288
		.amdhsa_user_sgpr_count 2
		.amdhsa_user_sgpr_dispatch_ptr 0
		.amdhsa_user_sgpr_queue_ptr 0
		.amdhsa_user_sgpr_kernarg_segment_ptr 1
		.amdhsa_user_sgpr_dispatch_id 0
		.amdhsa_user_sgpr_kernarg_preload_length 0
		.amdhsa_user_sgpr_kernarg_preload_offset 0
		.amdhsa_user_sgpr_private_segment_size 0
		.amdhsa_uses_dynamic_stack 0
		.amdhsa_enable_private_segment 0
		.amdhsa_system_sgpr_workgroup_id_x 1
		.amdhsa_system_sgpr_workgroup_id_y 1
		.amdhsa_system_sgpr_workgroup_id_z 0
		.amdhsa_system_sgpr_workgroup_info 0
		.amdhsa_system_vgpr_workitem_id 0
		.amdhsa_next_free_vgpr 12
		.amdhsa_next_free_sgpr 78
		.amdhsa_accum_offset 12
		.amdhsa_reserve_vcc 1
		.amdhsa_float_round_mode_32 0
		.amdhsa_float_round_mode_16_64 0
		.amdhsa_float_denorm_mode_32 3
		.amdhsa_float_denorm_mode_16_64 3
		.amdhsa_dx10_clamp 1
		.amdhsa_ieee_mode 1
		.amdhsa_fp16_overflow 0
		.amdhsa_tg_split 0
		.amdhsa_exception_fp_ieee_invalid_op 0
		.amdhsa_exception_fp_denorm_src 0
		.amdhsa_exception_fp_ieee_div_zero 0
		.amdhsa_exception_fp_ieee_overflow 0
		.amdhsa_exception_fp_ieee_underflow 0
		.amdhsa_exception_fp_ieee_inexact 0
		.amdhsa_exception_int_div_zero 0
	.end_amdhsa_kernel
	.section	.text._ZL25flash_attn_mask_to_KV_maxILi16EEvPK7__half2Piiii,"axG",@progbits,_ZL25flash_attn_mask_to_KV_maxILi16EEvPK7__half2Piiii,comdat
.Lfunc_end18:
	.size	_ZL25flash_attn_mask_to_KV_maxILi16EEvPK7__half2Piiii, .Lfunc_end18-_ZL25flash_attn_mask_to_KV_maxILi16EEvPK7__half2Piiii
                                        ; -- End function
	.set _ZL25flash_attn_mask_to_KV_maxILi16EEvPK7__half2Piiii.num_vgpr, 12
	.set _ZL25flash_attn_mask_to_KV_maxILi16EEvPK7__half2Piiii.num_agpr, 0
	.set _ZL25flash_attn_mask_to_KV_maxILi16EEvPK7__half2Piiii.numbered_sgpr, 78
	.set _ZL25flash_attn_mask_to_KV_maxILi16EEvPK7__half2Piiii.num_named_barrier, 0
	.set _ZL25flash_attn_mask_to_KV_maxILi16EEvPK7__half2Piiii.private_seg_size, 0
	.set _ZL25flash_attn_mask_to_KV_maxILi16EEvPK7__half2Piiii.uses_vcc, 1
	.set _ZL25flash_attn_mask_to_KV_maxILi16EEvPK7__half2Piiii.uses_flat_scratch, 0
	.set _ZL25flash_attn_mask_to_KV_maxILi16EEvPK7__half2Piiii.has_dyn_sized_stack, 0
	.set _ZL25flash_attn_mask_to_KV_maxILi16EEvPK7__half2Piiii.has_recursion, 0
	.set _ZL25flash_attn_mask_to_KV_maxILi16EEvPK7__half2Piiii.has_indirect_call, 0
	.section	.AMDGPU.csdata,"",@progbits
; Kernel info:
; codeLenInByte = 1900
; TotalNumSgprs: 84
; NumVgprs: 12
; NumAgprs: 0
; TotalNumVgprs: 12
; ScratchSize: 0
; MemoryBound: 0
; FloatMode: 240
; IeeeMode: 1
; LDSByteSize: 128 bytes/workgroup (compile time only)
; SGPRBlocks: 10
; VGPRBlocks: 1
; NumSGPRsForWavesPerEU: 84
; NumVGPRsForWavesPerEU: 12
; AccumOffset: 12
; Occupancy: 8
; WaveLimiterHint : 0
; COMPUTE_PGM_RSRC2:SCRATCH_EN: 0
; COMPUTE_PGM_RSRC2:USER_SGPR: 2
; COMPUTE_PGM_RSRC2:TRAP_HANDLER: 0
; COMPUTE_PGM_RSRC2:TGID_X_EN: 1
; COMPUTE_PGM_RSRC2:TGID_Y_EN: 1
; COMPUTE_PGM_RSRC2:TGID_Z_EN: 0
; COMPUTE_PGM_RSRC2:TIDIG_COMP_CNT: 0
; COMPUTE_PGM_RSRC3_GFX90A:ACCUM_OFFSET: 2
; COMPUTE_PGM_RSRC3_GFX90A:TG_SPLIT: 0
	.section	.text._ZL33flash_attn_stream_k_fixup_uniformILi128ELi16ELi4EEvPfPK15HIP_vector_typeIfLj2EEiiiiiiS1_IjLj3EES5_S5_,"axG",@progbits,_ZL33flash_attn_stream_k_fixup_uniformILi128ELi16ELi4EEvPfPK15HIP_vector_typeIfLj2EEiiiiiiS1_IjLj3EES5_S5_,comdat
	.globl	_ZL33flash_attn_stream_k_fixup_uniformILi128ELi16ELi4EEvPfPK15HIP_vector_typeIfLj2EEiiiiiiS1_IjLj3EES5_S5_ ; -- Begin function _ZL33flash_attn_stream_k_fixup_uniformILi128ELi16ELi4EEvPfPK15HIP_vector_typeIfLj2EEiiiiiiS1_IjLj3EES5_S5_
	.p2align	8
	.type	_ZL33flash_attn_stream_k_fixup_uniformILi128ELi16ELi4EEvPfPK15HIP_vector_typeIfLj2EEiiiiiiS1_IjLj3EES5_S5_,@function
_ZL33flash_attn_stream_k_fixup_uniformILi128ELi16ELi4EEvPfPK15HIP_vector_typeIfLj2EEiiiiiiS1_IjLj3EES5_S5_: ; @_ZL33flash_attn_stream_k_fixup_uniformILi128ELi16ELi4EEvPfPK15HIP_vector_typeIfLj2EEiiiiiiS1_IjLj3EES5_S5_
; %bb.0:
	s_load_dwordx8 s[8:15], s[0:1], 0x1c
	s_load_dwordx2 s[6:7], s[0:1], 0x10
	s_load_dwordx4 s[20:23], s[0:1], 0x3c
	s_waitcnt lgkmcnt(0)
	s_mul_hi_u32 s5, s11, s2
	s_add_i32 s5, s2, s5
	s_lshr_b32 s5, s5, s12
	s_mul_i32 s11, s5, s13
	s_sub_i32 s11, s2, s11
	s_mul_hi_u32 s12, s11, s14
	s_add_i32 s12, s11, s12
	s_lshr_b32 s16, s12, s15
	s_mul_i32 s12, s16, s20
	s_sub_i32 s11, s11, s12
	s_mul_hi_u32 s12, s11, s21
	s_add_i32 s12, s11, s12
	s_lshr_b32 s12, s12, s22
	s_mul_i32 s13, s12, s23
	s_sub_i32 s17, s11, s13
	s_lshl_b32 s11, s12, 2
	s_lshl_b32 s12, s17, 4
	s_add_i32 s12, s12, s3
	s_cmp_lt_i32 s12, s6
	s_cselect_b64 s[12:13], -1, 0
	s_add_i32 s14, s11, s4
	s_cmp_lt_i32 s14, s9
	s_cselect_b64 s[14:15], -1, 0
	s_and_b64 s[12:13], s[12:13], s[14:15]
	s_andn2_b64 vcc, exec, s[12:13]
	s_cbranch_vccnz .LBB19_6
; %bb.1:
	s_load_dwordx4 s[12:15], s[0:1], 0x0
	s_mul_i32 s0, s5, s6
	s_add_i32 s0, s0, s3
	s_mul_i32 s0, s0, s7
	s_mul_i32 s16, s16, s9
	s_add_i32 s0, s0, s4
	s_add_i32 s0, s0, s16
	s_mul_i32 s1, s7, s17
	s_add_i32 s0, s0, s11
	s_lshl_b32 s1, s1, 11
	s_lshl_b32 s0, s0, 7
	s_add_i32 s1, s1, s0
	v_or_b32_e32 v4, s1, v0
	s_waitcnt lgkmcnt(0)
	v_mov_b32_e32 v2, s12
	v_mov_b32_e32 v3, s13
	v_ashrrev_i32_e32 v5, 31, v4
	v_lshl_add_u64 v[2:3], v[4:5], 2, v[2:3]
	global_load_dword v5, v[2:3], off
	s_mul_i32 s5, s10, s2
	s_lshl_b32 s11, s3, 2
	s_add_i32 s9, s5, s10
	s_add_i32 s0, s11, s4
	s_lshl_b32 s1, s9, 6
	s_add_i32 s0, s0, s1
	s_sub_i32 s0, s0, 64
	s_ashr_i32 s1, s0, 31
	s_lshl_b64 s[0:1], s[0:1], 3
	s_add_u32 s0, s14, s0
	s_addc_u32 s1, s15, s1
	s_load_dword s12, s[0:1], 0x4
	s_add_i32 s6, s9, -2
	s_cmp_lt_i32 s6, s5
	s_cbranch_scc1 .LBB19_4
; %bb.2:
	s_lshl_b32 s6, s8, 8
	s_ashr_i32 s7, s6, 31
	s_lshl_b64 s[6:7], s[6:7], 2
	s_add_u32 s6, s14, s6
	s_addc_u32 s7, s15, s7
	s_add_i32 s2, s2, 1
	s_load_dword s0, s[0:1], 0x0
	s_mul_i32 s1, s10, s2
	s_lshl_b32 s3, s3, 9
	s_lshl_b32 s10, s4, 7
	;; [unrolled: 1-line block ×3, first 2 shown]
	s_add_i32 s3, s10, s3
	s_lshl_b32 s1, s1, 6
	s_add_i32 s3, s3, s2
	s_add_i32 s1, s4, s1
	s_lshl_b32 s2, s8, 6
	s_add_i32 s1, s1, s2
	v_or_b32_e32 v0, s3, v0
	s_add_i32 s1, s1, s11
	s_add_i32 s9, s9, -1
	v_add_u32_e32 v0, 0xffffc000, v0
	s_add_i32 s2, s1, 0xffffff80
	s_waitcnt lgkmcnt(0)
	v_mov_b32_e32 v7, s0
	v_mov_b32_e32 v4, s12
	s_mov_b32 s4, 0x3fb8aa3b
	s_mov_b32 s8, 0xc2ce8ed0
	;; [unrolled: 1-line block ×3, first 2 shown]
	v_mov_b32_e32 v6, 0x7f800000
	s_mov_b32 s11, 0xc1a00000
.LBB19_3:                               ; =>This Inner Loop Header: Depth=1
	v_ashrrev_i32_e32 v1, 31, v0
	v_lshl_add_u64 v[8:9], v[0:1], 2, s[6:7]
	global_load_dword v9, v[8:9], off
	s_ashr_i32 s3, s2, 31
	s_lshl_b64 s[0:1], s[2:3], 3
	s_add_u32 s0, s14, s0
	s_addc_u32 s1, s15, s1
	s_load_dwordx2 s[0:1], s[0:1], 0x0
	v_max_f32_e32 v1, v7, v7
	s_add_i32 s9, s9, -1
	s_sub_i32 s2, s2, 64
	v_add_u32_e32 v0, 0xffffe000, v0
	s_waitcnt lgkmcnt(0)
	v_max_f32_e64 v10, s0, s0
	v_max_f32_e32 v1, v1, v10
	v_sub_f32_e32 v11, s0, v1
	v_sub_f32_e32 v10, v7, v1
	v_mul_f32_e32 v12, 0x3fb8aa3b, v11
	v_mov_b32_e32 v7, v1
	v_mul_f32_e32 v1, 0x3fb8aa3b, v10
	v_fma_f32 v15, v11, s4, -v12
	v_rndne_f32_e32 v16, v12
	v_fma_f32 v13, v10, s4, -v1
	v_rndne_f32_e32 v14, v1
	v_fmac_f32_e32 v15, 0x32a5705f, v11
	v_sub_f32_e32 v12, v12, v16
	v_fmac_f32_e32 v13, 0x32a5705f, v10
	v_sub_f32_e32 v1, v1, v14
	v_add_f32_e32 v12, v12, v15
	v_cvt_i32_f32_e32 v16, v16
	v_add_f32_e32 v1, v1, v13
	v_exp_f32_e32 v12, v12
	v_cvt_i32_f32_e32 v14, v14
	v_exp_f32_e32 v1, v1
	v_cmp_ngt_f32_e32 vcc, s8, v11
	v_ldexp_f32 v12, v12, v16
	v_mov_b32_e32 v8, s1
	v_ldexp_f32 v1, v1, v14
	v_cmp_ngt_f32_e64 s[0:1], s8, v10
	v_cndmask_b32_e32 v12, 0, v12, vcc
	v_cmp_nlt_f32_e32 vcc, s10, v11
	v_cndmask_b32_e64 v1, 0, v1, s[0:1]
	v_cmp_nlt_f32_e64 s[0:1], s10, v10
	v_cndmask_b32_e32 v12, v6, v12, vcc
	v_cmp_le_f32_e32 vcc, s11, v11
	v_cndmask_b32_e64 v1, v6, v1, s[0:1]
	v_cmp_le_f32_e64 s[0:1], s11, v10
	v_cndmask_b32_e32 v12, 0, v12, vcc
	s_cmp_le_i32 s9, s5
	v_cndmask_b32_e64 v10, 0, v1, s[0:1]
	s_waitcnt vmcnt(0)
	v_pk_mul_f32 v[8:9], v[8:9], v[12:13] op_sel_hi:[1,0]
	s_nop 0
	v_pk_fma_f32 v[4:5], v[4:5], v[10:11], v[8:9] op_sel_hi:[1,0,1]
	s_cbranch_scc0 .LBB19_3
	s_branch .LBB19_5
.LBB19_4:
	s_waitcnt lgkmcnt(0)
	v_mov_b32_e32 v4, s12
.LBB19_5:
	s_waitcnt vmcnt(0)
	v_div_scale_f32 v0, s[0:1], v4, v4, v5
	v_rcp_f32_e32 v1, v0
	v_div_scale_f32 v6, vcc, v5, v4, v5
	v_fma_f32 v7, -v0, v1, 1.0
	v_fmac_f32_e32 v1, v7, v1
	v_mul_f32_e32 v7, v6, v1
	v_fma_f32 v8, -v0, v7, v6
	v_fmac_f32_e32 v7, v8, v1
	v_fma_f32 v0, -v0, v7, v6
	v_div_fmas_f32 v0, v0, v1, v7
	v_div_fixup_f32 v0, v0, v4, v5
	global_store_dword v[2:3], v0, off
.LBB19_6:
	s_endpgm
	.section	.rodata,"a",@progbits
	.p2align	6, 0x0
	.amdhsa_kernel _ZL33flash_attn_stream_k_fixup_uniformILi128ELi16ELi4EEvPfPK15HIP_vector_typeIfLj2EEiiiiiiS1_IjLj3EES5_S5_
		.amdhsa_group_segment_fixed_size 0
		.amdhsa_private_segment_fixed_size 0
		.amdhsa_kernarg_size 76
		.amdhsa_user_sgpr_count 2
		.amdhsa_user_sgpr_dispatch_ptr 0
		.amdhsa_user_sgpr_queue_ptr 0
		.amdhsa_user_sgpr_kernarg_segment_ptr 1
		.amdhsa_user_sgpr_dispatch_id 0
		.amdhsa_user_sgpr_kernarg_preload_length 0
		.amdhsa_user_sgpr_kernarg_preload_offset 0
		.amdhsa_user_sgpr_private_segment_size 0
		.amdhsa_uses_dynamic_stack 0
		.amdhsa_enable_private_segment 0
		.amdhsa_system_sgpr_workgroup_id_x 1
		.amdhsa_system_sgpr_workgroup_id_y 1
		.amdhsa_system_sgpr_workgroup_id_z 1
		.amdhsa_system_sgpr_workgroup_info 0
		.amdhsa_system_vgpr_workitem_id 0
		.amdhsa_next_free_vgpr 17
		.amdhsa_next_free_sgpr 24
		.amdhsa_accum_offset 20
		.amdhsa_reserve_vcc 1
		.amdhsa_float_round_mode_32 0
		.amdhsa_float_round_mode_16_64 0
		.amdhsa_float_denorm_mode_32 3
		.amdhsa_float_denorm_mode_16_64 3
		.amdhsa_dx10_clamp 1
		.amdhsa_ieee_mode 1
		.amdhsa_fp16_overflow 0
		.amdhsa_tg_split 0
		.amdhsa_exception_fp_ieee_invalid_op 0
		.amdhsa_exception_fp_denorm_src 0
		.amdhsa_exception_fp_ieee_div_zero 0
		.amdhsa_exception_fp_ieee_overflow 0
		.amdhsa_exception_fp_ieee_underflow 0
		.amdhsa_exception_fp_ieee_inexact 0
		.amdhsa_exception_int_div_zero 0
	.end_amdhsa_kernel
	.section	.text._ZL33flash_attn_stream_k_fixup_uniformILi128ELi16ELi4EEvPfPK15HIP_vector_typeIfLj2EEiiiiiiS1_IjLj3EES5_S5_,"axG",@progbits,_ZL33flash_attn_stream_k_fixup_uniformILi128ELi16ELi4EEvPfPK15HIP_vector_typeIfLj2EEiiiiiiS1_IjLj3EES5_S5_,comdat
.Lfunc_end19:
	.size	_ZL33flash_attn_stream_k_fixup_uniformILi128ELi16ELi4EEvPfPK15HIP_vector_typeIfLj2EEiiiiiiS1_IjLj3EES5_S5_, .Lfunc_end19-_ZL33flash_attn_stream_k_fixup_uniformILi128ELi16ELi4EEvPfPK15HIP_vector_typeIfLj2EEiiiiiiS1_IjLj3EES5_S5_
                                        ; -- End function
	.set _ZL33flash_attn_stream_k_fixup_uniformILi128ELi16ELi4EEvPfPK15HIP_vector_typeIfLj2EEiiiiiiS1_IjLj3EES5_S5_.num_vgpr, 17
	.set _ZL33flash_attn_stream_k_fixup_uniformILi128ELi16ELi4EEvPfPK15HIP_vector_typeIfLj2EEiiiiiiS1_IjLj3EES5_S5_.num_agpr, 0
	.set _ZL33flash_attn_stream_k_fixup_uniformILi128ELi16ELi4EEvPfPK15HIP_vector_typeIfLj2EEiiiiiiS1_IjLj3EES5_S5_.numbered_sgpr, 24
	.set _ZL33flash_attn_stream_k_fixup_uniformILi128ELi16ELi4EEvPfPK15HIP_vector_typeIfLj2EEiiiiiiS1_IjLj3EES5_S5_.num_named_barrier, 0
	.set _ZL33flash_attn_stream_k_fixup_uniformILi128ELi16ELi4EEvPfPK15HIP_vector_typeIfLj2EEiiiiiiS1_IjLj3EES5_S5_.private_seg_size, 0
	.set _ZL33flash_attn_stream_k_fixup_uniformILi128ELi16ELi4EEvPfPK15HIP_vector_typeIfLj2EEiiiiiiS1_IjLj3EES5_S5_.uses_vcc, 1
	.set _ZL33flash_attn_stream_k_fixup_uniformILi128ELi16ELi4EEvPfPK15HIP_vector_typeIfLj2EEiiiiiiS1_IjLj3EES5_S5_.uses_flat_scratch, 0
	.set _ZL33flash_attn_stream_k_fixup_uniformILi128ELi16ELi4EEvPfPK15HIP_vector_typeIfLj2EEiiiiiiS1_IjLj3EES5_S5_.has_dyn_sized_stack, 0
	.set _ZL33flash_attn_stream_k_fixup_uniformILi128ELi16ELi4EEvPfPK15HIP_vector_typeIfLj2EEiiiiiiS1_IjLj3EES5_S5_.has_recursion, 0
	.set _ZL33flash_attn_stream_k_fixup_uniformILi128ELi16ELi4EEvPfPK15HIP_vector_typeIfLj2EEiiiiiiS1_IjLj3EES5_S5_.has_indirect_call, 0
	.section	.AMDGPU.csdata,"",@progbits
; Kernel info:
; codeLenInByte = 840
; TotalNumSgprs: 30
; NumVgprs: 17
; NumAgprs: 0
; TotalNumVgprs: 17
; ScratchSize: 0
; MemoryBound: 0
; FloatMode: 240
; IeeeMode: 1
; LDSByteSize: 0 bytes/workgroup (compile time only)
; SGPRBlocks: 3
; VGPRBlocks: 2
; NumSGPRsForWavesPerEU: 30
; NumVGPRsForWavesPerEU: 17
; AccumOffset: 20
; Occupancy: 8
; WaveLimiterHint : 0
; COMPUTE_PGM_RSRC2:SCRATCH_EN: 0
; COMPUTE_PGM_RSRC2:USER_SGPR: 2
; COMPUTE_PGM_RSRC2:TRAP_HANDLER: 0
; COMPUTE_PGM_RSRC2:TGID_X_EN: 1
; COMPUTE_PGM_RSRC2:TGID_Y_EN: 1
; COMPUTE_PGM_RSRC2:TGID_Z_EN: 1
; COMPUTE_PGM_RSRC2:TIDIG_COMP_CNT: 0
; COMPUTE_PGM_RSRC3_GFX90A:ACCUM_OFFSET: 4
; COMPUTE_PGM_RSRC3_GFX90A:TG_SPLIT: 0
	.section	.text._ZL33flash_attn_stream_k_fixup_generalILi128ELi16ELi4EEvPfPK15HIP_vector_typeIfLj2EEiiiiS1_IjLj3EES5_S5_S5_,"axG",@progbits,_ZL33flash_attn_stream_k_fixup_generalILi128ELi16ELi4EEvPfPK15HIP_vector_typeIfLj2EEiiiiS1_IjLj3EES5_S5_S5_,comdat
	.globl	_ZL33flash_attn_stream_k_fixup_generalILi128ELi16ELi4EEvPfPK15HIP_vector_typeIfLj2EEiiiiS1_IjLj3EES5_S5_S5_ ; -- Begin function _ZL33flash_attn_stream_k_fixup_generalILi128ELi16ELi4EEvPfPK15HIP_vector_typeIfLj2EEiiiiS1_IjLj3EES5_S5_S5_
	.p2align	8
	.type	_ZL33flash_attn_stream_k_fixup_generalILi128ELi16ELi4EEvPfPK15HIP_vector_typeIfLj2EEiiiiS1_IjLj3EES5_S5_S5_,@function
_ZL33flash_attn_stream_k_fixup_generalILi128ELi16ELi4EEvPfPK15HIP_vector_typeIfLj2EEiiiiS1_IjLj3EES5_S5_S5_: ; @_ZL33flash_attn_stream_k_fixup_generalILi128ELi16ELi4EEvPfPK15HIP_vector_typeIfLj2EEiiiiS1_IjLj3EES5_S5_S5_
; %bb.0:
	s_load_dwordx4 s[8:11], s[0:1], 0x10
	s_load_dword s22, s[0:1], 0x50
	s_mov_b32 s12, 0
	s_waitcnt lgkmcnt(0)
	s_mul_hi_i32 s13, s11, s2
	s_cmp_lg_u64 s[12:13], 0
	s_mul_i32 s5, s11, s2
	s_cbranch_scc0 .LBB20_20
; %bb.1:
	s_add_u32 s6, s22, 0
	s_addc_u32 s7, 0, 0
	s_xor_b64 s[6:7], s[6:7], 0
	v_cvt_f32_u32_e32 v1, s6
	v_cvt_f32_u32_e32 v2, s7
	s_sub_u32 s12, 0, s6
	s_subb_u32 s18, 0, s7
	v_fmamk_f32 v1, v2, 0x4f800000, v1
	v_rcp_f32_e32 v1, v1
	s_nop 0
	v_mul_f32_e32 v1, 0x5f7ffffc, v1
	v_mul_f32_e32 v2, 0x2f800000, v1
	v_trunc_f32_e32 v2, v2
	v_fmamk_f32 v1, v2, 0xcf800000, v1
	v_cvt_u32_f32_e32 v2, v2
	v_cvt_u32_f32_e32 v1, v1
	v_readfirstlane_b32 s19, v2
	v_readfirstlane_b32 s14, v1
	s_mul_i32 s15, s12, s19
	s_mul_hi_u32 s21, s12, s14
	s_mul_i32 s20, s18, s14
	s_add_i32 s15, s21, s15
	s_add_i32 s15, s15, s20
	s_mul_i32 s23, s12, s14
	s_mul_i32 s21, s14, s15
	s_mul_hi_u32 s24, s14, s23
	s_mul_hi_u32 s20, s14, s15
	s_add_u32 s21, s24, s21
	s_addc_u32 s20, 0, s20
	s_mul_hi_u32 s25, s19, s23
	s_mul_i32 s23, s19, s23
	s_add_u32 s21, s21, s23
	s_mul_hi_u32 s24, s19, s15
	s_addc_u32 s20, s20, s25
	s_addc_u32 s21, s24, 0
	s_mul_i32 s15, s19, s15
	s_add_u32 s15, s20, s15
	s_addc_u32 s20, 0, s21
	s_add_u32 s21, s14, s15
	s_cselect_b64 s[14:15], -1, 0
	s_cmp_lg_u64 s[14:15], 0
	s_addc_u32 s19, s19, s20
	s_mul_i32 s14, s12, s19
	s_mul_hi_u32 s15, s12, s21
	s_add_i32 s14, s15, s14
	s_mul_i32 s18, s18, s21
	s_add_i32 s14, s14, s18
	s_mul_i32 s12, s12, s21
	s_mul_hi_u32 s18, s19, s12
	s_mul_i32 s20, s19, s12
	s_mul_i32 s24, s21, s14
	s_mul_hi_u32 s12, s21, s12
	s_mul_hi_u32 s23, s21, s14
	s_add_u32 s12, s12, s24
	s_addc_u32 s23, 0, s23
	s_add_u32 s12, s12, s20
	s_mul_hi_u32 s15, s19, s14
	s_addc_u32 s12, s23, s18
	s_addc_u32 s15, s15, 0
	s_mul_i32 s14, s19, s14
	s_add_u32 s12, s12, s14
	s_addc_u32 s18, 0, s15
	s_add_u32 s20, s21, s12
	s_cselect_b64 s[14:15], -1, 0
	s_cmp_lg_u64 s[14:15], 0
	s_addc_u32 s18, s19, s18
	s_ashr_i32 s14, s13, 31
	s_add_u32 s12, s5, s14
	s_mov_b32 s15, s14
	s_addc_u32 s13, s13, s14
	s_xor_b64 s[12:13], s[12:13], s[14:15]
	s_mul_i32 s21, s12, s18
	s_mul_hi_u32 s23, s12, s20
	s_mul_hi_u32 s19, s12, s18
	s_add_u32 s21, s23, s21
	s_addc_u32 s19, 0, s19
	s_mul_hi_u32 s24, s13, s20
	s_mul_i32 s20, s13, s20
	s_add_u32 s20, s21, s20
	s_mul_hi_u32 s23, s13, s18
	s_addc_u32 s19, s19, s24
	s_addc_u32 s20, s23, 0
	s_mul_i32 s18, s13, s18
	s_add_u32 s23, s19, s18
	s_addc_u32 s24, 0, s20
	s_mul_i32 s18, s6, s24
	s_mul_hi_u32 s19, s6, s23
	s_add_i32 s18, s19, s18
	s_mul_i32 s19, s7, s23
	s_add_i32 s25, s18, s19
	s_sub_i32 s20, s13, s25
	s_mul_i32 s18, s6, s23
	s_sub_u32 s12, s12, s18
	s_cselect_b64 s[18:19], -1, 0
	s_cmp_lg_u64 s[18:19], 0
	s_subb_u32 s26, s20, s7
	s_sub_u32 s27, s12, s6
	s_cselect_b64 s[20:21], -1, 0
	s_cmp_lg_u64 s[20:21], 0
	s_subb_u32 s20, s26, 0
	s_cmp_ge_u32 s20, s7
	s_cselect_b32 s21, -1, 0
	s_cmp_ge_u32 s27, s6
	s_cselect_b32 s26, -1, 0
	s_cmp_eq_u32 s20, s7
	s_cselect_b32 s20, s26, s21
	s_add_u32 s21, s23, 1
	s_addc_u32 s26, s24, 0
	s_add_u32 s27, s23, 2
	s_addc_u32 s28, s24, 0
	s_cmp_lg_u32 s20, 0
	s_cselect_b32 s20, s27, s21
	s_cselect_b32 s21, s28, s26
	s_cmp_lg_u64 s[18:19], 0
	s_subb_u32 s13, s13, s25
	s_cmp_ge_u32 s13, s7
	s_cselect_b32 s18, -1, 0
	s_cmp_ge_u32 s12, s6
	s_cselect_b32 s6, -1, 0
	s_cmp_eq_u32 s13, s7
	s_cselect_b32 s6, s6, s18
	s_cmp_lg_u32 s6, 0
	s_cselect_b32 s7, s21, s24
	s_cselect_b32 s6, s20, s23
	s_xor_b64 s[12:13], s[14:15], 0
	s_xor_b64 s[6:7], s[6:7], s[12:13]
	s_sub_u32 s6, s6, s12
	s_load_dwordx4 s[12:15], s[0:1], 0x44
	s_cbranch_execnz .LBB20_3
.LBB20_2:
	v_cvt_f32_u32_e32 v1, s22
	s_sub_i32 s6, 0, s22
	v_rcp_iflag_f32_e32 v1, v1
	s_nop 0
	v_mul_f32_e32 v1, 0x4f7ffffe, v1
	v_cvt_u32_f32_e32 v1, v1
	s_nop 0
	v_readfirstlane_b32 s7, v1
	s_mul_i32 s6, s6, s7
	s_mul_hi_u32 s6, s7, s6
	s_add_i32 s7, s7, s6
	s_mul_hi_u32 s6, s5, s7
	s_waitcnt lgkmcnt(0)
	s_mul_i32 s15, s6, s22
	s_sub_i32 s5, s5, s15
	s_add_i32 s7, s6, 1
	s_sub_i32 s15, s5, s22
	s_cmp_ge_u32 s5, s22
	s_cselect_b32 s6, s7, s6
	s_cselect_b32 s5, s15, s5
	s_add_i32 s7, s6, 1
	s_cmp_ge_u32 s5, s22
	s_cselect_b32 s6, s7, s6
.LBB20_3:
	s_add_i32 s5, s2, 1
	s_mul_hi_i32 s21, s11, s5
	s_mov_b32 s20, 0
	s_cmp_lg_u64 s[20:21], 0
	s_mul_i32 s5, s11, s5
	s_cbranch_scc0 .LBB20_21
; %bb.4:
	s_add_u32 s16, s22, 0
	s_addc_u32 s17, 0, 0
	s_xor_b64 s[18:19], s[16:17], 0
	v_cvt_f32_u32_e32 v1, s18
	v_cvt_f32_u32_e32 v2, s19
	s_sub_u32 s7, 0, s18
	s_waitcnt lgkmcnt(0)
	s_subb_u32 s15, 0, s19
	v_fmamk_f32 v1, v2, 0x4f800000, v1
	v_rcp_f32_e32 v1, v1
	s_nop 0
	v_mul_f32_e32 v1, 0x5f7ffffc, v1
	v_mul_f32_e32 v2, 0x2f800000, v1
	v_trunc_f32_e32 v2, v2
	v_fmamk_f32 v1, v2, 0xcf800000, v1
	v_cvt_u32_f32_e32 v2, v2
	v_cvt_u32_f32_e32 v1, v1
	v_readfirstlane_b32 s20, v2
	v_readfirstlane_b32 s23, v1
	s_mul_i32 s24, s7, s20
	s_mul_hi_u32 s26, s7, s23
	s_mul_i32 s25, s15, s23
	s_add_i32 s24, s26, s24
	s_add_i32 s24, s24, s25
	s_mul_i32 s27, s7, s23
	s_mul_i32 s26, s23, s24
	s_mul_hi_u32 s28, s23, s27
	s_mul_hi_u32 s25, s23, s24
	s_add_u32 s26, s28, s26
	s_addc_u32 s25, 0, s25
	s_mul_hi_u32 s29, s20, s27
	s_mul_i32 s27, s20, s27
	s_add_u32 s26, s26, s27
	s_mul_hi_u32 s28, s20, s24
	s_addc_u32 s25, s25, s29
	s_addc_u32 s26, s28, 0
	s_mul_i32 s24, s20, s24
	s_add_u32 s24, s25, s24
	s_addc_u32 s26, 0, s26
	s_add_u32 s23, s23, s24
	s_cselect_b64 s[24:25], -1, 0
	s_cmp_lg_u64 s[24:25], 0
	s_addc_u32 s20, s20, s26
	s_mul_i32 s24, s7, s20
	s_mul_hi_u32 s25, s7, s23
	s_add_i32 s24, s25, s24
	s_mul_i32 s15, s15, s23
	s_add_i32 s24, s24, s15
	s_mul_i32 s7, s7, s23
	s_mul_hi_u32 s25, s20, s7
	s_mul_i32 s26, s20, s7
	s_mul_i32 s28, s23, s24
	s_mul_hi_u32 s7, s23, s7
	s_mul_hi_u32 s27, s23, s24
	s_add_u32 s7, s7, s28
	s_addc_u32 s27, 0, s27
	s_add_u32 s7, s7, s26
	s_mul_hi_u32 s15, s20, s24
	s_addc_u32 s7, s27, s25
	s_addc_u32 s15, s15, 0
	s_mul_i32 s24, s20, s24
	s_add_u32 s7, s7, s24
	s_addc_u32 s15, 0, s15
	s_add_u32 s7, s23, s7
	s_cselect_b64 s[24:25], -1, 0
	s_cmp_lg_u64 s[24:25], 0
	s_addc_u32 s15, s20, s15
	s_ashr_i32 s24, s21, 31
	s_add_u32 s20, s5, s24
	s_mov_b32 s25, s24
	s_addc_u32 s21, s21, s24
	s_xor_b64 s[20:21], s[20:21], s[24:25]
	s_mul_i32 s26, s20, s15
	s_mul_hi_u32 s27, s20, s7
	s_mul_hi_u32 s23, s20, s15
	s_add_u32 s26, s27, s26
	s_addc_u32 s23, 0, s23
	s_mul_hi_u32 s28, s21, s7
	s_mul_i32 s7, s21, s7
	s_add_u32 s7, s26, s7
	s_mul_hi_u32 s27, s21, s15
	s_addc_u32 s7, s23, s28
	s_addc_u32 s23, s27, 0
	s_mul_i32 s15, s21, s15
	s_add_u32 s7, s7, s15
	s_addc_u32 s15, 0, s23
	s_mul_i32 s23, s18, s15
	s_mul_hi_u32 s26, s18, s7
	s_add_i32 s23, s26, s23
	s_mul_i32 s26, s19, s7
	s_add_i32 s23, s23, s26
	s_sub_i32 s28, s21, s23
	s_mul_i32 s26, s18, s7
	s_sub_u32 s20, s20, s26
	s_cselect_b64 s[26:27], -1, 0
	s_cmp_lg_u64 s[26:27], 0
	s_subb_u32 s30, s28, s19
	s_sub_u32 s31, s20, s18
	s_cselect_b64 s[28:29], -1, 0
	s_cmp_lg_u64 s[28:29], 0
	s_subb_u32 s28, s30, 0
	s_cmp_ge_u32 s28, s19
	s_cselect_b32 s29, -1, 0
	s_cmp_ge_u32 s31, s18
	s_cselect_b32 s30, -1, 0
	s_cmp_eq_u32 s28, s19
	s_cselect_b32 s28, s30, s29
	s_add_u32 s29, s7, 1
	s_addc_u32 s30, s15, 0
	s_add_u32 s31, s7, 2
	s_addc_u32 s33, s15, 0
	s_cmp_lg_u32 s28, 0
	s_cselect_b32 s28, s31, s29
	s_cselect_b32 s29, s33, s30
	s_cmp_lg_u64 s[26:27], 0
	s_subb_u32 s21, s21, s23
	s_cmp_ge_u32 s21, s19
	s_cselect_b32 s23, -1, 0
	s_cmp_ge_u32 s20, s18
	s_cselect_b32 s18, -1, 0
	s_cmp_eq_u32 s21, s19
	s_cselect_b32 s18, s18, s23
	s_cmp_lg_u32 s18, 0
	s_cselect_b32 s19, s29, s15
	s_cselect_b32 s18, s28, s7
	s_xor_b64 s[20:21], s[24:25], 0
	s_xor_b64 s[18:19], s[18:19], s[20:21]
	s_sub_u32 s18, s18, s20
	s_cbranch_execnz .LBB20_6
.LBB20_5:
	v_cvt_f32_u32_e32 v1, s22
	s_sub_i32 s7, 0, s22
	v_rcp_iflag_f32_e32 v1, v1
	s_nop 0
	v_mul_f32_e32 v1, 0x4f7ffffe, v1
	v_cvt_u32_f32_e32 v1, v1
	s_waitcnt lgkmcnt(0)
	v_readfirstlane_b32 s15, v1
	s_mul_i32 s7, s7, s15
	s_mul_hi_u32 s7, s15, s7
	s_add_i32 s15, s15, s7
	s_mul_hi_u32 s7, s5, s15
	s_mul_i32 s16, s7, s22
	s_sub_i32 s5, s5, s16
	s_add_i32 s15, s7, 1
	s_sub_i32 s16, s5, s22
	s_cmp_ge_u32 s5, s22
	s_cselect_b32 s7, s15, s7
	s_cselect_b32 s5, s16, s5
	s_add_i32 s15, s7, 1
	s_cmp_ge_u32 s5, s22
	s_cselect_b32 s18, s15, s7
.LBB20_6:
	s_cmp_eq_u32 s6, s18
	s_waitcnt lgkmcnt(0)
	s_mul_hi_u32 s5, s6, s12
	s_cselect_b64 s[16:17], -1, 0
	s_add_i32 s5, s5, s6
	s_lshr_b32 s7, s5, s13
	s_mul_i32 s5, s7, s14
	s_cmp_eq_u32 s5, s6
	s_mul_hi_u32 s5, s18, s12
	s_cselect_b64 s[20:21], -1, 0
	s_add_i32 s5, s5, s18
	s_lshr_b32 s5, s5, s13
	s_cmp_eq_u32 s7, s5
	s_mul_i32 s5, s5, s14
	s_cselect_b64 s[24:25], -1, 0
	s_cmp_lg_u32 s5, s18
	s_cselect_b64 s[18:19], -1, 0
	s_and_b64 s[18:19], s[24:25], s[18:19]
	s_or_b64 s[16:17], s[16:17], s[20:21]
	s_or_b64 s[16:17], s[16:17], s[18:19]
	s_and_b64 vcc, exec, s[16:17]
	s_cbranch_vccnz .LBB20_23
; %bb.7:
	s_load_dwordx8 s[24:31], s[0:1], 0x20
	s_load_dword s15, s[0:1], 0x40
	s_waitcnt lgkmcnt(0)
	s_mul_hi_u32 s5, s6, s24
	s_add_i32 s5, s5, s6
	s_lshr_b32 s5, s5, s25
	s_mul_i32 s16, s5, s26
	s_sub_i32 s16, s6, s16
	s_mul_hi_u32 s17, s16, s27
	s_add_i32 s17, s16, s17
	s_lshr_b32 s20, s17, s28
	s_mul_i32 s17, s20, s29
	s_sub_i32 s16, s16, s17
	s_mul_hi_u32 s17, s16, s30
	s_add_i32 s17, s16, s17
	s_lshr_b32 s17, s17, s31
	s_mul_i32 s15, s17, s15
	s_sub_i32 s15, s16, s15
	s_mul_hi_u32 s16, s15, s12
	s_add_i32 s15, s15, s16
	s_lshr_b32 s23, s15, s13
	s_lshl_b32 s15, s23, 4
	s_lshl_b32 s21, s17, 2
	s_add_i32 s15, s15, s3
	s_cmp_lt_i32 s15, s8
	s_cselect_b64 s[16:17], -1, 0
	s_add_i32 s15, s21, s4
	s_cmp_lt_i32 s15, s10
	s_cselect_b64 s[18:19], -1, 0
	s_and_b64 s[16:17], s[16:17], s[18:19]
	s_andn2_b64 vcc, exec, s[16:17]
	s_cbranch_vccnz .LBB20_23
; %bb.8:
	s_load_dwordx4 s[16:19], s[0:1], 0x0
	s_mov_b32 s0, 0
	s_lshl_b32 s15, s3, 2
	s_lshl_b32 s24, s22, 8
	s_mov_b32 s25, s0
	s_add_i32 s15, s15, s4
	s_waitcnt lgkmcnt(0)
	v_mov_b32_e32 v2, s16
	v_mov_b32_e32 v3, s17
	s_lshl_b64 s[16:17], s[24:25], 2
	s_add_u32 s16, s18, s16
	s_mul_i32 s1, s5, s8
	s_addc_u32 s17, s19, s17
	s_add_i32 s1, s1, s3
	s_mul_i32 s1, s1, s9
	s_mul_i32 s20, s20, s10
	s_add_i32 s1, s1, s4
	s_add_i32 s1, s1, s20
	s_mul_i32 s5, s9, s23
	s_add_i32 s1, s1, s21
	s_lshl_b32 s5, s5, 11
	s_lshl_b32 s1, s1, 7
	s_add_i32 s5, s5, s1
	v_or_b32_e32 v4, s5, v0
	v_ashrrev_i32_e32 v5, 31, v4
	v_lshl_add_u64 v[2:3], v[4:5], 2, v[2:3]
	global_load_dword v1, v[2:3], off
	v_cvt_f32_u32_e32 v4, s22
	s_lshl_b32 s1, s2, 6
	s_add_i32 s4, s15, s1
	s_ashr_i32 s5, s4, 31
	s_lshl_b64 s[4:5], s[4:5], 3
	v_rcp_iflag_f32_e32 v4, v4
	s_add_u32 s4, s18, s4
	s_addc_u32 s5, s19, s5
	s_load_dwordx2 s[4:5], s[4:5], 0x0
	v_mul_f32_e32 v4, 0x4f7ffffe, v4
	v_cvt_u32_f32_e32 v7, v4
	s_add_i32 s24, s2, -1
	v_lshl_or_b32 v6, s15, 7, v0
	s_waitcnt lgkmcnt(0)
	v_mov_b32_e32 v0, s5
	v_mov_b32_e32 v9, s4
	s_mov_b32 s10, 0x3fb8aa3b
	s_mov_b32 s20, 0xc2ce8ed0
	;; [unrolled: 1-line block ×4, first 2 shown]
	v_mov_b32_e32 v8, 0x7f800000
	s_mul_hi_i32 s1, s24, s11
	s_cmp_lg_u64 s[0:1], 0
	s_mul_i32 s8, s24, s11
	s_cbranch_scc0 .LBB20_19
.LBB20_9:
	s_add_u32 s2, s22, 0
	s_addc_u32 s3, 0, 0
	s_xor_b64 s[2:3], s[2:3], 0
	v_cvt_f32_u32_e32 v4, s2
	v_cvt_f32_u32_e32 v5, s3
	s_sub_u32 s9, 0, s2
	s_subb_u32 s25, 0, s3
	v_fmac_f32_e32 v4, 0x4f800000, v5
	v_rcp_f32_e32 v4, v4
	s_nop 0
	v_mul_f32_e32 v4, 0x5f7ffffc, v4
	v_mul_f32_e32 v5, 0x2f800000, v4
	v_trunc_f32_e32 v5, v5
	v_fmac_f32_e32 v4, 0xcf800000, v5
	v_cvt_u32_f32_e32 v5, v5
	v_cvt_u32_f32_e32 v4, v4
	v_readfirstlane_b32 s26, v5
	v_readfirstlane_b32 s4, v4
	s_mul_i32 s5, s9, s26
	s_mul_hi_u32 s28, s9, s4
	s_mul_i32 s27, s25, s4
	s_add_i32 s5, s28, s5
	s_mul_i32 s29, s9, s4
	s_add_i32 s5, s5, s27
	s_mul_i32 s28, s4, s5
	s_mul_hi_u32 s30, s4, s29
	s_mul_hi_u32 s27, s4, s5
	s_add_u32 s28, s30, s28
	s_addc_u32 s27, 0, s27
	s_mul_hi_u32 s31, s26, s29
	s_mul_i32 s29, s26, s29
	s_add_u32 s28, s28, s29
	s_mul_hi_u32 s30, s26, s5
	s_addc_u32 s27, s27, s31
	s_addc_u32 s28, s30, 0
	s_mul_i32 s5, s26, s5
	s_add_u32 s5, s27, s5
	s_addc_u32 s27, 0, s28
	s_add_u32 s28, s4, s5
	s_cselect_b64 s[4:5], -1, 0
	s_cmp_lg_u64 s[4:5], 0
	s_addc_u32 s26, s26, s27
	s_mul_i32 s4, s9, s26
	s_mul_hi_u32 s5, s9, s28
	s_add_i32 s4, s5, s4
	s_mul_i32 s25, s25, s28
	s_add_i32 s4, s4, s25
	s_mul_i32 s9, s9, s28
	s_mul_hi_u32 s25, s26, s9
	s_mul_i32 s27, s26, s9
	s_mul_i32 s30, s28, s4
	s_mul_hi_u32 s9, s28, s9
	s_mul_hi_u32 s29, s28, s4
	s_add_u32 s9, s9, s30
	s_addc_u32 s29, 0, s29
	s_add_u32 s9, s9, s27
	s_mul_hi_u32 s5, s26, s4
	s_addc_u32 s9, s29, s25
	s_addc_u32 s5, s5, 0
	s_mul_i32 s4, s26, s4
	s_add_u32 s4, s9, s4
	s_addc_u32 s9, 0, s5
	s_add_u32 s25, s28, s4
	s_cselect_b64 s[4:5], -1, 0
	s_cmp_lg_u64 s[4:5], 0
	s_addc_u32 s9, s26, s9
	s_ashr_i32 s4, s1, 31
	s_add_u32 s26, s8, s4
	s_mov_b32 s5, s4
	s_addc_u32 s27, s1, s4
	s_xor_b64 s[26:27], s[26:27], s[4:5]
	s_mul_i32 s28, s26, s9
	s_mul_hi_u32 s29, s26, s25
	s_mul_hi_u32 s1, s26, s9
	s_add_u32 s28, s29, s28
	s_addc_u32 s1, 0, s1
	s_mul_hi_u32 s30, s27, s25
	s_mul_i32 s25, s27, s25
	s_add_u32 s25, s28, s25
	s_mul_hi_u32 s29, s27, s9
	s_addc_u32 s1, s1, s30
	s_addc_u32 s25, s29, 0
	s_mul_i32 s9, s27, s9
	s_add_u32 s1, s1, s9
	s_addc_u32 s9, 0, s25
	s_mul_i32 s25, s2, s9
	s_mul_hi_u32 s28, s2, s1
	s_add_i32 s25, s28, s25
	s_mul_i32 s28, s3, s1
	s_add_i32 s25, s25, s28
	s_sub_i32 s30, s27, s25
	s_mul_i32 s28, s2, s1
	s_sub_u32 s26, s26, s28
	s_cselect_b64 s[28:29], -1, 0
	s_cmp_lg_u64 s[28:29], 0
	s_subb_u32 s33, s30, s3
	s_sub_u32 s34, s26, s2
	s_cselect_b64 s[30:31], -1, 0
	s_cmp_lg_u64 s[30:31], 0
	s_subb_u32 s30, s33, 0
	s_cmp_ge_u32 s30, s3
	s_cselect_b32 s31, -1, 0
	s_cmp_ge_u32 s34, s2
	s_cselect_b32 s33, -1, 0
	s_cmp_eq_u32 s30, s3
	s_cselect_b32 s30, s33, s31
	s_add_u32 s31, s1, 1
	s_addc_u32 s33, s9, 0
	s_add_u32 s34, s1, 2
	s_addc_u32 s35, s9, 0
	s_cmp_lg_u32 s30, 0
	s_cselect_b32 s30, s34, s31
	s_cselect_b32 s31, s35, s33
	s_cmp_lg_u64 s[28:29], 0
	s_subb_u32 s25, s27, s25
	s_cmp_ge_u32 s25, s3
	s_cselect_b32 s27, -1, 0
	s_cmp_ge_u32 s26, s2
	s_cselect_b32 s2, -1, 0
	s_cmp_eq_u32 s25, s3
	s_cselect_b32 s2, s2, s27
	s_cmp_lg_u32 s2, 0
	s_cselect_b32 s3, s31, s9
	s_cselect_b32 s2, s30, s1
	s_xor_b64 s[4:5], s[4:5], 0
	s_xor_b64 s[2:3], s[2:3], s[4:5]
	s_sub_u32 s4, s2, s4
	s_cbranch_execnz .LBB20_11
.LBB20_10:
	s_sub_i32 s1, 0, s22
	v_readfirstlane_b32 s2, v7
	s_mul_i32 s1, s1, s2
	s_mul_hi_u32 s1, s2, s1
	s_add_i32 s2, s2, s1
	s_mul_hi_u32 s1, s8, s2
	s_mul_i32 s3, s1, s22
	s_sub_i32 s3, s8, s3
	s_add_i32 s2, s1, 1
	s_sub_i32 s4, s3, s22
	s_cmp_ge_u32 s3, s22
	s_cselect_b32 s1, s2, s1
	s_cselect_b32 s3, s4, s3
	s_add_i32 s2, s1, 1
	s_cmp_ge_u32 s3, s22
	s_cselect_b32 s4, s2, s1
.LBB20_11:
	s_cmp_lg_u32 s6, s4
	s_cbranch_scc0 .LBB20_15
; %bb.12:
	s_add_i32 s1, s24, s22
	s_lshl_b32 s1, s1, 6
	s_add_i32 s2, s1, s15
	s_mov_b32 s3, s0
	s_lshl_b64 s[2:3], s[2:3], 3
	s_add_u32 s8, s18, s2
	s_mul_hi_u32 s1, s4, s12
	s_addc_u32 s9, s19, s3
	s_add_i32 s1, s1, s4
	s_lshr_b32 s1, s1, s13
	s_mul_i32 s2, s1, s14
	s_cmp_eq_u32 s2, s4
	s_cselect_b64 s[2:3], -1, 0
	s_cmp_lt_u32 s1, s7
	s_cselect_b64 s[26:27], -1, 0
	s_or_b64 s[26:27], s[26:27], s[2:3]
	s_mov_b64 s[2:3], -1
	s_and_b64 vcc, exec, s[26:27]
	s_mov_b32 s1, s24
	s_mov_b32 s25, s6
	s_cbranch_vccnz .LBB20_14
; %bb.13:
	s_add_i32 s1, s24, -1
	s_mov_b64 s[2:3], 0
	s_mov_b32 s25, s4
.LBB20_14:
	v_lshl_add_u32 v4, s24, 13, v6
	v_ashrrev_i32_e32 v5, 31, v4
	v_lshl_add_u64 v[4:5], v[4:5], 2, s[16:17]
	global_load_dword v5, v[4:5], off
	s_load_dwordx2 s[4:5], s[8:9], 0x0
	v_max_f32_e32 v4, v9, v9
	s_waitcnt lgkmcnt(0)
	v_max_f32_e64 v10, s4, s4
	v_max_f32_e32 v10, v4, v10
	v_sub_f32_e32 v11, v9, v10
	v_sub_f32_e32 v13, s4, v10
	v_mul_f32_e32 v4, 0x3fb8aa3b, v11
	v_mul_f32_e32 v12, 0x3fb8aa3b, v13
	v_fma_f32 v14, v11, s10, -v4
	v_rndne_f32_e32 v15, v4
	v_fma_f32 v16, v13, s10, -v12
	v_rndne_f32_e32 v17, v12
	v_fmac_f32_e32 v14, 0x32a5705f, v11
	v_sub_f32_e32 v4, v4, v15
	v_fmac_f32_e32 v16, 0x32a5705f, v13
	v_sub_f32_e32 v12, v12, v17
	v_add_f32_e32 v4, v4, v14
	v_cvt_i32_f32_e32 v15, v15
	v_add_f32_e32 v12, v12, v16
	v_exp_f32_e32 v14, v4
	v_cvt_i32_f32_e32 v17, v17
	v_exp_f32_e32 v12, v12
	v_cmp_ngt_f32_e32 vcc, s20, v11
	v_ldexp_f32 v14, v14, v15
	v_mov_b32_e32 v4, s5
	v_ldexp_f32 v12, v12, v17
	v_cndmask_b32_e32 v14, 0, v14, vcc
	v_cmp_ngt_f32_e32 vcc, s20, v13
	s_nop 1
	v_cndmask_b32_e32 v12, 0, v12, vcc
	v_cmp_nlt_f32_e32 vcc, s21, v11
	s_nop 1
	v_cndmask_b32_e32 v14, v8, v14, vcc
	v_cmp_nlt_f32_e32 vcc, s21, v13
	s_nop 1
	v_cndmask_b32_e32 v15, v8, v12, vcc
	v_cmp_le_f32_e32 vcc, s23, v11
	s_nop 1
	v_cndmask_b32_e32 v12, 0, v14, vcc
	v_cmp_le_f32_e32 vcc, s23, v13
	s_nop 1
	v_cndmask_b32_e32 v14, 0, v15, vcc
	s_waitcnt vmcnt(0)
	v_pk_mul_f32 v[4:5], v[4:5], v[14:15] op_sel_hi:[1,0]
	s_nop 0
	v_pk_fma_f32 v[4:5], v[0:1], v[12:13], v[4:5] op_sel_hi:[1,0,1]
	s_cbranch_execz .LBB20_16
	s_branch .LBB20_17
.LBB20_15:
                                        ; implicit-def: $vgpr4_vgpr5
                                        ; implicit-def: $sgpr2_sgpr3
                                        ; implicit-def: $vgpr10
                                        ; implicit-def: $sgpr1
                                        ; implicit-def: $sgpr25
.LBB20_16:
	s_add_i32 s1, s24, -1
	s_mov_b64 s[2:3], 0
	s_mov_b32 s25, s6
	v_mov_b32_e32 v10, v9
	s_waitcnt vmcnt(0)
	v_mov_b64_e32 v[4:5], v[0:1]
.LBB20_17:
	s_andn2_b64 vcc, exec, s[2:3]
	s_cbranch_vccz .LBB20_22
; %bb.18:
	s_mov_b32 s6, s25
	s_mov_b32 s24, s1
	v_mov_b32_e32 v9, v10
	s_waitcnt vmcnt(0)
	v_mov_b64_e32 v[0:1], v[4:5]
	s_mul_hi_i32 s1, s24, s11
	s_cmp_lg_u64 s[0:1], 0
	s_mul_i32 s8, s24, s11
	s_cbranch_scc1 .LBB20_9
.LBB20_19:
                                        ; implicit-def: $sgpr4_sgpr5
	s_branch .LBB20_10
.LBB20_20:
                                        ; implicit-def: $sgpr6_sgpr7
	s_load_dwordx4 s[12:15], s[0:1], 0x44
	s_branch .LBB20_2
.LBB20_21:
                                        ; implicit-def: $sgpr18_sgpr19
	s_branch .LBB20_5
.LBB20_22:
	v_div_scale_f32 v0, s[0:1], v4, v4, v5
	s_waitcnt vmcnt(0)
	v_rcp_f32_e32 v1, v0
	v_div_scale_f32 v6, vcc, v5, v4, v5
	v_fma_f32 v7, -v0, v1, 1.0
	v_fmac_f32_e32 v1, v7, v1
	v_mul_f32_e32 v7, v6, v1
	v_fma_f32 v8, -v0, v7, v6
	v_fmac_f32_e32 v7, v8, v1
	v_fma_f32 v0, -v0, v7, v6
	v_div_fmas_f32 v0, v0, v1, v7
	v_div_fixup_f32 v0, v0, v4, v5
	global_store_dword v[2:3], v0, off
.LBB20_23:
	s_endpgm
	.section	.rodata,"a",@progbits
	.p2align	6, 0x0
	.amdhsa_kernel _ZL33flash_attn_stream_k_fixup_generalILi128ELi16ELi4EEvPfPK15HIP_vector_typeIfLj2EEiiiiS1_IjLj3EES5_S5_S5_
		.amdhsa_group_segment_fixed_size 0
		.amdhsa_private_segment_fixed_size 0
		.amdhsa_kernarg_size 336
		.amdhsa_user_sgpr_count 2
		.amdhsa_user_sgpr_dispatch_ptr 0
		.amdhsa_user_sgpr_queue_ptr 0
		.amdhsa_user_sgpr_kernarg_segment_ptr 1
		.amdhsa_user_sgpr_dispatch_id 0
		.amdhsa_user_sgpr_kernarg_preload_length 0
		.amdhsa_user_sgpr_kernarg_preload_offset 0
		.amdhsa_user_sgpr_private_segment_size 0
		.amdhsa_uses_dynamic_stack 0
		.amdhsa_enable_private_segment 0
		.amdhsa_system_sgpr_workgroup_id_x 1
		.amdhsa_system_sgpr_workgroup_id_y 1
		.amdhsa_system_sgpr_workgroup_id_z 1
		.amdhsa_system_sgpr_workgroup_info 0
		.amdhsa_system_vgpr_workitem_id 0
		.amdhsa_next_free_vgpr 18
		.amdhsa_next_free_sgpr 36
		.amdhsa_accum_offset 20
		.amdhsa_reserve_vcc 1
		.amdhsa_float_round_mode_32 0
		.amdhsa_float_round_mode_16_64 0
		.amdhsa_float_denorm_mode_32 3
		.amdhsa_float_denorm_mode_16_64 3
		.amdhsa_dx10_clamp 1
		.amdhsa_ieee_mode 1
		.amdhsa_fp16_overflow 0
		.amdhsa_tg_split 0
		.amdhsa_exception_fp_ieee_invalid_op 0
		.amdhsa_exception_fp_denorm_src 0
		.amdhsa_exception_fp_ieee_div_zero 0
		.amdhsa_exception_fp_ieee_overflow 0
		.amdhsa_exception_fp_ieee_underflow 0
		.amdhsa_exception_fp_ieee_inexact 0
		.amdhsa_exception_int_div_zero 0
	.end_amdhsa_kernel
	.section	.text._ZL33flash_attn_stream_k_fixup_generalILi128ELi16ELi4EEvPfPK15HIP_vector_typeIfLj2EEiiiiS1_IjLj3EES5_S5_S5_,"axG",@progbits,_ZL33flash_attn_stream_k_fixup_generalILi128ELi16ELi4EEvPfPK15HIP_vector_typeIfLj2EEiiiiS1_IjLj3EES5_S5_S5_,comdat
.Lfunc_end20:
	.size	_ZL33flash_attn_stream_k_fixup_generalILi128ELi16ELi4EEvPfPK15HIP_vector_typeIfLj2EEiiiiS1_IjLj3EES5_S5_S5_, .Lfunc_end20-_ZL33flash_attn_stream_k_fixup_generalILi128ELi16ELi4EEvPfPK15HIP_vector_typeIfLj2EEiiiiS1_IjLj3EES5_S5_S5_
                                        ; -- End function
	.set _ZL33flash_attn_stream_k_fixup_generalILi128ELi16ELi4EEvPfPK15HIP_vector_typeIfLj2EEiiiiS1_IjLj3EES5_S5_S5_.num_vgpr, 18
	.set _ZL33flash_attn_stream_k_fixup_generalILi128ELi16ELi4EEvPfPK15HIP_vector_typeIfLj2EEiiiiS1_IjLj3EES5_S5_S5_.num_agpr, 0
	.set _ZL33flash_attn_stream_k_fixup_generalILi128ELi16ELi4EEvPfPK15HIP_vector_typeIfLj2EEiiiiS1_IjLj3EES5_S5_S5_.numbered_sgpr, 36
	.set _ZL33flash_attn_stream_k_fixup_generalILi128ELi16ELi4EEvPfPK15HIP_vector_typeIfLj2EEiiiiS1_IjLj3EES5_S5_S5_.num_named_barrier, 0
	.set _ZL33flash_attn_stream_k_fixup_generalILi128ELi16ELi4EEvPfPK15HIP_vector_typeIfLj2EEiiiiS1_IjLj3EES5_S5_S5_.private_seg_size, 0
	.set _ZL33flash_attn_stream_k_fixup_generalILi128ELi16ELi4EEvPfPK15HIP_vector_typeIfLj2EEiiiiS1_IjLj3EES5_S5_S5_.uses_vcc, 1
	.set _ZL33flash_attn_stream_k_fixup_generalILi128ELi16ELi4EEvPfPK15HIP_vector_typeIfLj2EEiiiiS1_IjLj3EES5_S5_S5_.uses_flat_scratch, 0
	.set _ZL33flash_attn_stream_k_fixup_generalILi128ELi16ELi4EEvPfPK15HIP_vector_typeIfLj2EEiiiiS1_IjLj3EES5_S5_S5_.has_dyn_sized_stack, 0
	.set _ZL33flash_attn_stream_k_fixup_generalILi128ELi16ELi4EEvPfPK15HIP_vector_typeIfLj2EEiiiiS1_IjLj3EES5_S5_S5_.has_recursion, 0
	.set _ZL33flash_attn_stream_k_fixup_generalILi128ELi16ELi4EEvPfPK15HIP_vector_typeIfLj2EEiiiiS1_IjLj3EES5_S5_S5_.has_indirect_call, 0
	.section	.AMDGPU.csdata,"",@progbits
; Kernel info:
; codeLenInByte = 2940
; TotalNumSgprs: 42
; NumVgprs: 18
; NumAgprs: 0
; TotalNumVgprs: 18
; ScratchSize: 0
; MemoryBound: 0
; FloatMode: 240
; IeeeMode: 1
; LDSByteSize: 0 bytes/workgroup (compile time only)
; SGPRBlocks: 5
; VGPRBlocks: 2
; NumSGPRsForWavesPerEU: 42
; NumVGPRsForWavesPerEU: 18
; AccumOffset: 20
; Occupancy: 8
; WaveLimiterHint : 0
; COMPUTE_PGM_RSRC2:SCRATCH_EN: 0
; COMPUTE_PGM_RSRC2:USER_SGPR: 2
; COMPUTE_PGM_RSRC2:TRAP_HANDLER: 0
; COMPUTE_PGM_RSRC2:TGID_X_EN: 1
; COMPUTE_PGM_RSRC2:TGID_Y_EN: 1
; COMPUTE_PGM_RSRC2:TGID_Z_EN: 1
; COMPUTE_PGM_RSRC2:TIDIG_COMP_CNT: 0
; COMPUTE_PGM_RSRC3_GFX90A:ACCUM_OFFSET: 4
; COMPUTE_PGM_RSRC3_GFX90A:TG_SPLIT: 0
	.section	.text._ZL15flash_attn_tileILi128ELi128ELi8ELi4ELb0EEvPKcS1_S1_S1_S1_PKiPfP15HIP_vector_typeIfLj2EEffffjfiS5_IjLj3EEiiiiiiiiiiiliiliiiiil,"axG",@progbits,_ZL15flash_attn_tileILi128ELi128ELi8ELi4ELb0EEvPKcS1_S1_S1_S1_PKiPfP15HIP_vector_typeIfLj2EEffffjfiS5_IjLj3EEiiiiiiiiiiiliiliiiiil,comdat
	.globl	_ZL15flash_attn_tileILi128ELi128ELi8ELi4ELb0EEvPKcS1_S1_S1_S1_PKiPfP15HIP_vector_typeIfLj2EEffffjfiS5_IjLj3EEiiiiiiiiiiiliiliiiiil ; -- Begin function _ZL15flash_attn_tileILi128ELi128ELi8ELi4ELb0EEvPKcS1_S1_S1_S1_PKiPfP15HIP_vector_typeIfLj2EEffffjfiS5_IjLj3EEiiiiiiiiiiiliiliiiiil
	.p2align	8
	.type	_ZL15flash_attn_tileILi128ELi128ELi8ELi4ELb0EEvPKcS1_S1_S1_S1_PKiPfP15HIP_vector_typeIfLj2EEffffjfiS5_IjLj3EEiiiiiiiiiiiliiliiiiil,@function
_ZL15flash_attn_tileILi128ELi128ELi8ELi4ELb0EEvPKcS1_S1_S1_S1_PKiPfP15HIP_vector_typeIfLj2EEffffjfiS5_IjLj3EEiiiiiiiiiiiliiliiiiil: ; @_ZL15flash_attn_tileILi128ELi128ELi8ELi4ELb0EEvPKcS1_S1_S1_S1_PKiPfP15HIP_vector_typeIfLj2EEffffjfiS5_IjLj3EEiiiiiiiiiiiliiliiiiil
; %bb.0:
	s_load_dwordx4 s[28:31], s[0:1], 0x5c
	s_load_dwordx2 s[36:37], s[0:1], 0x80
	s_load_dwordx16 s[12:27], s[0:1], 0x0
	s_mov_b64 s[38:39], 0
	s_waitcnt lgkmcnt(0)
	s_ashr_i32 s5, s31, 31
	s_lshr_b32 s5, s5, 30
	s_add_i32 s5, s31, s5
	s_ashr_i32 s5, s5, 2
	v_cvt_f32_u32_e32 v1, s5
	s_sub_i32 s6, 0, s5
	v_rcp_iflag_f32_e32 v1, v1
	s_nop 0
	v_mul_f32_e32 v1, 0x4f7ffffe, v1
	v_cvt_u32_f32_e32 v1, v1
	s_nop 0
	v_readfirstlane_b32 s7, v1
	s_mul_i32 s6, s6, s7
	s_mul_hi_u32 s6, s7, s6
	s_add_i32 s7, s7, s6
	s_mul_hi_u32 s6, s4, s7
	s_mul_i32 s7, s6, s5
	s_sub_i32 s7, s4, s7
	s_add_i32 s8, s6, 1
	s_sub_i32 s9, s7, s5
	s_cmp_ge_u32 s7, s5
	s_cselect_b32 s6, s8, s6
	s_cselect_b32 s7, s9, s7
	s_add_i32 s8, s6, 1
	s_cmp_ge_u32 s7, s5
	s_cselect_b32 s33, s8, s6
	s_abs_i32 s5, s37
	v_cvt_f32_u32_e32 v1, s5
	s_lshl_b32 s4, s4, 2
	s_mul_i32 s8, s33, s31
	s_sub_i32 s9, 0, s5
	v_rcp_iflag_f32_e32 v1, v1
	s_sub_i32 s34, s4, s8
	s_abs_i32 s7, s31
	s_xor_b32 s6, s31, s37
	v_mul_f32_e32 v1, 0x4f7ffffe, v1
	v_cvt_u32_f32_e32 v1, v1
	s_ashr_i32 s6, s6, 31
	v_readfirstlane_b32 s4, v1
	s_mul_i32 s9, s9, s4
	s_mul_hi_u32 s8, s4, s9
	s_add_i32 s4, s4, s8
	s_mul_hi_u32 s4, s7, s4
	s_mul_i32 s8, s4, s5
	s_sub_i32 s7, s7, s8
	s_add_i32 s9, s4, 1
	s_sub_i32 s8, s7, s5
	s_cmp_ge_u32 s7, s5
	s_cselect_b32 s4, s9, s4
	s_cselect_b32 s7, s8, s7
	s_add_i32 s8, s4, 1
	s_cmp_ge_u32 s7, s5
	s_cselect_b32 s4, s8, s4
	s_xor_b32 s4, s4, s6
	s_sub_i32 s11, s4, s6
	s_abs_i32 s10, s11
	v_cvt_f32_u32_e32 v1, s10
	s_load_dwordx2 s[8:9], s[0:1], 0xb8
	s_cmp_eq_u64 s[18:19], 0
	v_rcp_iflag_f32_e32 v1, v1
	s_nop 0
	v_mul_f32_e32 v1, 0x4f7ffffe, v1
	v_cvt_u32_f32_e32 v1, v1
	s_nop 0
	v_readfirstlane_b32 s35, v1
	s_cbranch_scc1 .LBB21_2
; %bb.1:
	s_waitcnt lgkmcnt(0)
	s_abs_i32 s6, s8
	v_cvt_f32_u32_e32 v1, s6
	s_sub_i32 s37, 0, s6
	s_abs_i32 s8, s33
	s_ashr_i32 s7, s33, 31
	v_rcp_iflag_f32_e32 v1, v1
	s_load_dwordx2 s[4:5], s[0:1], 0xc8
	v_mul_f32_e32 v1, 0x4f7ffffe, v1
	v_cvt_u32_f32_e32 v1, v1
	s_nop 0
	v_readfirstlane_b32 s38, v1
	s_mul_i32 s37, s37, s38
	s_mul_hi_u32 s37, s38, s37
	s_add_i32 s38, s38, s37
	s_mul_hi_u32 s37, s8, s38
	s_mul_i32 s37, s37, s6
	s_sub_i32 s8, s8, s37
	s_sub_i32 s37, s8, s6
	s_cmp_ge_u32 s8, s6
	s_cselect_b32 s8, s37, s8
	s_sub_i32 s37, s8, s6
	s_cmp_ge_u32 s8, s6
	s_cselect_b32 s6, s37, s8
	s_xor_b32 s6, s6, s7
	s_sub_i32 s6, s6, s7
	s_ashr_i32 s7, s6, 31
	s_waitcnt lgkmcnt(0)
	s_mul_hi_u32 s8, s4, s6
	s_mul_i32 s7, s4, s7
	s_mul_i32 s5, s5, s6
	s_add_i32 s7, s8, s7
	s_add_i32 s7, s7, s5
	s_mul_i32 s4, s4, s6
	s_add_u32 s38, s18, s4
	s_addc_u32 s39, s19, s7
.LBB21_2:
	s_load_dwordx4 s[4:7], s[0:1], 0x70
	v_bfe_u32 v1, v0, 10, 10
	v_lshl_add_u32 v21, s2, 3, v1
	v_mul_hi_u32 v2, s28, v21
	v_add_u32_e32 v2, v21, v2
	s_waitcnt lgkmcnt(0)
	s_mul_i32 s6, s33, s6
	s_ashr_i32 s8, s6, 31
	s_mul_i32 s7, s34, s5
	s_add_u32 s6, s12, s6
	s_addc_u32 s8, s13, s8
	s_ashr_i32 s12, s7, 31
	s_add_u32 s6, s6, s7
	v_lshrrev_b32_e32 v2, s29, v2
	s_addc_u32 s7, s8, s12
	v_mul_lo_u32 v2, v2, s30
	s_ashr_i32 s13, s4, 31
	s_mov_b32 s12, s4
	v_sub_u32_e32 v2, v21, v2
	s_lshr_b64 s[18:19], s[12:13], 2
	v_mad_u64_u32 v[4:5], s[18:19], s18, v2, 0
	v_mov_b32_e32 v6, v5
	s_lshr_b32 s4, s13, 2
	v_mad_u64_u32 v[6:7], s[12:13], s4, v2, v[6:7]
	v_mov_b32_e32 v5, v6
	v_and_b32_e32 v20, 0x3ff, v0
	v_lshl_add_u64 v[4:5], v[4:5], 2, s[6:7]
	v_lshlrev_b32_e32 v6, 4, v20
	v_mov_b32_e32 v7, 0
	s_ashr_i32 s7, s5, 31
	s_mov_b32 s6, s5
	v_lshl_add_u64 v[16:17], v[4:5], 0, v[6:7]
	s_lshr_b64 s[12:13], s[6:7], 2
	s_and_b32 s6, s5, -4
	global_load_dwordx4 v[4:7], v[16:17], off
	v_lshl_add_u64 v[8:9], v[16:17], 0, s[6:7]
	v_lshl_add_u64 v[12:13], s[12:13], 3, v[16:17]
	v_mad_u64_u32 v[16:17], s[4:5], s12, 12, v[16:17]
	global_load_dwordx4 v[8:11], v[8:9], off
	v_mov_b32_e32 v0, v17
	global_load_dwordx4 v[12:15], v[12:13], off
	v_mad_u64_u32 v[18:19], s[4:5], s7, 12, v[0:1]
	v_mov_b32_e32 v17, v18
	global_load_dwordx4 v[16:19], v[16:17], off
	s_load_dword s4, s[0:1], 0x40
	v_mov_b32_e32 v0, 0x2400
	v_lshl_add_u32 v49, v1, 10, v0
	v_lshlrev_b32_e32 v50, 3, v20
	v_add_u32_e32 v0, v49, v50
	s_cmp_eq_u64 s[22:23], 0
	s_waitcnt vmcnt(3) lgkmcnt(0)
	v_fma_mixlo_f16 v3, s4, v4, 0
	v_fma_mixlo_f16 v4, s4, v5, 0
	;; [unrolled: 1-line block ×4, first 2 shown]
	v_lshlrev_b32_e32 v4, 16, v4
	v_and_b32_e32 v3, 0xffff, v3
	v_lshlrev_b32_e32 v6, 16, v6
	v_and_b32_e32 v5, 0xffff, v5
	s_waitcnt vmcnt(2)
	v_fma_mixlo_f16 v7, s4, v8, 0
	v_fma_mixlo_f16 v8, s4, v9, 0
	;; [unrolled: 1-line block ×4, first 2 shown]
	s_waitcnt vmcnt(1)
	v_fma_mixlo_f16 v11, s4, v12, 0
	v_fma_mixlo_f16 v12, s4, v13, 0
	v_or_b32_e32 v3, v4, v3
	v_or3_b32 v5, v6, v5, 0
	v_lshlrev_b32_e32 v6, 16, v8
	v_and_b32_e32 v7, 0xffff, v7
	v_fma_mixlo_f16 v13, s4, v14, 0
	v_fma_mixlo_f16 v14, s4, v15, 0
	v_lshlrev_b32_e32 v8, 16, v10
	v_and_b32_e32 v9, 0xffff, v9
	v_lshlrev_b32_e32 v10, 16, v12
	v_and_b32_e32 v11, 0xffff, v11
	v_or3_b32 v4, 0, 0, v3
	v_or_b32_e32 v3, v6, v7
	v_lshlrev_b32_e32 v12, 16, v14
	v_and_b32_e32 v13, 0xffff, v13
	v_or3_b32 v7, v8, v9, 0
	v_or_b32_e32 v8, v10, v11
	v_or3_b32 v6, 0, 0, v3
	s_waitcnt vmcnt(0)
	v_fma_mixlo_f16 v3, s4, v16, 0
	v_fma_mixlo_f16 v10, s4, v17, 0
	v_or3_b32 v9, v12, v13, 0
	v_fma_mixlo_f16 v11, s4, v18, 0
	v_fma_mixlo_f16 v12, s4, v19, 0
	ds_write2_b64 v0, v[4:5], v[6:7] offset1:32
	v_lshlrev_b32_e32 v4, 16, v10
	v_and_b32_e32 v3, 0xffff, v3
	v_lshlrev_b32_e32 v5, 16, v12
	v_and_b32_e32 v6, 0xffff, v11
	v_or_b32_e32 v3, v4, v3
	v_or3_b32 v8, 0, 0, v8
	v_or3_b32 v5, v5, v6, 0
	;; [unrolled: 1-line block ×3, first 2 shown]
	ds_write2_b64 v0, v[8:9], v[4:5] offset0:64 offset1:96
	s_waitcnt lgkmcnt(0)
	s_barrier
	s_cbranch_scc1 .LBB21_4
; %bb.3:
	s_load_dword s4, s[0:1], 0xd0
	s_mov_b32 s5, 0
	s_waitcnt lgkmcnt(0)
	s_mul_i32 s4, s4, s33
	s_add_i32 s4, s4, s2
	s_lshl_b64 s[4:5], s[4:5], 2
	s_add_u32 s4, s22, s4
	s_addc_u32 s5, s23, s5
	s_load_dword s36, s[4:5], 0x0
.LBB21_4:
	s_lshl_b32 s2, s3, 6
	s_waitcnt lgkmcnt(0)
	s_cmp_lt_i32 s2, s36
	v_mbcnt_lo_u32_b32 v3, -1, 0
	s_cbranch_scc1 .LBB21_7
; %bb.5:
	v_mbcnt_hi_u32_b32 v33, -1, v3
	v_and_b32_e32 v0, 0x60, v33
	v_add_u32_e32 v51, 32, v0
	v_xor_b32_e32 v54, 16, v33
	v_xor_b32_e32 v55, 8, v33
	;; [unrolled: 1-line block ×5, first 2 shown]
	v_lshlrev_b32_e32 v48, 2, v20
	s_cbranch_execz .LBB21_8
; %bb.6:
	v_mov_b32_e32 v23, 0
	v_mov_b32_e32 v74, 0
	;; [unrolled: 1-line block ×16, first 2 shown]
	s_branch .LBB21_10
.LBB21_7:
                                        ; implicit-def: $vgpr33
                                        ; implicit-def: $vgpr51
                                        ; implicit-def: $vgpr54
                                        ; implicit-def: $vgpr55
                                        ; implicit-def: $vgpr56
                                        ; implicit-def: $vgpr53
                                        ; implicit-def: $vgpr52
	v_lshlrev_b32_e32 v48, 2, v20
.LBB21_8:
	s_sub_i32 s4, 0, s10
	s_mul_i32 s4, s4, s35
	s_mul_hi_u32 s4, s35, s4
	s_add_i32 s35, s35, s4
	s_load_dwordx2 s[12:13], s[0:1], 0x8c
	s_load_dwordx4 s[4:7], s[0:1], 0x98
	s_abs_i32 s8, s34
	s_mul_hi_u32 s28, s8, s35
	s_ashr_i32 s29, s34, 31
	s_waitcnt lgkmcnt(0)
	s_ashr_i32 s23, s12, 2
	s_ashr_i32 s22, s6, 2
	;; [unrolled: 1-line block ×4, first 2 shown]
	s_mul_hi_u32 s12, s4, s33
	s_mul_i32 s35, s4, s9
	s_add_i32 s12, s12, s35
	s_mul_i32 s5, s5, s33
	s_ashr_i32 s11, s11, 31
	s_add_i32 s12, s12, s5
	s_mul_i32 s4, s4, s33
	s_add_u32 s4, s14, s4
	s_addc_u32 s5, s15, s12
	s_mul_i32 s12, s28, s10
	s_sub_i32 s8, s8, s12
	s_xor_b32 s11, s29, s11
	s_add_i32 s12, s28, 1
	s_sub_i32 s14, s8, s10
	s_cmp_ge_u32 s8, s10
	s_cselect_b32 s12, s12, s28
	s_cselect_b32 s8, s14, s8
	s_add_i32 s14, s12, 1
	s_cmp_ge_u32 s8, s10
	s_cselect_b32 s8, s14, s12
	s_load_dwordx2 s[18:19], s[0:1], 0xa8
	s_xor_b32 s8, s8, s11
	s_sub_i32 s8, s8, s11
	s_mul_i32 s10, s8, s13
	s_ashr_i32 s11, s10, 31
	s_add_u32 s28, s4, s10
	s_addc_u32 s29, s5, s11
	s_waitcnt lgkmcnt(0)
	s_mul_hi_u32 s4, s18, s33
	s_mul_i32 s5, s18, s9
	s_add_i32 s4, s4, s5
	s_mul_i32 s5, s19, s33
	s_add_i32 s4, s4, s5
	s_mul_i32 s5, s18, s33
	s_add_u32 s5, s16, s5
	s_mul_i32 s8, s8, s7
	s_addc_u32 s4, s17, s4
	s_ashr_i32 s7, s8, 31
	s_add_u32 s35, s5, s8
	v_lshrrev_b32_e32 v0, 3, v20
	v_and_b32_e32 v4, 28, v48
	s_addc_u32 s37, s4, s7
	v_lshl_add_u32 v0, v1, 2, v0
	v_lshlrev_b32_e32 v5, 2, v4
	s_movk_i32 s4, 0x90
	v_mad_u32_u24 v57, v0, s4, v5
	v_mul_lo_u32 v28, s23, v0
	v_mov_b32_e32 v0, 0x4400
	v_lshl_add_u32 v60, v1, 9, v0
	v_lshrrev_b32_e32 v0, 4, v20
	v_lshl_add_u32 v0, v1, 1, v0
	v_mad_u64_u32 v[32:33], s[4:5], v2, s6, v[20:21]
	v_and_b32_e32 v2, 60, v48
	v_mul_lo_u32 v6, s22, v0
	v_lshlrev_b32_e32 v1, 2, v2
	v_lshl_add_u32 v8, s22, 4, v6
	v_mbcnt_hi_u32_b32 v33, -1, v3
	v_mov_b32_e32 v27, 0
	v_lshl_add_u32 v30, s23, 5, v28
	v_lshl_or_b32 v61, v0, 8, v1
	v_ashrrev_i32_e32 v7, 31, v6
	v_ashrrev_i32_e32 v9, 31, v8
	s_add_u32 s18, s0, 0xd0
	v_and_b32_e32 v1, 0x60, v33
	v_ashrrev_i32_e32 v29, 31, v28
	v_add_u32_e32 v58, 0x1200, v57
	v_ashrrev_i32_e32 v31, 31, v30
	v_mul_u32_u24_e32 v59, 0x90, v20
	v_add_u32_e32 v62, 0x1000, v61
	s_addc_u32 s19, s1, 0
	v_mov_b32_e32 v0, 0xfeffffff
	v_lshlrev_b32_e32 v26, 2, v4
	v_add_u32_e32 v51, 32, v1
	v_xor_b32_e32 v54, 16, v33
	v_xor_b32_e32 v55, 8, v33
	v_xor_b32_e32 v56, 4, v33
	v_xor_b32_e32 v53, 2, v33
	v_xor_b32_e32 v52, 1, v33
	s_mov_b32 s40, 0x3fb8aa3b
	s_mov_b32 s41, 0xc2ce8ed0
	;; [unrolled: 1-line block ×3, first 2 shown]
	v_mov_b32_e32 v63, 0x7f800000
	s_mov_b32 s43, 0x10001
	v_add_u32_e32 v64, v60, v50
	v_lshlrev_b64 v[34:35], 2, v[6:7]
	v_lshlrev_b32_e32 v36, 2, v2
	v_mov_b32_e32 v37, v27
	v_lshlrev_b64 v[38:39], 2, v[8:9]
	v_add_u32_e32 v65, 0x800, v50
	v_add_u32_e32 v66, 0x1000, v50
	;; [unrolled: 1-line block ×3, first 2 shown]
	v_mov_b32_e32 v68, v27
	v_mov_b32_e32 v69, v27
	;; [unrolled: 1-line block ×15, first 2 shown]
.LBB21_9:                               ; =>This Inner Loop Header: Depth=1
	v_cmp_lt_i32_e64 s[4:5], v54, v51
	s_mul_hi_i32 s7, s2, s23
	s_mul_i32 s6, s2, s23
	v_cndmask_b32_e64 v46, v33, v54, s[4:5]
	v_cmp_lt_i32_e64 s[4:5], v55, v51
	v_mov_b32_e32 v84, v1
	v_mov_b32_e32 v85, v0
	v_cndmask_b32_e64 v47, v33, v55, s[4:5]
	v_cmp_lt_i32_e64 s[4:5], v56, v51
	v_mov_b32_e32 v86, v3
	v_mov_b32_e32 v87, v2
	;; [unrolled: 4-line block ×3, first 2 shown]
	v_cndmask_b32_e64 v89, v33, v53, s[4:5]
	s_lshl_b64 s[4:5], s[6:7], 2
	s_add_u32 s4, s28, s4
	s_addc_u32 s5, s29, s5
	v_lshl_add_u64 v[0:1], v[28:29], 2, s[4:5]
	v_lshl_add_u64 v[2:3], v[30:31], 2, s[4:5]
	v_lshl_add_u64 v[40:41], v[0:1], 0, v[26:27]
	v_lshl_add_u64 v[42:43], v[2:3], 0, v[26:27]
	global_load_dwordx4 v[0:3], v[40:41], off
	global_load_dwordx4 v[4:7], v[42:43], off
	v_mov_b32_e32 v78, 0
	v_mov_b32_e32 v79, 0
	;; [unrolled: 1-line block ×6, first 2 shown]
	v_add_u32_e32 v44, s2, v32
	v_ashrrev_i32_e32 v45, 31, v44
	v_lshl_add_u64 v[44:45], v[44:45], 1, s[38:39]
	s_mul_hi_i32 s5, s2, s22
	s_mul_i32 s4, s2, s22
	s_lshl_b64 s[4:5], s[4:5], 2
	s_add_u32 s4, s35, s4
	s_addc_u32 s5, s37, s5
	v_lshlrev_b32_e32 v89, 2, v89
	v_cmp_lt_i32_e32 vcc, v52, v51
	s_waitcnt vmcnt(1)
	ds_write_b128 v57, v[0:3]
	s_waitcnt vmcnt(0)
	ds_write_b128 v58, v[4:7]
	s_waitcnt lgkmcnt(0)
	s_barrier
	ds_read_b128 v[0:3], v49
	ds_read_b128 v[4:7], v59
	ds_read_b128 v[8:11], v59 offset:4608
	ds_read_b128 v[12:15], v49 offset:256
	;; [unrolled: 1-line block ×4, first 2 shown]
	s_waitcnt lgkmcnt(4)
	;;#ASMSTART
	v_dot2_f32_f16 v76, v4, v0, v76
	;;#ASMEND
	s_nop 0
	;;#ASMSTART
	v_dot2_f32_f16 v76, v5, v1, v76
	;;#ASMEND
	s_nop 0
	;;#ASMSTART
	v_dot2_f32_f16 v76, v6, v2, v76
	;;#ASMEND
	s_nop 0
	;;#ASMSTART
	v_dot2_f32_f16 v76, v7, v3, v76
	;;#ASMEND
	s_waitcnt lgkmcnt(2)
	;;#ASMSTART
	v_dot2_f32_f16 v77, v4, v12, v77
	;;#ASMEND
	s_nop 0
	;;#ASMSTART
	v_dot2_f32_f16 v77, v5, v13, v77
	;;#ASMEND
	s_nop 0
	;;#ASMSTART
	v_dot2_f32_f16 v77, v6, v14, v77
	;;#ASMEND
	s_nop 0
	;;#ASMSTART
	v_dot2_f32_f16 v77, v7, v15, v77
	;;#ASMEND
	;; [unrolled: 16-line block ×4, first 2 shown]
	;;#ASMSTART
	v_dot2_f32_f16 v80, v8, v0, v80
	;;#ASMEND
	s_nop 0
	;;#ASMSTART
	v_dot2_f32_f16 v80, v9, v1, v80
	;;#ASMEND
	s_nop 0
	;;#ASMSTART
	v_dot2_f32_f16 v80, v10, v2, v80
	;;#ASMEND
	s_nop 0
	;;#ASMSTART
	v_dot2_f32_f16 v80, v11, v3, v80
	;;#ASMEND
	;;#ASMSTART
	v_dot2_f32_f16 v81, v8, v12, v81
	;;#ASMEND
	s_nop 0
	;;#ASMSTART
	v_dot2_f32_f16 v81, v9, v13, v81
	;;#ASMEND
	s_nop 0
	;;#ASMSTART
	v_dot2_f32_f16 v81, v10, v14, v81
	;;#ASMEND
	s_nop 0
	;;#ASMSTART
	v_dot2_f32_f16 v81, v11, v15, v81
	;;#ASMEND
	;; [unrolled: 15-line block ×4, first 2 shown]
	ds_read_b128 v[0:3], v49 offset:16
	ds_read_b128 v[4:7], v59 offset:16
	;; [unrolled: 1-line block ×6, first 2 shown]
	s_waitcnt lgkmcnt(4)
	;;#ASMSTART
	v_dot2_f32_f16 v76, v4, v0, v76
	;;#ASMEND
	s_nop 0
	;;#ASMSTART
	v_dot2_f32_f16 v76, v5, v1, v76
	;;#ASMEND
	s_nop 0
	;;#ASMSTART
	v_dot2_f32_f16 v76, v6, v2, v76
	;;#ASMEND
	s_nop 0
	;;#ASMSTART
	v_dot2_f32_f16 v76, v7, v3, v76
	;;#ASMEND
	s_waitcnt lgkmcnt(2)
	;;#ASMSTART
	v_dot2_f32_f16 v77, v4, v12, v77
	;;#ASMEND
	s_nop 0
	;;#ASMSTART
	v_dot2_f32_f16 v77, v5, v13, v77
	;;#ASMEND
	s_nop 0
	;;#ASMSTART
	v_dot2_f32_f16 v77, v6, v14, v77
	;;#ASMEND
	s_nop 0
	;;#ASMSTART
	v_dot2_f32_f16 v77, v7, v15, v77
	;;#ASMEND
	;; [unrolled: 16-line block ×4, first 2 shown]
	;;#ASMSTART
	v_dot2_f32_f16 v80, v8, v0, v80
	;;#ASMEND
	s_nop 0
	;;#ASMSTART
	v_dot2_f32_f16 v80, v9, v1, v80
	;;#ASMEND
	s_nop 0
	;;#ASMSTART
	v_dot2_f32_f16 v80, v10, v2, v80
	;;#ASMEND
	s_nop 0
	;;#ASMSTART
	v_dot2_f32_f16 v80, v11, v3, v80
	;;#ASMEND
	;;#ASMSTART
	v_dot2_f32_f16 v81, v8, v12, v81
	;;#ASMEND
	s_nop 0
	;;#ASMSTART
	v_dot2_f32_f16 v81, v9, v13, v81
	;;#ASMEND
	s_nop 0
	;;#ASMSTART
	v_dot2_f32_f16 v81, v10, v14, v81
	;;#ASMEND
	s_nop 0
	;;#ASMSTART
	v_dot2_f32_f16 v81, v11, v15, v81
	;;#ASMEND
	;; [unrolled: 15-line block ×4, first 2 shown]
	ds_read_b128 v[0:3], v49 offset:32
	ds_read_b128 v[4:7], v59 offset:32
	;; [unrolled: 1-line block ×6, first 2 shown]
	s_waitcnt lgkmcnt(4)
	;;#ASMSTART
	v_dot2_f32_f16 v76, v4, v0, v76
	;;#ASMEND
	s_nop 0
	;;#ASMSTART
	v_dot2_f32_f16 v76, v5, v1, v76
	;;#ASMEND
	s_nop 0
	;;#ASMSTART
	v_dot2_f32_f16 v76, v6, v2, v76
	;;#ASMEND
	s_nop 0
	;;#ASMSTART
	v_dot2_f32_f16 v76, v7, v3, v76
	;;#ASMEND
	s_waitcnt lgkmcnt(2)
	;;#ASMSTART
	v_dot2_f32_f16 v77, v4, v12, v77
	;;#ASMEND
	s_nop 0
	;;#ASMSTART
	v_dot2_f32_f16 v77, v5, v13, v77
	;;#ASMEND
	s_nop 0
	;;#ASMSTART
	v_dot2_f32_f16 v77, v6, v14, v77
	;;#ASMEND
	s_nop 0
	;;#ASMSTART
	v_dot2_f32_f16 v77, v7, v15, v77
	;;#ASMEND
	;; [unrolled: 16-line block ×4, first 2 shown]
	;;#ASMSTART
	v_dot2_f32_f16 v80, v8, v0, v80
	;;#ASMEND
	s_nop 0
	;;#ASMSTART
	v_dot2_f32_f16 v80, v9, v1, v80
	;;#ASMEND
	s_nop 0
	;;#ASMSTART
	v_dot2_f32_f16 v80, v10, v2, v80
	;;#ASMEND
	s_nop 0
	;;#ASMSTART
	v_dot2_f32_f16 v80, v11, v3, v80
	;;#ASMEND
	;;#ASMSTART
	v_dot2_f32_f16 v81, v8, v12, v81
	;;#ASMEND
	s_nop 0
	;;#ASMSTART
	v_dot2_f32_f16 v81, v9, v13, v81
	;;#ASMEND
	s_nop 0
	;;#ASMSTART
	v_dot2_f32_f16 v81, v10, v14, v81
	;;#ASMEND
	s_nop 0
	;;#ASMSTART
	v_dot2_f32_f16 v81, v11, v15, v81
	;;#ASMEND
	;; [unrolled: 15-line block ×4, first 2 shown]
	ds_read_b128 v[0:3], v49 offset:48
	ds_read_b128 v[4:7], v59 offset:48
	;; [unrolled: 1-line block ×6, first 2 shown]
	s_waitcnt lgkmcnt(4)
	;;#ASMSTART
	v_dot2_f32_f16 v76, v4, v0, v76
	;;#ASMEND
	s_nop 0
	;;#ASMSTART
	v_dot2_f32_f16 v76, v5, v1, v76
	;;#ASMEND
	s_nop 0
	;;#ASMSTART
	v_dot2_f32_f16 v76, v6, v2, v76
	;;#ASMEND
	s_nop 0
	;;#ASMSTART
	v_dot2_f32_f16 v76, v7, v3, v76
	;;#ASMEND
	s_waitcnt lgkmcnt(2)
	;;#ASMSTART
	v_dot2_f32_f16 v77, v4, v12, v77
	;;#ASMEND
	s_nop 0
	;;#ASMSTART
	v_dot2_f32_f16 v77, v5, v13, v77
	;;#ASMEND
	s_nop 0
	;;#ASMSTART
	v_dot2_f32_f16 v77, v6, v14, v77
	;;#ASMEND
	s_nop 0
	;;#ASMSTART
	v_dot2_f32_f16 v77, v7, v15, v77
	;;#ASMEND
	s_waitcnt lgkmcnt(1)
	;;#ASMSTART
	v_dot2_f32_f16 v78, v4, v16, v78
	;;#ASMEND
	s_nop 0
	;;#ASMSTART
	v_dot2_f32_f16 v78, v5, v17, v78
	;;#ASMEND
	s_nop 0
	;;#ASMSTART
	v_dot2_f32_f16 v78, v6, v18, v78
	;;#ASMEND
	s_nop 0
	;;#ASMSTART
	v_dot2_f32_f16 v78, v7, v19, v78
	;;#ASMEND
	s_waitcnt lgkmcnt(0)
	;;#ASMSTART
	v_dot2_f32_f16 v79, v4, v90, v79
	;;#ASMEND
	s_nop 0
	;;#ASMSTART
	v_dot2_f32_f16 v79, v5, v91, v79
	;;#ASMEND
	s_nop 0
	;;#ASMSTART
	v_dot2_f32_f16 v79, v6, v92, v79
	;;#ASMEND
	s_nop 0
	;;#ASMSTART
	v_dot2_f32_f16 v79, v7, v93, v79
	;;#ASMEND
	;;#ASMSTART
	v_dot2_f32_f16 v80, v8, v0, v80
	;;#ASMEND
	s_nop 0
	;;#ASMSTART
	v_dot2_f32_f16 v80, v9, v1, v80
	;;#ASMEND
	s_nop 0
	;;#ASMSTART
	v_dot2_f32_f16 v80, v10, v2, v80
	;;#ASMEND
	s_nop 0
	;;#ASMSTART
	v_dot2_f32_f16 v80, v11, v3, v80
	;;#ASMEND
	;;#ASMSTART
	v_dot2_f32_f16 v81, v8, v12, v81
	;;#ASMEND
	s_nop 0
	;;#ASMSTART
	v_dot2_f32_f16 v81, v9, v13, v81
	;;#ASMEND
	s_nop 0
	;;#ASMSTART
	v_dot2_f32_f16 v81, v10, v14, v81
	;;#ASMEND
	s_nop 0
	;;#ASMSTART
	v_dot2_f32_f16 v81, v11, v15, v81
	;;#ASMEND
	;; [unrolled: 15-line block ×4, first 2 shown]
	ds_read_b128 v[0:3], v49 offset:64
	ds_read_b128 v[4:7], v59 offset:64
	;; [unrolled: 1-line block ×6, first 2 shown]
	s_waitcnt lgkmcnt(4)
	;;#ASMSTART
	v_dot2_f32_f16 v76, v4, v0, v76
	;;#ASMEND
	s_nop 0
	;;#ASMSTART
	v_dot2_f32_f16 v76, v5, v1, v76
	;;#ASMEND
	s_nop 0
	;;#ASMSTART
	v_dot2_f32_f16 v76, v6, v2, v76
	;;#ASMEND
	s_nop 0
	;;#ASMSTART
	v_dot2_f32_f16 v76, v7, v3, v76
	;;#ASMEND
	s_waitcnt lgkmcnt(2)
	;;#ASMSTART
	v_dot2_f32_f16 v77, v4, v12, v77
	;;#ASMEND
	s_nop 0
	;;#ASMSTART
	v_dot2_f32_f16 v77, v5, v13, v77
	;;#ASMEND
	s_nop 0
	;;#ASMSTART
	v_dot2_f32_f16 v77, v6, v14, v77
	;;#ASMEND
	s_nop 0
	;;#ASMSTART
	v_dot2_f32_f16 v77, v7, v15, v77
	;;#ASMEND
	;; [unrolled: 16-line block ×4, first 2 shown]
	;;#ASMSTART
	v_dot2_f32_f16 v80, v8, v0, v80
	;;#ASMEND
	s_nop 0
	;;#ASMSTART
	v_dot2_f32_f16 v80, v9, v1, v80
	;;#ASMEND
	s_nop 0
	;;#ASMSTART
	v_dot2_f32_f16 v80, v10, v2, v80
	;;#ASMEND
	s_nop 0
	;;#ASMSTART
	v_dot2_f32_f16 v80, v11, v3, v80
	;;#ASMEND
	;;#ASMSTART
	v_dot2_f32_f16 v81, v8, v12, v81
	;;#ASMEND
	s_nop 0
	;;#ASMSTART
	v_dot2_f32_f16 v81, v9, v13, v81
	;;#ASMEND
	s_nop 0
	;;#ASMSTART
	v_dot2_f32_f16 v81, v10, v14, v81
	;;#ASMEND
	s_nop 0
	;;#ASMSTART
	v_dot2_f32_f16 v81, v11, v15, v81
	;;#ASMEND
	;; [unrolled: 15-line block ×4, first 2 shown]
	ds_read_b128 v[0:3], v49 offset:80
	ds_read_b128 v[4:7], v59 offset:80
	;; [unrolled: 1-line block ×6, first 2 shown]
	s_waitcnt lgkmcnt(4)
	;;#ASMSTART
	v_dot2_f32_f16 v76, v4, v0, v76
	;;#ASMEND
	s_nop 0
	;;#ASMSTART
	v_dot2_f32_f16 v76, v5, v1, v76
	;;#ASMEND
	s_nop 0
	;;#ASMSTART
	v_dot2_f32_f16 v76, v6, v2, v76
	;;#ASMEND
	s_nop 0
	;;#ASMSTART
	v_dot2_f32_f16 v76, v7, v3, v76
	;;#ASMEND
	s_waitcnt lgkmcnt(2)
	;;#ASMSTART
	v_dot2_f32_f16 v77, v4, v12, v77
	;;#ASMEND
	s_nop 0
	;;#ASMSTART
	v_dot2_f32_f16 v77, v5, v13, v77
	;;#ASMEND
	s_nop 0
	;;#ASMSTART
	v_dot2_f32_f16 v77, v6, v14, v77
	;;#ASMEND
	s_nop 0
	;;#ASMSTART
	v_dot2_f32_f16 v77, v7, v15, v77
	;;#ASMEND
	;; [unrolled: 16-line block ×4, first 2 shown]
	;;#ASMSTART
	v_dot2_f32_f16 v80, v8, v0, v80
	;;#ASMEND
	s_nop 0
	;;#ASMSTART
	v_dot2_f32_f16 v80, v9, v1, v80
	;;#ASMEND
	s_nop 0
	;;#ASMSTART
	v_dot2_f32_f16 v80, v10, v2, v80
	;;#ASMEND
	s_nop 0
	;;#ASMSTART
	v_dot2_f32_f16 v80, v11, v3, v80
	;;#ASMEND
	;;#ASMSTART
	v_dot2_f32_f16 v81, v8, v12, v81
	;;#ASMEND
	s_nop 0
	;;#ASMSTART
	v_dot2_f32_f16 v81, v9, v13, v81
	;;#ASMEND
	s_nop 0
	;;#ASMSTART
	v_dot2_f32_f16 v81, v10, v14, v81
	;;#ASMEND
	s_nop 0
	;;#ASMSTART
	v_dot2_f32_f16 v81, v11, v15, v81
	;;#ASMEND
	;; [unrolled: 15-line block ×4, first 2 shown]
	ds_read_b128 v[0:3], v49 offset:96
	ds_read_b128 v[4:7], v59 offset:96
	;; [unrolled: 1-line block ×6, first 2 shown]
	s_waitcnt lgkmcnt(4)
	;;#ASMSTART
	v_dot2_f32_f16 v76, v4, v0, v76
	;;#ASMEND
	s_nop 0
	;;#ASMSTART
	v_dot2_f32_f16 v76, v5, v1, v76
	;;#ASMEND
	s_nop 0
	;;#ASMSTART
	v_dot2_f32_f16 v76, v6, v2, v76
	;;#ASMEND
	s_nop 0
	;;#ASMSTART
	v_dot2_f32_f16 v76, v7, v3, v76
	;;#ASMEND
	s_waitcnt lgkmcnt(2)
	;;#ASMSTART
	v_dot2_f32_f16 v77, v4, v12, v77
	;;#ASMEND
	s_nop 0
	;;#ASMSTART
	v_dot2_f32_f16 v77, v5, v13, v77
	;;#ASMEND
	s_nop 0
	;;#ASMSTART
	v_dot2_f32_f16 v77, v6, v14, v77
	;;#ASMEND
	s_nop 0
	;;#ASMSTART
	v_dot2_f32_f16 v77, v7, v15, v77
	;;#ASMEND
	;; [unrolled: 16-line block ×4, first 2 shown]
	;;#ASMSTART
	v_dot2_f32_f16 v80, v8, v0, v80
	;;#ASMEND
	s_nop 0
	;;#ASMSTART
	v_dot2_f32_f16 v80, v9, v1, v80
	;;#ASMEND
	s_nop 0
	;;#ASMSTART
	v_dot2_f32_f16 v80, v10, v2, v80
	;;#ASMEND
	s_nop 0
	;;#ASMSTART
	v_dot2_f32_f16 v80, v11, v3, v80
	;;#ASMEND
	;;#ASMSTART
	v_dot2_f32_f16 v81, v8, v12, v81
	;;#ASMEND
	s_nop 0
	;;#ASMSTART
	v_dot2_f32_f16 v81, v9, v13, v81
	;;#ASMEND
	s_nop 0
	;;#ASMSTART
	v_dot2_f32_f16 v81, v10, v14, v81
	;;#ASMEND
	s_nop 0
	;;#ASMSTART
	v_dot2_f32_f16 v81, v11, v15, v81
	;;#ASMEND
	;; [unrolled: 15-line block ×4, first 2 shown]
	ds_read_b128 v[16:19], v49 offset:112
	ds_read_b128 v[90:93], v59 offset:112
	;; [unrolled: 1-line block ×6, first 2 shown]
	s_waitcnt lgkmcnt(4)
	;;#ASMSTART
	v_dot2_f32_f16 v76, v90, v16, v76
	;;#ASMEND
	s_nop 0
	;;#ASMSTART
	v_dot2_f32_f16 v76, v91, v17, v76
	;;#ASMEND
	s_nop 0
	;;#ASMSTART
	v_dot2_f32_f16 v76, v92, v18, v76
	;;#ASMEND
	s_nop 0
	;;#ASMSTART
	v_dot2_f32_f16 v76, v93, v19, v76
	;;#ASMEND
	s_waitcnt lgkmcnt(2)
	;;#ASMSTART
	v_dot2_f32_f16 v77, v90, v12, v77
	;;#ASMEND
	s_nop 0
	;;#ASMSTART
	v_dot2_f32_f16 v77, v91, v13, v77
	;;#ASMEND
	s_nop 0
	;;#ASMSTART
	v_dot2_f32_f16 v77, v92, v14, v77
	;;#ASMEND
	s_nop 0
	;;#ASMSTART
	v_dot2_f32_f16 v77, v93, v15, v77
	;;#ASMEND
	;; [unrolled: 16-line block ×3, first 2 shown]
	s_waitcnt lgkmcnt(0)
	;;#ASMSTART
	v_dot2_f32_f16 v79, v90, v4, v79
	;;#ASMEND
	v_lshlrev_b32_e32 v90, 2, v88
	;;#ASMSTART
	v_dot2_f32_f16 v79, v91, v5, v79
	;;#ASMEND
	v_lshlrev_b32_e32 v91, 2, v47
	;; [unrolled: 4-line block ×3, first 2 shown]
	;;#ASMSTART
	v_dot2_f32_f16 v79, v93, v7, v79
	;;#ASMEND
	;;#ASMSTART
	v_dot2_f32_f16 v80, v0, v16, v80
	;;#ASMEND
	v_lshl_add_u64 v[46:47], s[4:5], 0, v[34:35]
	;;#ASMSTART
	v_dot2_f32_f16 v80, v1, v17, v80
	;;#ASMEND
	v_lshl_add_u64 v[46:47], v[46:47], 0, v[36:37]
	;;#ASMSTART
	v_dot2_f32_f16 v80, v2, v18, v80
	;;#ASMEND
	v_cndmask_b32_e32 v93, v33, v52, vcc
	;;#ASMSTART
	v_dot2_f32_f16 v80, v3, v19, v80
	;;#ASMEND
	;;#ASMSTART
	v_dot2_f32_f16 v81, v0, v12, v81
	;;#ASMEND
	v_lshlrev_b32_e32 v88, 2, v93
	;;#ASMSTART
	v_dot2_f32_f16 v81, v1, v13, v81
	;;#ASMEND
	s_nop 0
	;;#ASMSTART
	v_dot2_f32_f16 v81, v2, v14, v81
	;;#ASMEND
	s_nop 0
	;;#ASMSTART
	v_dot2_f32_f16 v81, v3, v15, v81
	;;#ASMEND
	;;#ASMSTART
	v_dot2_f32_f16 v82, v0, v8, v82
	;;#ASMEND
	s_nop 0
	;;#ASMSTART
	v_dot2_f32_f16 v82, v1, v9, v82
	;;#ASMEND
	s_nop 0
	;; [unrolled: 4-line block ×3, first 2 shown]
	;;#ASMSTART
	v_dot2_f32_f16 v82, v3, v11, v82
	;;#ASMEND
	;;#ASMSTART
	v_dot2_f32_f16 v83, v0, v4, v83
	;;#ASMEND
	s_nop 0
	;;#ASMSTART
	v_dot2_f32_f16 v83, v1, v5, v83
	;;#ASMEND
	s_nop 0
	;;#ASMSTART
	v_dot2_f32_f16 v83, v2, v6, v83
	;;#ASMEND
	s_nop 0
	;;#ASMSTART
	v_dot2_f32_f16 v83, v3, v7, v83
	;;#ASMEND
	s_barrier
	global_load_dwordx4 v[0:3], v[40:41], off offset:128
	global_load_dwordx4 v[4:7], v[42:43], off offset:128
	s_waitcnt vmcnt(1)
	ds_write_b128 v57, v[0:3]
	s_waitcnt vmcnt(0)
	ds_write_b128 v58, v[4:7]
	s_waitcnt lgkmcnt(0)
	s_barrier
	ds_read_b128 v[0:3], v49 offset:128
	ds_read_b128 v[4:7], v59
	ds_read_b128 v[8:11], v59 offset:4608
	ds_read_b128 v[12:15], v49 offset:384
	;; [unrolled: 1-line block ×4, first 2 shown]
	s_waitcnt lgkmcnt(4)
	;;#ASMSTART
	v_dot2_f32_f16 v76, v4, v0, v76
	;;#ASMEND
	s_nop 0
	;;#ASMSTART
	v_dot2_f32_f16 v76, v5, v1, v76
	;;#ASMEND
	s_nop 0
	;;#ASMSTART
	v_dot2_f32_f16 v76, v6, v2, v76
	;;#ASMEND
	s_nop 0
	;;#ASMSTART
	v_dot2_f32_f16 v76, v7, v3, v76
	;;#ASMEND
	s_waitcnt lgkmcnt(2)
	;;#ASMSTART
	v_dot2_f32_f16 v77, v4, v12, v77
	;;#ASMEND
	s_nop 0
	;;#ASMSTART
	v_dot2_f32_f16 v77, v5, v13, v77
	;;#ASMEND
	s_nop 0
	;;#ASMSTART
	v_dot2_f32_f16 v77, v6, v14, v77
	;;#ASMEND
	s_nop 0
	;;#ASMSTART
	v_dot2_f32_f16 v77, v7, v15, v77
	;;#ASMEND
	;; [unrolled: 16-line block ×4, first 2 shown]
	;;#ASMSTART
	v_dot2_f32_f16 v80, v8, v0, v80
	;;#ASMEND
	s_nop 0
	;;#ASMSTART
	v_dot2_f32_f16 v80, v9, v1, v80
	;;#ASMEND
	s_nop 0
	;;#ASMSTART
	v_dot2_f32_f16 v80, v10, v2, v80
	;;#ASMEND
	s_nop 0
	;;#ASMSTART
	v_dot2_f32_f16 v80, v11, v3, v80
	;;#ASMEND
	;;#ASMSTART
	v_dot2_f32_f16 v81, v8, v12, v81
	;;#ASMEND
	s_nop 0
	;;#ASMSTART
	v_dot2_f32_f16 v81, v9, v13, v81
	;;#ASMEND
	s_nop 0
	;;#ASMSTART
	v_dot2_f32_f16 v81, v10, v14, v81
	;;#ASMEND
	s_nop 0
	;;#ASMSTART
	v_dot2_f32_f16 v81, v11, v15, v81
	;;#ASMEND
	;; [unrolled: 15-line block ×4, first 2 shown]
	ds_read_b128 v[0:3], v49 offset:144
	ds_read_b128 v[4:7], v59 offset:16
	;; [unrolled: 1-line block ×6, first 2 shown]
	s_waitcnt lgkmcnt(4)
	;;#ASMSTART
	v_dot2_f32_f16 v76, v4, v0, v76
	;;#ASMEND
	s_nop 0
	;;#ASMSTART
	v_dot2_f32_f16 v76, v5, v1, v76
	;;#ASMEND
	s_nop 0
	;;#ASMSTART
	v_dot2_f32_f16 v76, v6, v2, v76
	;;#ASMEND
	s_nop 0
	;;#ASMSTART
	v_dot2_f32_f16 v76, v7, v3, v76
	;;#ASMEND
	s_waitcnt lgkmcnt(2)
	;;#ASMSTART
	v_dot2_f32_f16 v77, v4, v12, v77
	;;#ASMEND
	s_nop 0
	;;#ASMSTART
	v_dot2_f32_f16 v77, v5, v13, v77
	;;#ASMEND
	s_nop 0
	;;#ASMSTART
	v_dot2_f32_f16 v77, v6, v14, v77
	;;#ASMEND
	s_nop 0
	;;#ASMSTART
	v_dot2_f32_f16 v77, v7, v15, v77
	;;#ASMEND
	;; [unrolled: 16-line block ×4, first 2 shown]
	;;#ASMSTART
	v_dot2_f32_f16 v80, v8, v0, v80
	;;#ASMEND
	s_nop 0
	;;#ASMSTART
	v_dot2_f32_f16 v80, v9, v1, v80
	;;#ASMEND
	s_nop 0
	;;#ASMSTART
	v_dot2_f32_f16 v80, v10, v2, v80
	;;#ASMEND
	s_nop 0
	;;#ASMSTART
	v_dot2_f32_f16 v80, v11, v3, v80
	;;#ASMEND
	;;#ASMSTART
	v_dot2_f32_f16 v81, v8, v12, v81
	;;#ASMEND
	s_nop 0
	;;#ASMSTART
	v_dot2_f32_f16 v81, v9, v13, v81
	;;#ASMEND
	s_nop 0
	;;#ASMSTART
	v_dot2_f32_f16 v81, v10, v14, v81
	;;#ASMEND
	s_nop 0
	;;#ASMSTART
	v_dot2_f32_f16 v81, v11, v15, v81
	;;#ASMEND
	;; [unrolled: 15-line block ×4, first 2 shown]
	ds_read_b128 v[0:3], v49 offset:160
	ds_read_b128 v[4:7], v59 offset:32
	;; [unrolled: 1-line block ×6, first 2 shown]
	s_waitcnt lgkmcnt(4)
	;;#ASMSTART
	v_dot2_f32_f16 v76, v4, v0, v76
	;;#ASMEND
	s_nop 0
	;;#ASMSTART
	v_dot2_f32_f16 v76, v5, v1, v76
	;;#ASMEND
	s_nop 0
	;;#ASMSTART
	v_dot2_f32_f16 v76, v6, v2, v76
	;;#ASMEND
	s_nop 0
	;;#ASMSTART
	v_dot2_f32_f16 v76, v7, v3, v76
	;;#ASMEND
	s_waitcnt lgkmcnt(2)
	;;#ASMSTART
	v_dot2_f32_f16 v77, v4, v12, v77
	;;#ASMEND
	s_nop 0
	;;#ASMSTART
	v_dot2_f32_f16 v77, v5, v13, v77
	;;#ASMEND
	s_nop 0
	;;#ASMSTART
	v_dot2_f32_f16 v77, v6, v14, v77
	;;#ASMEND
	s_nop 0
	;;#ASMSTART
	v_dot2_f32_f16 v77, v7, v15, v77
	;;#ASMEND
	;; [unrolled: 16-line block ×4, first 2 shown]
	;;#ASMSTART
	v_dot2_f32_f16 v80, v8, v0, v80
	;;#ASMEND
	s_nop 0
	;;#ASMSTART
	v_dot2_f32_f16 v80, v9, v1, v80
	;;#ASMEND
	s_nop 0
	;;#ASMSTART
	v_dot2_f32_f16 v80, v10, v2, v80
	;;#ASMEND
	s_nop 0
	;;#ASMSTART
	v_dot2_f32_f16 v80, v11, v3, v80
	;;#ASMEND
	;;#ASMSTART
	v_dot2_f32_f16 v81, v8, v12, v81
	;;#ASMEND
	s_nop 0
	;;#ASMSTART
	v_dot2_f32_f16 v81, v9, v13, v81
	;;#ASMEND
	s_nop 0
	;;#ASMSTART
	v_dot2_f32_f16 v81, v10, v14, v81
	;;#ASMEND
	s_nop 0
	;;#ASMSTART
	v_dot2_f32_f16 v81, v11, v15, v81
	;;#ASMEND
	;;#ASMSTART
	v_dot2_f32_f16 v82, v8, v16, v82
	;;#ASMEND
	s_nop 0
	;;#ASMSTART
	v_dot2_f32_f16 v82, v9, v17, v82
	;;#ASMEND
	s_nop 0
	;;#ASMSTART
	v_dot2_f32_f16 v82, v10, v18, v82
	;;#ASMEND
	s_nop 0
	;;#ASMSTART
	v_dot2_f32_f16 v82, v11, v19, v82
	;;#ASMEND
	;;#ASMSTART
	v_dot2_f32_f16 v83, v8, v40, v83
	;;#ASMEND
	s_nop 0
	;;#ASMSTART
	v_dot2_f32_f16 v83, v9, v41, v83
	;;#ASMEND
	s_nop 0
	;;#ASMSTART
	v_dot2_f32_f16 v83, v10, v42, v83
	;;#ASMEND
	s_nop 0
	;;#ASMSTART
	v_dot2_f32_f16 v83, v11, v43, v83
	;;#ASMEND
	ds_read_b128 v[0:3], v49 offset:176
	ds_read_b128 v[4:7], v59 offset:48
	;; [unrolled: 1-line block ×6, first 2 shown]
	s_waitcnt lgkmcnt(4)
	;;#ASMSTART
	v_dot2_f32_f16 v76, v4, v0, v76
	;;#ASMEND
	s_nop 0
	;;#ASMSTART
	v_dot2_f32_f16 v76, v5, v1, v76
	;;#ASMEND
	s_nop 0
	;;#ASMSTART
	v_dot2_f32_f16 v76, v6, v2, v76
	;;#ASMEND
	s_nop 0
	;;#ASMSTART
	v_dot2_f32_f16 v76, v7, v3, v76
	;;#ASMEND
	s_waitcnt lgkmcnt(2)
	;;#ASMSTART
	v_dot2_f32_f16 v77, v4, v12, v77
	;;#ASMEND
	s_nop 0
	;;#ASMSTART
	v_dot2_f32_f16 v77, v5, v13, v77
	;;#ASMEND
	s_nop 0
	;;#ASMSTART
	v_dot2_f32_f16 v77, v6, v14, v77
	;;#ASMEND
	s_nop 0
	;;#ASMSTART
	v_dot2_f32_f16 v77, v7, v15, v77
	;;#ASMEND
	;; [unrolled: 16-line block ×4, first 2 shown]
	;;#ASMSTART
	v_dot2_f32_f16 v80, v8, v0, v80
	;;#ASMEND
	s_nop 0
	;;#ASMSTART
	v_dot2_f32_f16 v80, v9, v1, v80
	;;#ASMEND
	s_nop 0
	;;#ASMSTART
	v_dot2_f32_f16 v80, v10, v2, v80
	;;#ASMEND
	s_nop 0
	;;#ASMSTART
	v_dot2_f32_f16 v80, v11, v3, v80
	;;#ASMEND
	;;#ASMSTART
	v_dot2_f32_f16 v81, v8, v12, v81
	;;#ASMEND
	s_nop 0
	;;#ASMSTART
	v_dot2_f32_f16 v81, v9, v13, v81
	;;#ASMEND
	s_nop 0
	;;#ASMSTART
	v_dot2_f32_f16 v81, v10, v14, v81
	;;#ASMEND
	s_nop 0
	;;#ASMSTART
	v_dot2_f32_f16 v81, v11, v15, v81
	;;#ASMEND
	;; [unrolled: 15-line block ×4, first 2 shown]
	ds_read_b128 v[0:3], v49 offset:192
	ds_read_b128 v[4:7], v59 offset:64
	;; [unrolled: 1-line block ×6, first 2 shown]
	s_waitcnt lgkmcnt(4)
	;;#ASMSTART
	v_dot2_f32_f16 v76, v4, v0, v76
	;;#ASMEND
	s_nop 0
	;;#ASMSTART
	v_dot2_f32_f16 v76, v5, v1, v76
	;;#ASMEND
	s_nop 0
	;;#ASMSTART
	v_dot2_f32_f16 v76, v6, v2, v76
	;;#ASMEND
	s_nop 0
	;;#ASMSTART
	v_dot2_f32_f16 v76, v7, v3, v76
	;;#ASMEND
	s_waitcnt lgkmcnt(2)
	;;#ASMSTART
	v_dot2_f32_f16 v77, v4, v12, v77
	;;#ASMEND
	s_nop 0
	;;#ASMSTART
	v_dot2_f32_f16 v77, v5, v13, v77
	;;#ASMEND
	s_nop 0
	;;#ASMSTART
	v_dot2_f32_f16 v77, v6, v14, v77
	;;#ASMEND
	s_nop 0
	;;#ASMSTART
	v_dot2_f32_f16 v77, v7, v15, v77
	;;#ASMEND
	;; [unrolled: 16-line block ×4, first 2 shown]
	;;#ASMSTART
	v_dot2_f32_f16 v80, v8, v0, v80
	;;#ASMEND
	s_nop 0
	;;#ASMSTART
	v_dot2_f32_f16 v80, v9, v1, v80
	;;#ASMEND
	s_nop 0
	;;#ASMSTART
	v_dot2_f32_f16 v80, v10, v2, v80
	;;#ASMEND
	s_nop 0
	;;#ASMSTART
	v_dot2_f32_f16 v80, v11, v3, v80
	;;#ASMEND
	;;#ASMSTART
	v_dot2_f32_f16 v81, v8, v12, v81
	;;#ASMEND
	s_nop 0
	;;#ASMSTART
	v_dot2_f32_f16 v81, v9, v13, v81
	;;#ASMEND
	s_nop 0
	;;#ASMSTART
	v_dot2_f32_f16 v81, v10, v14, v81
	;;#ASMEND
	s_nop 0
	;;#ASMSTART
	v_dot2_f32_f16 v81, v11, v15, v81
	;;#ASMEND
	;; [unrolled: 15-line block ×4, first 2 shown]
	ds_read_b128 v[0:3], v49 offset:208
	ds_read_b128 v[4:7], v59 offset:80
	;; [unrolled: 1-line block ×6, first 2 shown]
	s_waitcnt lgkmcnt(4)
	;;#ASMSTART
	v_dot2_f32_f16 v76, v4, v0, v76
	;;#ASMEND
	s_nop 0
	;;#ASMSTART
	v_dot2_f32_f16 v76, v5, v1, v76
	;;#ASMEND
	s_nop 0
	;;#ASMSTART
	v_dot2_f32_f16 v76, v6, v2, v76
	;;#ASMEND
	s_nop 0
	;;#ASMSTART
	v_dot2_f32_f16 v76, v7, v3, v76
	;;#ASMEND
	s_waitcnt lgkmcnt(2)
	;;#ASMSTART
	v_dot2_f32_f16 v77, v4, v12, v77
	;;#ASMEND
	s_nop 0
	;;#ASMSTART
	v_dot2_f32_f16 v77, v5, v13, v77
	;;#ASMEND
	s_nop 0
	;;#ASMSTART
	v_dot2_f32_f16 v77, v6, v14, v77
	;;#ASMEND
	s_nop 0
	;;#ASMSTART
	v_dot2_f32_f16 v77, v7, v15, v77
	;;#ASMEND
	;; [unrolled: 16-line block ×4, first 2 shown]
	;;#ASMSTART
	v_dot2_f32_f16 v80, v8, v0, v80
	;;#ASMEND
	s_nop 0
	;;#ASMSTART
	v_dot2_f32_f16 v80, v9, v1, v80
	;;#ASMEND
	s_nop 0
	;;#ASMSTART
	v_dot2_f32_f16 v80, v10, v2, v80
	;;#ASMEND
	s_nop 0
	;;#ASMSTART
	v_dot2_f32_f16 v80, v11, v3, v80
	;;#ASMEND
	;;#ASMSTART
	v_dot2_f32_f16 v81, v8, v12, v81
	;;#ASMEND
	s_nop 0
	;;#ASMSTART
	v_dot2_f32_f16 v81, v9, v13, v81
	;;#ASMEND
	s_nop 0
	;;#ASMSTART
	v_dot2_f32_f16 v81, v10, v14, v81
	;;#ASMEND
	s_nop 0
	;;#ASMSTART
	v_dot2_f32_f16 v81, v11, v15, v81
	;;#ASMEND
	;; [unrolled: 15-line block ×4, first 2 shown]
	ds_read_b128 v[0:3], v49 offset:224
	ds_read_b128 v[4:7], v59 offset:96
	;; [unrolled: 1-line block ×6, first 2 shown]
	s_waitcnt lgkmcnt(4)
	;;#ASMSTART
	v_dot2_f32_f16 v76, v4, v0, v76
	;;#ASMEND
	s_nop 0
	;;#ASMSTART
	v_dot2_f32_f16 v76, v5, v1, v76
	;;#ASMEND
	s_nop 0
	;;#ASMSTART
	v_dot2_f32_f16 v76, v6, v2, v76
	;;#ASMEND
	s_nop 0
	;;#ASMSTART
	v_dot2_f32_f16 v76, v7, v3, v76
	;;#ASMEND
	s_waitcnt lgkmcnt(2)
	;;#ASMSTART
	v_dot2_f32_f16 v77, v4, v12, v77
	;;#ASMEND
	s_nop 0
	;;#ASMSTART
	v_dot2_f32_f16 v77, v5, v13, v77
	;;#ASMEND
	s_nop 0
	;;#ASMSTART
	v_dot2_f32_f16 v77, v6, v14, v77
	;;#ASMEND
	s_nop 0
	;;#ASMSTART
	v_dot2_f32_f16 v77, v7, v15, v77
	;;#ASMEND
	;; [unrolled: 16-line block ×4, first 2 shown]
	;;#ASMSTART
	v_dot2_f32_f16 v80, v8, v0, v80
	;;#ASMEND
	s_nop 0
	;;#ASMSTART
	v_dot2_f32_f16 v80, v9, v1, v80
	;;#ASMEND
	s_nop 0
	;;#ASMSTART
	v_dot2_f32_f16 v80, v10, v2, v80
	;;#ASMEND
	s_nop 0
	;;#ASMSTART
	v_dot2_f32_f16 v80, v11, v3, v80
	;;#ASMEND
	;;#ASMSTART
	v_dot2_f32_f16 v81, v8, v12, v81
	;;#ASMEND
	s_nop 0
	;;#ASMSTART
	v_dot2_f32_f16 v81, v9, v13, v81
	;;#ASMEND
	s_nop 0
	;;#ASMSTART
	v_dot2_f32_f16 v81, v10, v14, v81
	;;#ASMEND
	s_nop 0
	;;#ASMSTART
	v_dot2_f32_f16 v81, v11, v15, v81
	;;#ASMEND
	;; [unrolled: 15-line block ×4, first 2 shown]
	ds_read_b128 v[0:3], v49 offset:240
	ds_read_b128 v[4:7], v59 offset:112
	;; [unrolled: 1-line block ×6, first 2 shown]
	s_waitcnt lgkmcnt(4)
	;;#ASMSTART
	v_dot2_f32_f16 v76, v4, v0, v76
	;;#ASMEND
	s_nop 0
	;;#ASMSTART
	v_dot2_f32_f16 v76, v5, v1, v76
	;;#ASMEND
	s_nop 0
	;;#ASMSTART
	v_dot2_f32_f16 v76, v6, v2, v76
	;;#ASMEND
	s_nop 0
	;;#ASMSTART
	v_dot2_f32_f16 v76, v7, v3, v76
	;;#ASMEND
	s_waitcnt lgkmcnt(2)
	;;#ASMSTART
	v_dot2_f32_f16 v77, v4, v12, v77
	;;#ASMEND
	s_nop 0
	;;#ASMSTART
	v_dot2_f32_f16 v77, v5, v13, v77
	;;#ASMEND
	s_nop 0
	;;#ASMSTART
	v_dot2_f32_f16 v77, v6, v14, v77
	;;#ASMEND
	s_nop 0
	;;#ASMSTART
	v_dot2_f32_f16 v77, v7, v15, v77
	;;#ASMEND
	;; [unrolled: 16-line block ×3, first 2 shown]
	s_waitcnt lgkmcnt(0)
	;;#ASMSTART
	v_dot2_f32_f16 v79, v4, v40, v79
	;;#ASMEND
	s_nop 0
	;;#ASMSTART
	v_dot2_f32_f16 v79, v5, v41, v79
	;;#ASMEND
	v_lshl_add_u64 v[4:5], s[4:5], 0, v[38:39]
	;;#ASMSTART
	v_dot2_f32_f16 v79, v6, v42, v79
	;;#ASMEND
	v_lshl_add_u64 v[94:95], v[4:5], 0, v[36:37]
	;;#ASMSTART
	v_dot2_f32_f16 v79, v7, v43, v79
	;;#ASMEND
	;;#ASMSTART
	v_dot2_f32_f16 v80, v8, v0, v80
	;;#ASMEND
	s_nop 0
	;;#ASMSTART
	v_dot2_f32_f16 v80, v9, v1, v80
	;;#ASMEND
	s_nop 0
	;;#ASMSTART
	v_dot2_f32_f16 v80, v10, v2, v80
	;;#ASMEND
	s_nop 0
	;;#ASMSTART
	v_dot2_f32_f16 v80, v11, v3, v80
	;;#ASMEND
	;;#ASMSTART
	v_dot2_f32_f16 v81, v8, v12, v81
	;;#ASMEND
	s_nop 0
	;;#ASMSTART
	v_dot2_f32_f16 v81, v9, v13, v81
	;;#ASMEND
	s_nop 0
	;;#ASMSTART
	v_dot2_f32_f16 v81, v10, v14, v81
	;;#ASMEND
	s_nop 0
	;; [unrolled: 15-line block ×4, first 2 shown]
	;;#ASMSTART
	v_dot2_f32_f16 v83, v11, v43, v83
	;;#ASMEND
	global_load_ushort v0, v[44:45], off
	global_load_ushort v1, v[44:45], off offset:64
	s_barrier
	global_load_dwordx4 v[4:7], v[46:47], off
	global_load_dwordx4 v[8:11], v[94:95], off
	s_waitcnt vmcnt(3)
	v_cvt_f32_f16_e32 v0, v0
	s_waitcnt vmcnt(2)
	v_cvt_f32_f16_e32 v1, v1
	v_add_f32_e32 v12, v76, v0
	v_add_f32_e32 v13, v80, v1
	;; [unrolled: 1-line block ×14, first 2 shown]
	v_max3_f32 v0, v85, v0, v1
	v_add_f32_e32 v42, 0x40051340, v18
	v_add_f32_e32 v43, 0x40051340, v19
	v_max3_f32 v1, v84, v2, v3
	v_max3_f32 v2, v87, v40, v41
	ds_bpermute_b32 v40, v92, v0
	v_max3_f32 v3, v86, v42, v43
	ds_bpermute_b32 v41, v92, v1
	ds_bpermute_b32 v42, v92, v2
	ds_bpermute_b32 v43, v92, v3
	s_waitcnt lgkmcnt(3)
	v_max_f32_e32 v40, v40, v40
	v_max_f32_e32 v0, v0, v40
	s_waitcnt lgkmcnt(2)
	v_max_f32_e32 v41, v41, v41
	s_waitcnt lgkmcnt(1)
	v_max_f32_e32 v42, v42, v42
	s_waitcnt lgkmcnt(0)
	v_max_f32_e32 v43, v43, v43
	ds_bpermute_b32 v40, v91, v0
	v_max_f32_e32 v1, v1, v41
	v_max_f32_e32 v2, v2, v42
	v_max_f32_e32 v3, v3, v43
	ds_bpermute_b32 v41, v91, v1
	ds_bpermute_b32 v42, v91, v2
	ds_bpermute_b32 v43, v91, v3
	s_waitcnt lgkmcnt(3)
	v_max_f32_e32 v40, v40, v40
	v_max_f32_e32 v0, v0, v40
	s_waitcnt lgkmcnt(2)
	v_max_f32_e32 v41, v41, v41
	s_waitcnt lgkmcnt(1)
	v_max_f32_e32 v42, v42, v42
	s_waitcnt lgkmcnt(0)
	v_max_f32_e32 v43, v43, v43
	ds_bpermute_b32 v40, v90, v0
	v_max_f32_e32 v1, v1, v41
	v_max_f32_e32 v2, v2, v42
	v_max_f32_e32 v3, v3, v43
	;; [unrolled: 16-line block ×4, first 2 shown]
	ds_bpermute_b32 v41, v88, v1
	ds_bpermute_b32 v42, v88, v2
	;; [unrolled: 1-line block ×3, first 2 shown]
	s_waitcnt lgkmcnt(3)
	v_max_f32_e32 v40, v40, v40
	v_max_f32_e32 v0, v0, v40
	s_waitcnt lgkmcnt(2)
	v_max_f32_e32 v41, v41, v41
	s_waitcnt lgkmcnt(1)
	;; [unrolled: 2-line block ×3, first 2 shown]
	v_max_f32_e32 v43, v43, v43
	v_sub_f32_e32 v12, v12, v0
	v_sub_f32_e32 v13, v13, v0
	v_max_f32_e32 v1, v1, v41
	v_max_f32_e32 v2, v2, v42
	;; [unrolled: 1-line block ×3, first 2 shown]
	v_mul_f32_e32 v40, 0x3fb8aa3b, v12
	v_mul_f32_e32 v41, 0x3fb8aa3b, v13
	v_sub_f32_e32 v14, v14, v1
	v_sub_f32_e32 v15, v15, v1
	;; [unrolled: 1-line block ×6, first 2 shown]
	v_fma_f32 v76, v12, s40, -v40
	v_fma_f32 v77, v13, s40, -v41
	v_rndne_f32_e32 v88, v40
	v_rndne_f32_e32 v89, v41
	v_mul_f32_e32 v42, 0x3fb8aa3b, v14
	v_mul_f32_e32 v43, 0x3fb8aa3b, v15
	;; [unrolled: 1-line block ×6, first 2 shown]
	v_fmac_f32_e32 v76, 0x32a5705f, v12
	v_sub_f32_e32 v40, v40, v88
	v_fmac_f32_e32 v77, 0x32a5705f, v13
	v_sub_f32_e32 v41, v41, v89
	v_fma_f32 v78, v14, s40, -v42
	v_fma_f32 v79, v15, s40, -v43
	;; [unrolled: 1-line block ×6, first 2 shown]
	v_rndne_f32_e32 v90, v42
	v_rndne_f32_e32 v91, v43
	;; [unrolled: 1-line block ×4, first 2 shown]
	v_add_f32_e32 v40, v40, v76
	v_rndne_f32_e32 v76, v46
	v_add_f32_e32 v41, v41, v77
	v_rndne_f32_e32 v77, v47
	v_fmac_f32_e32 v78, 0x32a5705f, v14
	v_fmac_f32_e32 v79, 0x32a5705f, v15
	v_fmac_f32_e32 v80, 0x32a5705f, v16
	v_fmac_f32_e32 v81, 0x32a5705f, v17
	v_fmac_f32_e32 v82, 0x32a5705f, v18
	v_fmac_f32_e32 v83, 0x32a5705f, v19
	v_sub_f32_e32 v42, v42, v90
	v_sub_f32_e32 v43, v43, v91
	v_sub_f32_e32 v44, v44, v92
	v_sub_f32_e32 v45, v45, v93
	v_sub_f32_e32 v46, v46, v76
	v_sub_f32_e32 v47, v47, v77
	v_add_f32_e32 v42, v42, v78
	v_add_f32_e32 v43, v43, v79
	;; [unrolled: 1-line block ×6, first 2 shown]
	v_cvt_i32_f32_e32 v88, v88
	v_cvt_i32_f32_e32 v89, v89
	;; [unrolled: 1-line block ×8, first 2 shown]
	v_exp_f32_e32 v40, v40
	v_exp_f32_e32 v41, v41
	;; [unrolled: 1-line block ×8, first 2 shown]
	v_ldexp_f32 v42, v42, v90
	v_cmp_ngt_f32_e32 vcc, s41, v14
	v_ldexp_f32 v44, v44, v92
	v_cmp_ngt_f32_e64 s[4:5], s41, v16
	v_ldexp_f32 v43, v43, v91
	v_cmp_ngt_f32_e64 s[6:7], s41, v15
	;; [unrolled: 2-line block ×7, first 2 shown]
	s_nop 1
	v_cndmask_b32_e64 v41, 0, v41, s[16:17]
	v_cmp_nlt_f32_e64 s[16:17], s42, v13
	v_cndmask_b32_e32 v13, 0, v42, vcc
	v_cmp_nlt_f32_e32 vcc, s42, v14
	v_cndmask_b32_e64 v14, 0, v43, s[6:7]
	v_cmp_nlt_f32_e64 s[6:7], s42, v15
	v_cndmask_b32_e64 v15, 0, v44, s[4:5]
	v_cmp_nlt_f32_e64 s[4:5], s42, v16
	;; [unrolled: 2-line block ×6, first 2 shown]
	v_cndmask_b32_e64 v42, v63, v41, s[16:17]
	v_cndmask_b32_e32 v41, v63, v13, vcc
	v_cndmask_b32_e64 v40, v63, v19, s[10:11]
	v_cndmask_b32_e64 v43, v63, v14, s[6:7]
	;; [unrolled: 1-line block ×6, first 2 shown]
	v_cvt_pk_f16_f32 v13, v44, v45
	v_cvt_pk_f16_f32 v12, v40, v41
	;; [unrolled: 1-line block ×4, first 2 shown]
	ds_write2_b64 v64, v[12:13], v[14:15] offset1:32
	s_waitcnt vmcnt(1)
	ds_write_b128 v61, v[4:7]
	s_waitcnt vmcnt(0)
	ds_write_b128 v62, v[8:11]
	s_waitcnt lgkmcnt(0)
	s_barrier
	ds_read_b128 v[4:7], v60
	ds_read_b128 v[8:11], v60 offset:16
	ds_read_b128 v[12:15], v60 offset:32
	;; [unrolled: 1-line block ×3, first 2 shown]
	s_waitcnt lgkmcnt(3)
	v_mul_u32_u24_sdwa v76, v4, s43 dst_sel:DWORD dst_unused:UNUSED_PAD src0_sel:WORD_0 src1_sel:DWORD
	v_mul_u32_u24_sdwa v77, v4, s43 dst_sel:DWORD dst_unused:UNUSED_PAD src0_sel:WORD_1 src1_sel:DWORD
	v_mul_u32_u24_sdwa v78, v5, s43 dst_sel:DWORD dst_unused:UNUSED_PAD src0_sel:WORD_0 src1_sel:DWORD
	v_mul_u32_u24_sdwa v79, v5, s43 dst_sel:DWORD dst_unused:UNUSED_PAD src0_sel:WORD_1 src1_sel:DWORD
	;; [unrolled: 2-line block ×4, first 2 shown]
	s_waitcnt lgkmcnt(2)
	v_mul_u32_u24_sdwa v88, v8, s43 dst_sel:DWORD dst_unused:UNUSED_PAD src0_sel:WORD_0 src1_sel:DWORD
	v_mul_u32_u24_sdwa v89, v8, s43 dst_sel:DWORD dst_unused:UNUSED_PAD src0_sel:WORD_1 src1_sel:DWORD
	v_mul_u32_u24_sdwa v90, v9, s43 dst_sel:DWORD dst_unused:UNUSED_PAD src0_sel:WORD_0 src1_sel:DWORD
	v_mul_u32_u24_sdwa v91, v9, s43 dst_sel:DWORD dst_unused:UNUSED_PAD src0_sel:WORD_1 src1_sel:DWORD
	;; [unrolled: 2-line block ×4, first 2 shown]
	ds_read_b128 v[4:7], v60 offset:64
	ds_read_b128 v[8:11], v60 offset:80
	s_waitcnt lgkmcnt(3)
	v_mul_u32_u24_sdwa v96, v12, s43 dst_sel:DWORD dst_unused:UNUSED_PAD src0_sel:WORD_0 src1_sel:DWORD
	v_mul_u32_u24_sdwa v97, v12, s43 dst_sel:DWORD dst_unused:UNUSED_PAD src0_sel:WORD_1 src1_sel:DWORD
	v_sub_f32_e32 v12, v87, v2
	v_mul_u32_u24_sdwa v98, v13, s43 dst_sel:DWORD dst_unused:UNUSED_PAD src0_sel:WORD_0 src1_sel:DWORD
	v_mul_u32_u24_sdwa v99, v13, s43 dst_sel:DWORD dst_unused:UNUSED_PAD src0_sel:WORD_1 src1_sel:DWORD
	v_mul_f32_e32 v13, 0x3fb8aa3b, v12
	s_waitcnt lgkmcnt(1)
	v_mul_u32_u24_sdwa v106, v4, s43 dst_sel:DWORD dst_unused:UNUSED_PAD src0_sel:WORD_0 src1_sel:DWORD
	v_mul_u32_u24_sdwa v107, v4, s43 dst_sel:DWORD dst_unused:UNUSED_PAD src0_sel:WORD_1 src1_sel:DWORD
	v_mul_u32_u24_sdwa v108, v5, s43 dst_sel:DWORD dst_unused:UNUSED_PAD src0_sel:WORD_0 src1_sel:DWORD
	v_mul_u32_u24_sdwa v109, v5, s43 dst_sel:DWORD dst_unused:UNUSED_PAD src0_sel:WORD_1 src1_sel:DWORD
	v_pk_add_f32 v[4:5], v[40:41], v[42:43]
	v_fma_f32 v40, v12, s40, -v13
	v_rndne_f32_e32 v41, v13
	v_fmac_f32_e32 v40, 0x32a5705f, v12
	v_sub_f32_e32 v13, v13, v41
	v_add_f32_e32 v13, v13, v40
	v_sub_f32_e32 v40, v86, v3
	v_mul_f32_e32 v42, 0x3fb8aa3b, v40
	v_cvt_i32_f32_e32 v41, v41
	v_exp_f32_e32 v13, v13
	v_mul_u32_u24_sdwa v110, v6, s43 dst_sel:DWORD dst_unused:UNUSED_PAD src0_sel:WORD_0 src1_sel:DWORD
	v_mul_u32_u24_sdwa v111, v6, s43 dst_sel:DWORD dst_unused:UNUSED_PAD src0_sel:WORD_1 src1_sel:DWORD
	v_mul_u32_u24_sdwa v112, v7, s43 dst_sel:DWORD dst_unused:UNUSED_PAD src0_sel:WORD_0 src1_sel:DWORD
	v_mul_u32_u24_sdwa v113, v7, s43 dst_sel:DWORD dst_unused:UNUSED_PAD src0_sel:WORD_1 src1_sel:DWORD
	v_pk_add_f32 v[6:7], v[44:45], v[46:47]
	v_fma_f32 v43, v40, s40, -v42
	v_rndne_f32_e32 v44, v42
	v_fmac_f32_e32 v43, 0x32a5705f, v40
	v_sub_f32_e32 v42, v42, v44
	v_add_f32_e32 v42, v42, v43
	v_ldexp_f32 v13, v13, v41
	v_cvt_i32_f32_e32 v41, v44
	v_exp_f32_e32 v42, v42
	v_cmp_ngt_f32_e32 vcc, s41, v40
	v_cmp_ngt_f32_e64 s[4:5], s41, v12
	s_waitcnt lgkmcnt(0)
	v_mul_u32_u24_sdwa v47, v8, s43 dst_sel:DWORD dst_unused:UNUSED_PAD src0_sel:WORD_1 src1_sel:DWORD
	v_ldexp_f32 v41, v42, v41
	v_cndmask_b32_e32 v41, 0, v41, vcc
	v_cmp_nlt_f32_e32 vcc, s42, v40
	v_cndmask_b32_e64 v13, 0, v13, s[4:5]
	v_cmp_nlt_f32_e64 s[4:5], s42, v12
	v_mul_u32_u24_sdwa v100, v14, s43 dst_sel:DWORD dst_unused:UNUSED_PAD src0_sel:WORD_0 src1_sel:DWORD
	v_mul_u32_u24_sdwa v14, v14, s43 dst_sel:DWORD dst_unused:UNUSED_PAD src0_sel:WORD_1 src1_sel:DWORD
	v_cndmask_b32_e64 v12, v63, v13, s[4:5]
	v_cndmask_b32_e32 v13, v63, v41, vcc
	v_pk_fma_f32 v[22:23], v[22:23], v[12:13], v[6:7]
	v_sub_f32_e32 v6, v85, v0
	v_mul_f32_e32 v7, 0x3fb8aa3b, v6
	v_fma_f32 v40, v6, s40, -v7
	v_rndne_f32_e32 v41, v7
	v_fmac_f32_e32 v40, 0x32a5705f, v6
	v_sub_f32_e32 v7, v7, v41
	v_add_f32_e32 v7, v7, v40
	v_sub_f32_e32 v40, v84, v1
	v_mul_f32_e32 v42, 0x3fb8aa3b, v40
	v_cvt_i32_f32_e32 v41, v41
	v_exp_f32_e32 v7, v7
	v_fma_f32 v43, v40, s40, -v42
	v_rndne_f32_e32 v44, v42
	v_fmac_f32_e32 v43, 0x32a5705f, v40
	v_sub_f32_e32 v42, v42, v44
	v_add_f32_e32 v42, v42, v43
	v_ldexp_f32 v7, v7, v41
	v_cvt_i32_f32_e32 v41, v44
	v_exp_f32_e32 v42, v42
	v_cmp_ngt_f32_e32 vcc, s41, v40
	v_cmp_ngt_f32_e64 s[4:5], s41, v6
	v_cvt_f16_f32_e32 v12, v12
	v_ldexp_f32 v41, v42, v41
	v_cndmask_b32_e32 v41, 0, v41, vcc
	v_cmp_nlt_f32_e32 vcc, s42, v40
	v_cndmask_b32_e64 v7, 0, v7, s[4:5]
	v_cmp_nlt_f32_e64 s[4:5], s42, v6
	v_mul_u32_u24_e32 v12, 0x10001, v12
	v_mul_u32_u24_sdwa v101, v15, s43 dst_sel:DWORD dst_unused:UNUSED_PAD src0_sel:WORD_0 src1_sel:DWORD
	v_cndmask_b32_e64 v6, v63, v7, s[4:5]
	v_cndmask_b32_e32 v7, v63, v41, vcc
	v_pk_fma_f32 v[24:25], v[24:25], v[6:7], v[4:5]
	v_cvt_f16_f32_e32 v5, v13
	v_cvt_f16_f32_e32 v4, v6
	;; [unrolled: 1-line block ×3, first 2 shown]
	v_mul_u32_u24_sdwa v15, v15, s43 dst_sel:DWORD dst_unused:UNUSED_PAD src0_sel:WORD_1 src1_sel:DWORD
	v_mul_u32_u24_e32 v5, 0x10001, v5
	v_pk_mul_f16 v13, v69, v5
	v_pk_mul_f16 v41, v68, v5
	v_mul_u32_u24_e32 v42, 0x10001, v4
	ds_read2_b64 v[4:7], v50 offset1:32
	v_mul_u32_u24_e32 v40, 0x10001, v40
	v_mul_u32_u24_sdwa v68, v9, s43 dst_sel:DWORD dst_unused:UNUSED_PAD src0_sel:WORD_0 src1_sel:DWORD
	v_mul_u32_u24_sdwa v69, v9, s43 dst_sel:DWORD dst_unused:UNUSED_PAD src0_sel:WORD_1 src1_sel:DWORD
	v_mul_u32_u24_sdwa v103, v17, s43 dst_sel:DWORD dst_unused:UNUSED_PAD src0_sel:WORD_0 src1_sel:DWORD
	s_waitcnt lgkmcnt(0)
	v_pk_mul_f16 v43, v4, v76
	v_pk_mul_f16 v44, v4, v77
	;; [unrolled: 1-line block ×3, first 2 shown]
	v_pk_fma_f16 v43, v74, v42, v43
	v_pk_mul_f16 v42, v75, v42
	v_pk_fma_f16 v44, v73, v40, v44
	v_pk_mul_f16 v40, v72, v40
	;; [unrolled: 2-line block ×3, first 2 shown]
	v_pk_fma_f16 v42, v5, v76, v42
	v_pk_fma_f16 v40, v5, v77, v40
	;; [unrolled: 1-line block ×13, first 2 shown]
	ds_read2_b64 v[4:7], v50 offset0:64 offset1:96
	v_mul_u32_u24_sdwa v44, v8, s43 dst_sel:DWORD dst_unused:UNUSED_PAD src0_sel:WORD_0 src1_sel:DWORD
	v_mul_u32_u24_sdwa v70, v10, s43 dst_sel:DWORD dst_unused:UNUSED_PAD src0_sel:WORD_0 src1_sel:DWORD
	v_mul_u32_u24_sdwa v71, v10, s43 dst_sel:DWORD dst_unused:UNUSED_PAD src0_sel:WORD_1 src1_sel:DWORD
	v_mul_u32_u24_sdwa v72, v11, s43 dst_sel:DWORD dst_unused:UNUSED_PAD src0_sel:WORD_0 src1_sel:DWORD
	v_mul_u32_u24_sdwa v73, v11, s43 dst_sel:DWORD dst_unused:UNUSED_PAD src0_sel:WORD_1 src1_sel:DWORD
	s_waitcnt lgkmcnt(0)
	v_pk_fma_f16 v8, v4, v91, v12
	v_pk_fma_f16 v9, v5, v91, v13
	;; [unrolled: 1-line block ×10, first 2 shown]
	ds_read_b128 v[8:11], v60 offset:96
	v_pk_fma_f16 v5, v5, v90, v46
	v_pk_fma_f16 v4, v4, v90, v45
	;; [unrolled: 1-line block ×6, first 2 shown]
	ds_read_b128 v[4:7], v60 offset:112
	s_waitcnt lgkmcnt(1)
	v_mul_u32_u24_sdwa v74, v8, s43 dst_sel:DWORD dst_unused:UNUSED_PAD src0_sel:WORD_0 src1_sel:DWORD
	v_mul_u32_u24_sdwa v75, v8, s43 dst_sel:DWORD dst_unused:UNUSED_PAD src0_sel:WORD_1 src1_sel:DWORD
	v_mul_u32_u24_sdwa v76, v9, s43 dst_sel:DWORD dst_unused:UNUSED_PAD src0_sel:WORD_0 src1_sel:DWORD
	v_mul_u32_u24_sdwa v77, v9, s43 dst_sel:DWORD dst_unused:UNUSED_PAD src0_sel:WORD_1 src1_sel:DWORD
	;; [unrolled: 2-line block ×4, first 2 shown]
	ds_read2_b64 v[8:11], v50 offset0:128 offset1:160
	s_waitcnt lgkmcnt(1)
	v_mul_u32_u24_sdwa v82, v6, s43 dst_sel:DWORD dst_unused:UNUSED_PAD src0_sel:WORD_0 src1_sel:DWORD
	v_mul_u32_u24_sdwa v83, v6, s43 dst_sel:DWORD dst_unused:UNUSED_PAD src0_sel:WORD_1 src1_sel:DWORD
	v_mul_u32_u24_sdwa v84, v7, s43 dst_sel:DWORD dst_unused:UNUSED_PAD src0_sel:WORD_0 src1_sel:DWORD
	v_mul_u32_u24_sdwa v85, v7, s43 dst_sel:DWORD dst_unused:UNUSED_PAD src0_sel:WORD_1 src1_sel:DWORD
	s_waitcnt lgkmcnt(0)
	v_pk_fma_f16 v40, v8, v99, v40
	v_pk_fma_f16 v41, v9, v99, v41
	;; [unrolled: 1-line block ×14, first 2 shown]
	v_mul_u32_u24_sdwa v14, v4, s43 dst_sel:DWORD dst_unused:UNUSED_PAD src0_sel:WORD_0 src1_sel:DWORD
	v_mul_u32_u24_sdwa v43, v4, s43 dst_sel:DWORD dst_unused:UNUSED_PAD src0_sel:WORD_1 src1_sel:DWORD
	v_mul_u32_u24_sdwa v45, v5, s43 dst_sel:DWORD dst_unused:UNUSED_PAD src0_sel:WORD_0 src1_sel:DWORD
	v_mul_u32_u24_sdwa v46, v5, s43 dst_sel:DWORD dst_unused:UNUSED_PAD src0_sel:WORD_1 src1_sel:DWORD
	ds_read2_b64 v[4:7], v50 offset0:192 offset1:224
	v_mul_u32_u24_sdwa v17, v17, s43 dst_sel:DWORD dst_unused:UNUSED_PAD src0_sel:WORD_1 src1_sel:DWORD
	v_mul_u32_u24_sdwa v102, v16, s43 dst_sel:DWORD dst_unused:UNUSED_PAD src0_sel:WORD_0 src1_sel:DWORD
	v_mul_u32_u24_sdwa v16, v16, s43 dst_sel:DWORD dst_unused:UNUSED_PAD src0_sel:WORD_1 src1_sel:DWORD
	v_mul_u32_u24_sdwa v105, v19, s43 dst_sel:DWORD dst_unused:UNUSED_PAD src0_sel:WORD_0 src1_sel:DWORD
	v_mul_u32_u24_sdwa v19, v19, s43 dst_sel:DWORD dst_unused:UNUSED_PAD src0_sel:WORD_1 src1_sel:DWORD
	v_pk_fma_f16 v9, v11, v101, v9
	v_pk_fma_f16 v8, v10, v101, v8
	s_waitcnt lgkmcnt(0)
	v_pk_fma_f16 v10, v4, v17, v40
	v_pk_fma_f16 v11, v5, v17, v15
	;; [unrolled: 1-line block ×10, first 2 shown]
	ds_read_b128 v[8:11], v60 offset:128
	v_mul_u32_u24_sdwa v104, v18, s43 dst_sel:DWORD dst_unused:UNUSED_PAD src0_sel:WORD_0 src1_sel:DWORD
	v_mul_u32_u24_sdwa v18, v18, s43 dst_sel:DWORD dst_unused:UNUSED_PAD src0_sel:WORD_1 src1_sel:DWORD
	v_pk_fma_f16 v15, v7, v104, v15
	v_pk_fma_f16 v17, v6, v104, v17
	;; [unrolled: 1-line block ×6, first 2 shown]
	ds_read_b128 v[4:7], v60 offset:144
	s_waitcnt lgkmcnt(1)
	v_mul_u32_u24_sdwa v41, v8, s43 dst_sel:DWORD dst_unused:UNUSED_PAD src0_sel:WORD_0 src1_sel:DWORD
	v_mul_u32_u24_sdwa v42, v8, s43 dst_sel:DWORD dst_unused:UNUSED_PAD src0_sel:WORD_1 src1_sel:DWORD
	v_mul_u32_u24_sdwa v86, v9, s43 dst_sel:DWORD dst_unused:UNUSED_PAD src0_sel:WORD_0 src1_sel:DWORD
	v_mul_u32_u24_sdwa v87, v9, s43 dst_sel:DWORD dst_unused:UNUSED_PAD src0_sel:WORD_1 src1_sel:DWORD
	;; [unrolled: 2-line block ×4, first 2 shown]
	ds_read2_b64 v[8:11], v65 offset1:32
	s_waitcnt lgkmcnt(1)
	v_mul_u32_u24_sdwa v92, v5, s43 dst_sel:DWORD dst_unused:UNUSED_PAD src0_sel:WORD_0 src1_sel:DWORD
	v_mul_u32_u24_sdwa v93, v5, s43 dst_sel:DWORD dst_unused:UNUSED_PAD src0_sel:WORD_1 src1_sel:DWORD
	v_mul_u32_u24_sdwa v94, v6, s43 dst_sel:DWORD dst_unused:UNUSED_PAD src0_sel:WORD_0 src1_sel:DWORD
	v_mul_u32_u24_sdwa v95, v6, s43 dst_sel:DWORD dst_unused:UNUSED_PAD src0_sel:WORD_1 src1_sel:DWORD
	s_waitcnt lgkmcnt(0)
	v_pk_fma_f16 v19, v9, v109, v19
	v_pk_fma_f16 v16, v8, v109, v16
	;; [unrolled: 1-line block ×9, first 2 shown]
	v_mul_u32_u24_sdwa v19, v4, s43 dst_sel:DWORD dst_unused:UNUSED_PAD src0_sel:WORD_0 src1_sel:DWORD
	v_mul_u32_u24_sdwa v40, v4, s43 dst_sel:DWORD dst_unused:UNUSED_PAD src0_sel:WORD_1 src1_sel:DWORD
	v_mul_u32_u24_sdwa v96, v7, s43 dst_sel:DWORD dst_unused:UNUSED_PAD src0_sel:WORD_0 src1_sel:DWORD
	v_mul_u32_u24_sdwa v97, v7, s43 dst_sel:DWORD dst_unused:UNUSED_PAD src0_sel:WORD_1 src1_sel:DWORD
	ds_read2_b64 v[4:7], v65 offset0:64 offset1:96
	v_pk_fma_f16 v16, v10, v113, v16
	v_pk_fma_f16 v15, v11, v110, v15
	;; [unrolled: 1-line block ×7, first 2 shown]
	s_waitcnt lgkmcnt(0)
	v_pk_fma_f16 v10, v4, v69, v16
	v_pk_fma_f16 v11, v5, v69, v18
	;; [unrolled: 1-line block ×10, first 2 shown]
	ds_read_b128 v[8:11], v60 offset:160
	v_pk_fma_f16 v15, v7, v70, v15
	v_pk_fma_f16 v16, v6, v70, v16
	;; [unrolled: 1-line block ×6, first 2 shown]
	ds_read_b128 v[4:7], v60 offset:176
	s_waitcnt lgkmcnt(1)
	v_mul_u32_u24_sdwa v68, v8, s43 dst_sel:DWORD dst_unused:UNUSED_PAD src0_sel:WORD_0 src1_sel:DWORD
	v_mul_u32_u24_sdwa v69, v8, s43 dst_sel:DWORD dst_unused:UNUSED_PAD src0_sel:WORD_1 src1_sel:DWORD
	v_mul_u32_u24_sdwa v70, v9, s43 dst_sel:DWORD dst_unused:UNUSED_PAD src0_sel:WORD_0 src1_sel:DWORD
	v_mul_u32_u24_sdwa v71, v9, s43 dst_sel:DWORD dst_unused:UNUSED_PAD src0_sel:WORD_1 src1_sel:DWORD
	;; [unrolled: 2-line block ×4, first 2 shown]
	ds_read2_b64 v[8:11], v65 offset0:128 offset1:160
	s_or_b32 s4, s2, 32
	s_mul_hi_i32 s5, s4, s22
	s_mul_i32 s4, s4, s22
	s_lshl_b64 s[4:5], s[4:5], 2
	s_waitcnt lgkmcnt(0)
	v_pk_fma_f16 v15, v9, v74, v15
	v_pk_fma_f16 v16, v8, v74, v16
	;; [unrolled: 1-line block ×12, first 2 shown]
	v_mul_u32_u24_sdwa v44, v4, s43 dst_sel:DWORD dst_unused:UNUSED_PAD src0_sel:WORD_0 src1_sel:DWORD
	v_mul_u32_u24_sdwa v47, v4, s43 dst_sel:DWORD dst_unused:UNUSED_PAD src0_sel:WORD_1 src1_sel:DWORD
	v_mul_u32_u24_sdwa v74, v5, s43 dst_sel:DWORD dst_unused:UNUSED_PAD src0_sel:WORD_0 src1_sel:DWORD
	v_mul_u32_u24_sdwa v75, v5, s43 dst_sel:DWORD dst_unused:UNUSED_PAD src0_sel:WORD_1 src1_sel:DWORD
	;; [unrolled: 2-line block ×4, first 2 shown]
	ds_read2_b64 v[4:7], v65 offset0:192 offset1:224
	v_pk_fma_f16 v17, v10, v81, v17
	v_pk_fma_f16 v18, v11, v81, v18
	;; [unrolled: 1-line block ×4, first 2 shown]
	s_waitcnt lgkmcnt(0)
	v_pk_fma_f16 v10, v4, v46, v17
	v_pk_fma_f16 v11, v5, v46, v18
	;; [unrolled: 1-line block ×10, first 2 shown]
	ds_read_b128 v[8:11], v60 offset:192
	v_pk_fma_f16 v15, v7, v82, v15
	v_pk_fma_f16 v14, v6, v82, v14
	;; [unrolled: 1-line block ×6, first 2 shown]
	ds_read_b128 v[4:7], v60 offset:208
	s_waitcnt lgkmcnt(1)
	v_mul_u32_u24_sdwa v45, v8, s43 dst_sel:DWORD dst_unused:UNUSED_PAD src0_sel:WORD_0 src1_sel:DWORD
	v_mul_u32_u24_sdwa v46, v8, s43 dst_sel:DWORD dst_unused:UNUSED_PAD src0_sel:WORD_1 src1_sel:DWORD
	v_mul_u32_u24_sdwa v80, v9, s43 dst_sel:DWORD dst_unused:UNUSED_PAD src0_sel:WORD_0 src1_sel:DWORD
	v_mul_u32_u24_sdwa v81, v9, s43 dst_sel:DWORD dst_unused:UNUSED_PAD src0_sel:WORD_1 src1_sel:DWORD
	;; [unrolled: 2-line block ×4, first 2 shown]
	ds_read2_b64 v[8:11], v66 offset1:32
	s_add_u32 s4, s35, s4
	s_addc_u32 s5, s37, s5
	s_waitcnt lgkmcnt(0)
	v_pk_fma_f16 v16, v8, v87, v16
	v_pk_fma_f16 v17, v9, v87, v17
	;; [unrolled: 1-line block ×14, first 2 shown]
	v_mul_u32_u24_sdwa v42, v4, s43 dst_sel:DWORD dst_unused:UNUSED_PAD src0_sel:WORD_0 src1_sel:DWORD
	v_pk_fma_f16 v9, v11, v90, v9
	v_pk_fma_f16 v8, v10, v90, v8
	v_mul_u32_u24_sdwa v86, v4, s43 dst_sel:DWORD dst_unused:UNUSED_PAD src0_sel:WORD_1 src1_sel:DWORD
	v_mul_u32_u24_sdwa v87, v5, s43 dst_sel:DWORD dst_unused:UNUSED_PAD src0_sel:WORD_0 src1_sel:DWORD
	v_mul_u32_u24_sdwa v43, v5, s43 dst_sel:DWORD dst_unused:UNUSED_PAD src0_sel:WORD_1 src1_sel:DWORD
	v_mul_u32_u24_sdwa v88, v6, s43 dst_sel:DWORD dst_unused:UNUSED_PAD src0_sel:WORD_0 src1_sel:DWORD
	v_mul_u32_u24_sdwa v89, v6, s43 dst_sel:DWORD dst_unused:UNUSED_PAD src0_sel:WORD_1 src1_sel:DWORD
	v_mul_u32_u24_sdwa v90, v7, s43 dst_sel:DWORD dst_unused:UNUSED_PAD src0_sel:WORD_0 src1_sel:DWORD
	v_mul_u32_u24_sdwa v91, v7, s43 dst_sel:DWORD dst_unused:UNUSED_PAD src0_sel:WORD_1 src1_sel:DWORD
	ds_read2_b64 v[4:7], v66 offset0:64 offset1:96
	s_waitcnt lgkmcnt(0)
	v_pk_fma_f16 v10, v4, v93, v16
	v_pk_fma_f16 v11, v5, v93, v17
	v_pk_fma_f16 v15, v5, v19, v15
	v_pk_fma_f16 v14, v4, v19, v14
	v_pk_fma_f16 v12, v5, v40, v12
	v_pk_fma_f16 v5, v5, v92, v9
	v_pk_fma_f16 v13, v4, v40, v13
	v_pk_fma_f16 v4, v4, v92, v8
	v_pk_fma_f16 v16, v6, v97, v10
	v_pk_fma_f16 v17, v7, v97, v11
	ds_read_b128 v[8:11], v60 offset:224
	v_pk_fma_f16 v15, v7, v94, v15
	v_pk_fma_f16 v14, v6, v94, v14
	;; [unrolled: 1-line block ×6, first 2 shown]
	ds_read_b128 v[4:7], v60 offset:240
	s_waitcnt lgkmcnt(1)
	v_mul_u32_u24_sdwa v92, v8, s43 dst_sel:DWORD dst_unused:UNUSED_PAD src0_sel:WORD_0 src1_sel:DWORD
	v_mul_u32_u24_sdwa v93, v8, s43 dst_sel:DWORD dst_unused:UNUSED_PAD src0_sel:WORD_1 src1_sel:DWORD
	v_mul_u32_u24_sdwa v94, v9, s43 dst_sel:DWORD dst_unused:UNUSED_PAD src0_sel:WORD_0 src1_sel:DWORD
	v_mul_u32_u24_sdwa v95, v9, s43 dst_sel:DWORD dst_unused:UNUSED_PAD src0_sel:WORD_1 src1_sel:DWORD
	;; [unrolled: 2-line block ×4, first 2 shown]
	ds_read2_b64 v[8:11], v66 offset0:128 offset1:160
	s_waitcnt lgkmcnt(0)
	v_pk_fma_f16 v16, v8, v71, v16
	v_pk_fma_f16 v17, v9, v71, v17
	;; [unrolled: 1-line block ×14, first 2 shown]
	v_mul_u32_u24_sdwa v68, v4, s43 dst_sel:DWORD dst_unused:UNUSED_PAD src0_sel:WORD_0 src1_sel:DWORD
	v_pk_fma_f16 v9, v11, v98, v9
	v_pk_fma_f16 v8, v10, v98, v8
	v_mul_u32_u24_sdwa v69, v4, s43 dst_sel:DWORD dst_unused:UNUSED_PAD src0_sel:WORD_1 src1_sel:DWORD
	v_mul_u32_u24_sdwa v70, v5, s43 dst_sel:DWORD dst_unused:UNUSED_PAD src0_sel:WORD_0 src1_sel:DWORD
	v_mul_u32_u24_sdwa v71, v5, s43 dst_sel:DWORD dst_unused:UNUSED_PAD src0_sel:WORD_1 src1_sel:DWORD
	v_mul_u32_u24_sdwa v72, v6, s43 dst_sel:DWORD dst_unused:UNUSED_PAD src0_sel:WORD_0 src1_sel:DWORD
	;; [unrolled: 2-line block ×3, first 2 shown]
	v_mul_u32_u24_sdwa v99, v7, s43 dst_sel:DWORD dst_unused:UNUSED_PAD src0_sel:WORD_1 src1_sel:DWORD
	ds_read2_b64 v[4:7], v66 offset0:192 offset1:224
	s_waitcnt lgkmcnt(0)
	v_pk_fma_f16 v10, v4, v75, v16
	v_pk_fma_f16 v11, v5, v75, v17
	;; [unrolled: 1-line block ×8, first 2 shown]
	v_lshl_add_u64 v[4:5], s[4:5], 0, v[34:35]
	v_pk_fma_f16 v10, v6, v79, v10
	v_pk_fma_f16 v11, v7, v79, v11
	;; [unrolled: 1-line block ×4, first 2 shown]
	v_lshl_add_u64 v[16:17], v[4:5], 0, v[36:37]
	v_pk_fma_f16 v12, v7, v77, v12
	v_pk_fma_f16 v18, v7, v78, v18
	;; [unrolled: 1-line block ×4, first 2 shown]
	ds_read2_b64 v[4:7], v67 offset1:32
	v_lshl_add_u64 v[8:9], s[4:5], 0, v[38:39]
	v_lshl_add_u64 v[40:41], v[8:9], 0, v[36:37]
	s_waitcnt lgkmcnt(0)
	v_pk_fma_f16 v44, v4, v81, v10
	v_pk_fma_f16 v47, v5, v81, v11
	ds_read2_b64 v[8:11], v67 offset0:64 offset1:96
	v_pk_fma_f16 v15, v5, v45, v15
	v_pk_fma_f16 v14, v4, v45, v14
	;; [unrolled: 1-line block ×10, first 2 shown]
	ds_read2_b64 v[12:15], v67 offset0:128 offset1:160
	v_pk_fma_f16 v45, v7, v83, v45
	v_pk_fma_f16 v75, v7, v84, v5
	;; [unrolled: 1-line block ×4, first 2 shown]
	ds_read2_b64 v[4:7], v67 offset0:192 offset1:224
	s_waitcnt lgkmcnt(0)
	s_barrier
	global_load_dwordx4 v[16:19], v[16:17], off
	v_pk_fma_f16 v44, v8, v43, v44
	v_pk_fma_f16 v46, v9, v43, v46
	;; [unrolled: 1-line block ×4, first 2 shown]
	global_load_dwordx4 v[40:43], v[40:41], off
	v_pk_fma_f16 v45, v9, v86, v45
	v_pk_fma_f16 v9, v9, v87, v75
	;; [unrolled: 1-line block ×44, first 2 shown]
	s_waitcnt vmcnt(1)
	ds_write_b128 v61, v[16:19]
	s_waitcnt vmcnt(0)
	ds_write_b128 v62, v[40:43]
	s_waitcnt lgkmcnt(0)
	s_barrier
	ds_read_b128 v[4:7], v60 offset:256
	ds_read_b128 v[8:11], v60 offset:272
	;; [unrolled: 1-line block ×5, first 2 shown]
	s_waitcnt lgkmcnt(4)
	v_mul_u32_u24_sdwa v72, v4, s43 dst_sel:DWORD dst_unused:UNUSED_PAD src0_sel:WORD_0 src1_sel:DWORD
	s_waitcnt lgkmcnt(3)
	v_mul_u32_u24_sdwa v80, v8, s43 dst_sel:DWORD dst_unused:UNUSED_PAD src0_sel:WORD_0 src1_sel:DWORD
	v_mul_u32_u24_sdwa v81, v8, s43 dst_sel:DWORD dst_unused:UNUSED_PAD src0_sel:WORD_1 src1_sel:DWORD
	v_mul_u32_u24_sdwa v82, v9, s43 dst_sel:DWORD dst_unused:UNUSED_PAD src0_sel:WORD_0 src1_sel:DWORD
	v_mul_u32_u24_sdwa v83, v9, s43 dst_sel:DWORD dst_unused:UNUSED_PAD src0_sel:WORD_1 src1_sel:DWORD
	;; [unrolled: 2-line block ×4, first 2 shown]
	ds_read2_b64 v[8:11], v50 offset1:32
	v_mul_u32_u24_sdwa v73, v4, s43 dst_sel:DWORD dst_unused:UNUSED_PAD src0_sel:WORD_1 src1_sel:DWORD
	v_mul_u32_u24_sdwa v74, v5, s43 dst_sel:DWORD dst_unused:UNUSED_PAD src0_sel:WORD_0 src1_sel:DWORD
	v_mul_u32_u24_sdwa v75, v5, s43 dst_sel:DWORD dst_unused:UNUSED_PAD src0_sel:WORD_1 src1_sel:DWORD
	v_mul_u32_u24_sdwa v76, v6, s43 dst_sel:DWORD dst_unused:UNUSED_PAD src0_sel:WORD_0 src1_sel:DWORD
	;; [unrolled: 2-line block ×3, first 2 shown]
	v_mul_u32_u24_sdwa v79, v7, s43 dst_sel:DWORD dst_unused:UNUSED_PAD src0_sel:WORD_1 src1_sel:DWORD
	ds_read_b128 v[4:7], v60 offset:336
	s_waitcnt lgkmcnt(1)
	v_pk_fma_f16 v69, v8, v72, v69
	v_pk_fma_f16 v45, v9, v72, v45
	;; [unrolled: 1-line block ×13, first 2 shown]
	s_waitcnt lgkmcnt(0)
	v_mul_u32_u24_sdwa v70, v4, s43 dst_sel:DWORD dst_unused:UNUSED_PAD src0_sel:WORD_0 src1_sel:DWORD
	v_mul_u32_u24_sdwa v71, v4, s43 dst_sel:DWORD dst_unused:UNUSED_PAD src0_sel:WORD_1 src1_sel:DWORD
	v_mul_u32_u24_sdwa v72, v5, s43 dst_sel:DWORD dst_unused:UNUSED_PAD src0_sel:WORD_0 src1_sel:DWORD
	v_mul_u32_u24_sdwa v73, v5, s43 dst_sel:DWORD dst_unused:UNUSED_PAD src0_sel:WORD_1 src1_sel:DWORD
	;; [unrolled: 2-line block ×4, first 2 shown]
	ds_read2_b64 v[4:7], v50 offset0:64 offset1:96
	v_pk_fma_f16 v47, v11, v78, v47
	v_pk_fma_f16 v8, v10, v79, v8
	;; [unrolled: 1-line block ×3, first 2 shown]
	v_mul_u32_u24_sdwa v88, v12, s43 dst_sel:DWORD dst_unused:UNUSED_PAD src0_sel:WORD_0 src1_sel:DWORD
	s_waitcnt lgkmcnt(0)
	v_pk_fma_f16 v10, v4, v80, v44
	v_pk_fma_f16 v11, v5, v80, v45
	;; [unrolled: 1-line block ×10, first 2 shown]
	ds_read_b128 v[8:11], v60 offset:352
	v_pk_fma_f16 v44, v6, v85, v44
	v_pk_fma_f16 v45, v7, v85, v45
	;; [unrolled: 1-line block ×6, first 2 shown]
	ds_read_b128 v[4:7], v60 offset:368
	s_waitcnt lgkmcnt(1)
	v_mul_u32_u24_sdwa v80, v8, s43 dst_sel:DWORD dst_unused:UNUSED_PAD src0_sel:WORD_0 src1_sel:DWORD
	v_mul_u32_u24_sdwa v81, v8, s43 dst_sel:DWORD dst_unused:UNUSED_PAD src0_sel:WORD_1 src1_sel:DWORD
	v_mul_u32_u24_sdwa v82, v9, s43 dst_sel:DWORD dst_unused:UNUSED_PAD src0_sel:WORD_0 src1_sel:DWORD
	v_mul_u32_u24_sdwa v83, v9, s43 dst_sel:DWORD dst_unused:UNUSED_PAD src0_sel:WORD_1 src1_sel:DWORD
	;; [unrolled: 2-line block ×4, first 2 shown]
	ds_read2_b64 v[8:11], v50 offset0:128 offset1:160
	v_mul_u32_u24_sdwa v12, v12, s43 dst_sel:DWORD dst_unused:UNUSED_PAD src0_sel:WORD_1 src1_sel:DWORD
	v_mul_u32_u24_sdwa v89, v13, s43 dst_sel:DWORD dst_unused:UNUSED_PAD src0_sel:WORD_0 src1_sel:DWORD
	v_mul_u32_u24_sdwa v13, v13, s43 dst_sel:DWORD dst_unused:UNUSED_PAD src0_sel:WORD_1 src1_sel:DWORD
	v_mul_u32_u24_sdwa v90, v14, s43 dst_sel:DWORD dst_unused:UNUSED_PAD src0_sel:WORD_0 src1_sel:DWORD
	;; [unrolled: 2-line block ×3, first 2 shown]
	v_mul_u32_u24_sdwa v15, v15, s43 dst_sel:DWORD dst_unused:UNUSED_PAD src0_sel:WORD_1 src1_sel:DWORD
	s_waitcnt lgkmcnt(0)
	v_pk_fma_f16 v68, v8, v88, v68
	v_pk_fma_f16 v69, v9, v88, v69
	;; [unrolled: 1-line block ×14, first 2 shown]
	v_mul_u32_u24_sdwa v46, v4, s43 dst_sel:DWORD dst_unused:UNUSED_PAD src0_sel:WORD_0 src1_sel:DWORD
	v_pk_fma_f16 v8, v10, v15, v8
	v_pk_fma_f16 v9, v11, v15, v9
	v_mul_u32_u24_sdwa v15, v4, s43 dst_sel:DWORD dst_unused:UNUSED_PAD src0_sel:WORD_1 src1_sel:DWORD
	v_mul_u32_u24_sdwa v68, v5, s43 dst_sel:DWORD dst_unused:UNUSED_PAD src0_sel:WORD_0 src1_sel:DWORD
	v_mul_u32_u24_sdwa v69, v5, s43 dst_sel:DWORD dst_unused:UNUSED_PAD src0_sel:WORD_1 src1_sel:DWORD
	v_mul_u32_u24_sdwa v78, v6, s43 dst_sel:DWORD dst_unused:UNUSED_PAD src0_sel:WORD_0 src1_sel:DWORD
	;; [unrolled: 2-line block ×3, first 2 shown]
	v_mul_u32_u24_sdwa v89, v7, s43 dst_sel:DWORD dst_unused:UNUSED_PAD src0_sel:WORD_1 src1_sel:DWORD
	ds_read2_b64 v[4:7], v50 offset0:192 offset1:224
	v_mul_u32_u24_sdwa v92, v16, s43 dst_sel:DWORD dst_unused:UNUSED_PAD src0_sel:WORD_0 src1_sel:DWORD
	v_mul_u32_u24_sdwa v16, v16, s43 dst_sel:DWORD dst_unused:UNUSED_PAD src0_sel:WORD_1 src1_sel:DWORD
	v_mul_u32_u24_sdwa v93, v17, s43 dst_sel:DWORD dst_unused:UNUSED_PAD src0_sel:WORD_0 src1_sel:DWORD
	v_mul_u32_u24_sdwa v17, v17, s43 dst_sel:DWORD dst_unused:UNUSED_PAD src0_sel:WORD_1 src1_sel:DWORD
	v_mul_u32_u24_sdwa v94, v18, s43 dst_sel:DWORD dst_unused:UNUSED_PAD src0_sel:WORD_0 src1_sel:DWORD
	s_waitcnt lgkmcnt(0)
	v_pk_fma_f16 v10, v4, v92, v13
	v_pk_fma_f16 v11, v5, v92, v47
	v_pk_fma_f16 v13, v4, v16, v44
	v_pk_fma_f16 v12, v5, v16, v12
	v_pk_fma_f16 v14, v4, v93, v14
	v_pk_fma_f16 v16, v5, v93, v45
	v_pk_fma_f16 v4, v4, v17, v8
	v_pk_fma_f16 v5, v5, v17, v9
	v_pk_fma_f16 v17, v6, v94, v10
	v_pk_fma_f16 v44, v7, v94, v11
	ds_read_b128 v[8:11], v60 offset:384
	v_mul_u32_u24_sdwa v18, v18, s43 dst_sel:DWORD dst_unused:UNUSED_PAD src0_sel:WORD_1 src1_sel:DWORD
	v_mul_u32_u24_sdwa v95, v19, s43 dst_sel:DWORD dst_unused:UNUSED_PAD src0_sel:WORD_0 src1_sel:DWORD
	v_mul_u32_u24_sdwa v19, v19, s43 dst_sel:DWORD dst_unused:UNUSED_PAD src0_sel:WORD_1 src1_sel:DWORD
	v_pk_fma_f16 v13, v6, v18, v13
	v_pk_fma_f16 v12, v7, v18, v12
	;; [unrolled: 1-line block ×6, first 2 shown]
	ds_read_b128 v[4:7], v60 offset:400
	s_waitcnt lgkmcnt(1)
	v_mul_u32_u24_sdwa v45, v8, s43 dst_sel:DWORD dst_unused:UNUSED_PAD src0_sel:WORD_0 src1_sel:DWORD
	v_mul_u32_u24_sdwa v47, v8, s43 dst_sel:DWORD dst_unused:UNUSED_PAD src0_sel:WORD_1 src1_sel:DWORD
	v_mul_u32_u24_sdwa v90, v9, s43 dst_sel:DWORD dst_unused:UNUSED_PAD src0_sel:WORD_0 src1_sel:DWORD
	v_mul_u32_u24_sdwa v91, v9, s43 dst_sel:DWORD dst_unused:UNUSED_PAD src0_sel:WORD_1 src1_sel:DWORD
	;; [unrolled: 2-line block ×4, first 2 shown]
	ds_read2_b64 v[8:11], v65 offset1:32
	v_mul_u32_u24_sdwa v96, v40, s43 dst_sel:DWORD dst_unused:UNUSED_PAD src0_sel:WORD_0 src1_sel:DWORD
	v_mul_u32_u24_sdwa v40, v40, s43 dst_sel:DWORD dst_unused:UNUSED_PAD src0_sel:WORD_1 src1_sel:DWORD
	v_mul_u32_u24_sdwa v97, v41, s43 dst_sel:DWORD dst_unused:UNUSED_PAD src0_sel:WORD_0 src1_sel:DWORD
	v_mul_u32_u24_sdwa v41, v41, s43 dst_sel:DWORD dst_unused:UNUSED_PAD src0_sel:WORD_1 src1_sel:DWORD
	;; [unrolled: 2-line block ×4, first 2 shown]
	s_waitcnt lgkmcnt(0)
	v_pk_fma_f16 v17, v8, v96, v17
	v_pk_fma_f16 v44, v9, v96, v44
	;; [unrolled: 1-line block ×11, first 2 shown]
	v_mul_u32_u24_sdwa v19, v4, s43 dst_sel:DWORD dst_unused:UNUSED_PAD src0_sel:WORD_0 src1_sel:DWORD
	v_pk_fma_f16 v8, v10, v43, v8
	v_pk_fma_f16 v9, v11, v43, v9
	v_mul_u32_u24_sdwa v40, v4, s43 dst_sel:DWORD dst_unused:UNUSED_PAD src0_sel:WORD_1 src1_sel:DWORD
	v_mul_u32_u24_sdwa v41, v5, s43 dst_sel:DWORD dst_unused:UNUSED_PAD src0_sel:WORD_0 src1_sel:DWORD
	v_mul_u32_u24_sdwa v42, v5, s43 dst_sel:DWORD dst_unused:UNUSED_PAD src0_sel:WORD_1 src1_sel:DWORD
	v_mul_u32_u24_sdwa v43, v6, s43 dst_sel:DWORD dst_unused:UNUSED_PAD src0_sel:WORD_0 src1_sel:DWORD
	;; [unrolled: 2-line block ×3, first 2 shown]
	v_mul_u32_u24_sdwa v97, v7, s43 dst_sel:DWORD dst_unused:UNUSED_PAD src0_sel:WORD_1 src1_sel:DWORD
	ds_read2_b64 v[4:7], v65 offset0:64 offset1:96
	v_pk_fma_f16 v17, v10, v98, v17
	v_pk_fma_f16 v14, v10, v99, v14
	v_pk_fma_f16 v16, v11, v99, v16
	s_waitcnt lgkmcnt(0)
	v_pk_fma_f16 v10, v4, v70, v17
	v_pk_fma_f16 v11, v5, v70, v18
	;; [unrolled: 1-line block ×10, first 2 shown]
	ds_read_b128 v[8:11], v60 offset:416
	v_pk_fma_f16 v13, v6, v75, v13
	v_pk_fma_f16 v12, v7, v75, v12
	;; [unrolled: 1-line block ×6, first 2 shown]
	ds_read_b128 v[4:7], v60 offset:432
	s_waitcnt lgkmcnt(1)
	v_mul_u32_u24_sdwa v72, v8, s43 dst_sel:DWORD dst_unused:UNUSED_PAD src0_sel:WORD_0 src1_sel:DWORD
	v_mul_u32_u24_sdwa v73, v8, s43 dst_sel:DWORD dst_unused:UNUSED_PAD src0_sel:WORD_1 src1_sel:DWORD
	v_mul_u32_u24_sdwa v74, v9, s43 dst_sel:DWORD dst_unused:UNUSED_PAD src0_sel:WORD_0 src1_sel:DWORD
	v_mul_u32_u24_sdwa v75, v9, s43 dst_sel:DWORD dst_unused:UNUSED_PAD src0_sel:WORD_1 src1_sel:DWORD
	;; [unrolled: 2-line block ×4, first 2 shown]
	ds_read2_b64 v[8:11], v65 offset0:128 offset1:160
	s_waitcnt lgkmcnt(0)
	v_pk_fma_f16 v17, v8, v80, v17
	v_pk_fma_f16 v18, v9, v80, v18
	;; [unrolled: 1-line block ×12, first 2 shown]
	v_mul_u32_u24_sdwa v70, v4, s43 dst_sel:DWORD dst_unused:UNUSED_PAD src0_sel:WORD_0 src1_sel:DWORD
	v_mul_u32_u24_sdwa v71, v4, s43 dst_sel:DWORD dst_unused:UNUSED_PAD src0_sel:WORD_1 src1_sel:DWORD
	v_mul_u32_u24_sdwa v80, v5, s43 dst_sel:DWORD dst_unused:UNUSED_PAD src0_sel:WORD_0 src1_sel:DWORD
	v_mul_u32_u24_sdwa v81, v5, s43 dst_sel:DWORD dst_unused:UNUSED_PAD src0_sel:WORD_1 src1_sel:DWORD
	;; [unrolled: 2-line block ×4, first 2 shown]
	ds_read2_b64 v[4:7], v65 offset0:192 offset1:224
	v_pk_fma_f16 v14, v10, v86, v14
	v_pk_fma_f16 v16, v11, v86, v16
	;; [unrolled: 1-line block ×4, first 2 shown]
	s_waitcnt lgkmcnt(0)
	v_pk_fma_f16 v10, v4, v46, v17
	v_pk_fma_f16 v11, v5, v46, v18
	;; [unrolled: 1-line block ×10, first 2 shown]
	ds_read_b128 v[8:11], v60 offset:448
	v_pk_fma_f16 v13, v6, v79, v13
	v_pk_fma_f16 v12, v7, v79, v12
	;; [unrolled: 1-line block ×6, first 2 shown]
	ds_read_b128 v[4:7], v60 offset:464
	s_waitcnt lgkmcnt(1)
	v_mul_u32_u24_sdwa v68, v8, s43 dst_sel:DWORD dst_unused:UNUSED_PAD src0_sel:WORD_0 src1_sel:DWORD
	v_mul_u32_u24_sdwa v69, v8, s43 dst_sel:DWORD dst_unused:UNUSED_PAD src0_sel:WORD_1 src1_sel:DWORD
	v_mul_u32_u24_sdwa v78, v9, s43 dst_sel:DWORD dst_unused:UNUSED_PAD src0_sel:WORD_0 src1_sel:DWORD
	v_mul_u32_u24_sdwa v79, v9, s43 dst_sel:DWORD dst_unused:UNUSED_PAD src0_sel:WORD_1 src1_sel:DWORD
	;; [unrolled: 2-line block ×4, first 2 shown]
	ds_read2_b64 v[8:11], v66 offset1:32
	s_waitcnt lgkmcnt(0)
	v_pk_fma_f16 v16, v8, v45, v16
	v_pk_fma_f16 v17, v9, v45, v17
	;; [unrolled: 1-line block ×14, first 2 shown]
	v_mul_u32_u24_sdwa v45, v4, s43 dst_sel:DWORD dst_unused:UNUSED_PAD src0_sel:WORD_0 src1_sel:DWORD
	v_mul_u32_u24_sdwa v46, v4, s43 dst_sel:DWORD dst_unused:UNUSED_PAD src0_sel:WORD_1 src1_sel:DWORD
	v_mul_u32_u24_sdwa v47, v5, s43 dst_sel:DWORD dst_unused:UNUSED_PAD src0_sel:WORD_0 src1_sel:DWORD
	v_mul_u32_u24_sdwa v90, v5, s43 dst_sel:DWORD dst_unused:UNUSED_PAD src0_sel:WORD_1 src1_sel:DWORD
	;; [unrolled: 2-line block ×4, first 2 shown]
	ds_read2_b64 v[4:7], v66 offset0:64 offset1:96
	v_pk_fma_f16 v8, v10, v95, v8
	v_pk_fma_f16 v9, v11, v95, v9
	s_waitcnt lgkmcnt(0)
	v_pk_fma_f16 v10, v4, v19, v16
	v_pk_fma_f16 v11, v5, v19, v17
	;; [unrolled: 1-line block ×10, first 2 shown]
	ds_read_b128 v[8:11], v60 offset:480
	v_pk_fma_f16 v13, v6, v44, v13
	v_pk_fma_f16 v12, v7, v44, v12
	v_pk_fma_f16 v14, v6, v96, v14
	v_pk_fma_f16 v15, v7, v96, v15
	v_pk_fma_f16 v18, v6, v97, v4
	v_pk_fma_f16 v19, v7, v97, v5
	ds_read_b128 v[4:7], v60 offset:496
	s_waitcnt lgkmcnt(1)
	v_mul_u32_u24_sdwa v40, v8, s43 dst_sel:DWORD dst_unused:UNUSED_PAD src0_sel:WORD_0 src1_sel:DWORD
	v_mul_u32_u24_sdwa v41, v8, s43 dst_sel:DWORD dst_unused:UNUSED_PAD src0_sel:WORD_1 src1_sel:DWORD
	v_mul_u32_u24_sdwa v42, v9, s43 dst_sel:DWORD dst_unused:UNUSED_PAD src0_sel:WORD_0 src1_sel:DWORD
	v_mul_u32_u24_sdwa v43, v9, s43 dst_sel:DWORD dst_unused:UNUSED_PAD src0_sel:WORD_1 src1_sel:DWORD
	;; [unrolled: 2-line block ×4, first 2 shown]
	ds_read2_b64 v[8:11], v66 offset0:128 offset1:160
	s_waitcnt lgkmcnt(0)
	v_pk_fma_f16 v16, v8, v72, v16
	v_pk_fma_f16 v17, v9, v72, v17
	;; [unrolled: 1-line block ×14, first 2 shown]
	v_mul_u32_u24_sdwa v72, v4, s43 dst_sel:DWORD dst_unused:UNUSED_PAD src0_sel:WORD_0 src1_sel:DWORD
	v_pk_fma_f16 v8, v10, v99, v8
	v_pk_fma_f16 v9, v11, v99, v9
	v_mul_u32_u24_sdwa v73, v4, s43 dst_sel:DWORD dst_unused:UNUSED_PAD src0_sel:WORD_1 src1_sel:DWORD
	v_mul_u32_u24_sdwa v74, v5, s43 dst_sel:DWORD dst_unused:UNUSED_PAD src0_sel:WORD_0 src1_sel:DWORD
	v_mul_u32_u24_sdwa v75, v5, s43 dst_sel:DWORD dst_unused:UNUSED_PAD src0_sel:WORD_1 src1_sel:DWORD
	v_mul_u32_u24_sdwa v76, v6, s43 dst_sel:DWORD dst_unused:UNUSED_PAD src0_sel:WORD_0 src1_sel:DWORD
	;; [unrolled: 2-line block ×3, first 2 shown]
	v_mul_u32_u24_sdwa v99, v7, s43 dst_sel:DWORD dst_unused:UNUSED_PAD src0_sel:WORD_1 src1_sel:DWORD
	ds_read2_b64 v[4:7], v66 offset0:192 offset1:224
	s_waitcnt lgkmcnt(0)
	v_pk_fma_f16 v10, v4, v70, v16
	v_pk_fma_f16 v11, v5, v70, v17
	;; [unrolled: 1-line block ×10, first 2 shown]
	ds_read2_b64 v[8:11], v67 offset1:32
	v_pk_fma_f16 v13, v6, v83, v13
	v_pk_fma_f16 v12, v7, v83, v12
	;; [unrolled: 1-line block ×6, first 2 shown]
	ds_read2_b64 v[4:7], v67 offset0:64 offset1:96
	s_waitcnt lgkmcnt(1)
	v_pk_fma_f16 v16, v8, v68, v16
	v_pk_fma_f16 v17, v9, v68, v17
	;; [unrolled: 1-line block ×4, first 2 shown]
	ds_read2_b64 v[12:15], v67 offset0:128 offset1:160
	v_pk_fma_f16 v80, v8, v78, v18
	v_pk_fma_f16 v8, v8, v79, v70
	;; [unrolled: 1-line block ×6, first 2 shown]
	ds_read2_b64 v[16:19], v67 offset0:192 offset1:224
	s_waitcnt lgkmcnt(0)
	s_barrier
	s_load_dword s4, s[18:19], 0x4
	v_pk_fma_f16 v68, v10, v87, v68
	v_pk_fma_f16 v69, v11, v87, v69
	v_pk_fma_f16 v79, v10, v88, v80
	v_pk_fma_f16 v70, v11, v88, v70
	v_pk_fma_f16 v8, v10, v89, v8
	v_pk_fma_f16 v9, v11, v89, v9
	v_pk_fma_f16 v10, v4, v45, v71
	v_pk_fma_f16 v11, v5, v45, v78
	v_pk_fma_f16 v45, v4, v46, v68
	v_pk_fma_f16 v46, v5, v46, v69
	v_pk_fma_f16 v68, v4, v47, v79
	v_pk_fma_f16 v47, v5, v47, v70
	v_pk_fma_f16 v4, v4, v90, v8
	v_pk_fma_f16 v5, v5, v90, v9
	v_pk_fma_f16 v8, v6, v91, v10
	v_pk_fma_f16 v9, v7, v91, v11
	v_pk_fma_f16 v10, v6, v92, v45
	v_pk_fma_f16 v11, v7, v92, v46
	v_pk_fma_f16 v45, v6, v93, v68
	v_pk_fma_f16 v46, v7, v93, v47
	v_pk_fma_f16 v4, v6, v94, v4
	v_pk_fma_f16 v5, v7, v94, v5
	v_pk_fma_f16 v6, v12, v40, v8
	v_pk_fma_f16 v7, v13, v40, v9
	v_pk_fma_f16 v8, v12, v41, v10
	v_pk_fma_f16 v9, v13, v41, v11
	v_pk_fma_f16 v10, v12, v42, v45
	v_pk_fma_f16 v4, v12, v43, v4
	v_pk_fma_f16 v11, v13, v42, v46
	v_pk_fma_f16 v5, v13, v43, v5
	s_waitcnt lgkmcnt(0)
	s_lshl_b32 s4, s4, 6
	v_pk_fma_f16 v6, v14, v44, v6
	v_pk_fma_f16 v7, v15, v44, v7
	;; [unrolled: 1-line block ×8, first 2 shown]
	s_add_i32 s2, s4, s2
	v_pk_fma_f16 v6, v16, v72, v6
	v_pk_fma_f16 v8, v16, v73, v8
	;; [unrolled: 1-line block ×8, first 2 shown]
	s_cmp_ge_i32 s2, s36
	v_pk_fma_f16 v74, v18, v76, v6
	v_pk_fma_f16 v73, v18, v77, v8
	;; [unrolled: 1-line block ×8, first 2 shown]
	s_cbranch_scc0 .LBB21_9
.LBB21_10:
	v_cmp_lt_i32_e32 vcc, v54, v51
	s_cmp_lg_u64 s[20:21], 0
	s_cselect_b64 s[4:5], -1, 0
	v_cndmask_b32_e32 v4, v33, v54, vcc
	v_cmp_lt_i32_e32 vcc, v55, v51
	v_lshlrev_b32_e32 v7, 2, v4
	ds_bpermute_b32 v5, v7, v25
	v_cndmask_b32_e32 v4, v33, v55, vcc
	v_cmp_lt_i32_e32 vcc, v56, v51
	v_lshlrev_b32_e32 v11, 2, v4
	ds_bpermute_b32 v6, v7, v22
	v_cndmask_b32_e32 v4, v33, v56, vcc
	v_lshlrev_b32_e32 v12, 2, v4
	ds_bpermute_b32 v4, v7, v24
	ds_bpermute_b32 v7, v7, v23
	v_cmp_lt_i32_e32 vcc, v53, v51
	s_cmp_eq_u32 s3, 0
	s_cselect_b64 s[6:7], -1, 0
	s_waitcnt lgkmcnt(1)
	v_pk_add_f32 v[4:5], v[24:25], v[4:5]
	s_waitcnt lgkmcnt(0)
	v_pk_add_f32 v[6:7], v[22:23], v[6:7]
	ds_bpermute_b32 v8, v11, v4
	ds_bpermute_b32 v9, v11, v5
	;; [unrolled: 1-line block ×4, first 2 shown]
	v_cndmask_b32_e32 v13, v33, v53, vcc
	v_lshlrev_b32_e32 v13, 2, v13
	s_waitcnt lgkmcnt(2)
	v_pk_add_f32 v[4:5], v[4:5], v[8:9]
	ds_bpermute_b32 v8, v12, v4
	s_waitcnt lgkmcnt(1)
	v_pk_add_f32 v[6:7], v[6:7], v[10:11]
	ds_bpermute_b32 v9, v12, v5
	ds_bpermute_b32 v10, v12, v6
	;; [unrolled: 1-line block ×3, first 2 shown]
	v_cmp_lt_i32_e32 vcc, v52, v51
	s_and_b64 s[4:5], s[6:7], s[4:5]
	s_waitcnt lgkmcnt(2)
	v_pk_add_f32 v[4:5], v[4:5], v[8:9]
	ds_bpermute_b32 v8, v13, v4
	s_waitcnt lgkmcnt(1)
	v_pk_add_f32 v[6:7], v[6:7], v[10:11]
	ds_bpermute_b32 v9, v13, v5
	ds_bpermute_b32 v10, v13, v6
	;; [unrolled: 1-line block ×3, first 2 shown]
	v_cndmask_b32_e32 v12, v33, v52, vcc
	v_lshlrev_b32_e32 v13, 2, v12
	s_waitcnt lgkmcnt(2)
	v_pk_add_f32 v[4:5], v[4:5], v[8:9]
	ds_bpermute_b32 v8, v13, v4
	s_waitcnt lgkmcnt(1)
	v_pk_add_f32 v[10:11], v[6:7], v[10:11]
	ds_bpermute_b32 v9, v13, v5
	ds_bpermute_b32 v12, v13, v10
	;; [unrolled: 1-line block ×3, first 2 shown]
	s_and_b64 vcc, exec, s[4:5]
	s_waitcnt lgkmcnt(2)
	v_pk_add_f32 v[6:7], v[4:5], v[8:9]
	s_waitcnt lgkmcnt(0)
	v_pk_add_f32 v[4:5], v[10:11], v[12:13]
	s_cbranch_vccz .LBB21_12
; %bb.11:
	s_ashr_i32 s35, s34, 31
	s_lshl_b64 s[4:5], s[34:35], 2
	s_add_u32 s4, s20, s4
	s_addc_u32 s5, s21, s5
	v_mov_b32_e32 v8, 0
	global_load_dwordx4 v[8:11], v8, s[4:5]
	v_max_f32_e32 v12, v0, v0
	v_max_f32_e32 v13, v1, v1
	s_mov_b32 s5, 0x3fb8aa3b
	v_max_f32_e32 v14, v2, v2
	s_mov_b32 s2, 0xc2ce8ed0
	s_mov_b32 s4, 0x42b17218
	v_mov_b32_e32 v16, 0x7f800000
	s_waitcnt vmcnt(0)
	v_max_f32_e32 v15, v8, v8
	v_max_f32_e32 v12, v12, v15
	;; [unrolled: 1-line block ×3, first 2 shown]
	v_sub_f32_e32 v0, v0, v12
	v_max_f32_e32 v13, v13, v17
	v_sub_f32_e32 v8, v8, v12
	v_mul_f32_e32 v15, 0x3fb8aa3b, v0
	v_max_f32_e32 v18, v10, v10
	v_sub_f32_e32 v1, v1, v13
	v_mul_f32_e32 v17, 0x3fb8aa3b, v8
	v_fma_f32 v24, v0, s5, -v15
	v_rndne_f32_e32 v25, v15
	v_max_f32_e32 v14, v14, v18
	v_sub_f32_e32 v9, v9, v13
	v_mul_f32_e32 v18, 0x3fb8aa3b, v1
	v_fma_f32 v26, v8, s5, -v17
	v_rndne_f32_e32 v27, v17
	v_fmac_f32_e32 v24, 0x32a5705f, v0
	v_sub_f32_e32 v15, v15, v25
	v_sub_f32_e32 v2, v2, v14
	v_mul_f32_e32 v19, 0x3fb8aa3b, v9
	v_fma_f32 v28, v1, s5, -v18
	v_rndne_f32_e32 v29, v18
	v_fmac_f32_e32 v26, 0x32a5705f, v8
	v_sub_f32_e32 v17, v17, v27
	v_add_f32_e32 v15, v15, v24
	v_mul_f32_e32 v22, 0x3fb8aa3b, v2
	v_fma_f32 v30, v9, s5, -v19
	v_rndne_f32_e32 v31, v19
	v_cvt_i32_f32_e32 v25, v25
	v_fmac_f32_e32 v28, 0x32a5705f, v1
	v_sub_f32_e32 v18, v18, v29
	v_add_f32_e32 v17, v17, v26
	v_exp_f32_e32 v15, v15
	v_fma_f32 v32, v2, s5, -v22
	v_rndne_f32_e32 v33, v22
	v_cvt_i32_f32_e32 v27, v27
	v_fmac_f32_e32 v30, 0x32a5705f, v9
	v_sub_f32_e32 v19, v19, v31
	v_add_f32_e32 v18, v18, v28
	v_exp_f32_e32 v17, v17
	v_cvt_i32_f32_e32 v29, v29
	v_fmac_f32_e32 v32, 0x32a5705f, v2
	v_sub_f32_e32 v22, v22, v33
	v_add_f32_e32 v19, v19, v30
	v_exp_f32_e32 v18, v18
	v_cvt_i32_f32_e32 v31, v31
	v_add_f32_e32 v22, v22, v32
	v_exp_f32_e32 v19, v19
	v_cvt_i32_f32_e32 v33, v33
	v_exp_f32_e32 v22, v22
	v_ldexp_f32 v15, v15, v25
	v_cmp_ngt_f32_e32 vcc, s2, v0
	v_ldexp_f32 v17, v17, v27
	v_ldexp_f32 v18, v18, v29
	v_cndmask_b32_e32 v15, 0, v15, vcc
	v_cmp_ngt_f32_e32 vcc, s2, v8
	v_sub_f32_e32 v10, v10, v14
	v_ldexp_f32 v19, v19, v31
	v_cndmask_b32_e32 v17, 0, v17, vcc
	v_cmp_ngt_f32_e32 vcc, s2, v1
	v_mul_f32_e32 v23, 0x3fb8aa3b, v10
	v_ldexp_f32 v22, v22, v33
	v_cndmask_b32_e32 v18, 0, v18, vcc
	v_cmp_ngt_f32_e32 vcc, s2, v9
	v_fma_f32 v34, v10, s5, -v23
	v_rndne_f32_e32 v35, v23
	v_cndmask_b32_e32 v19, 0, v19, vcc
	v_cmp_ngt_f32_e32 vcc, s2, v2
	v_fmac_f32_e32 v34, 0x32a5705f, v10
	v_sub_f32_e32 v23, v23, v35
	v_cndmask_b32_e32 v22, 0, v22, vcc
	v_cmp_nlt_f32_e32 vcc, s4, v0
	v_add_f32_e32 v23, v23, v34
	v_cvt_i32_f32_e32 v35, v35
	v_cndmask_b32_e32 v0, v16, v15, vcc
	v_cvt_f16_f32_e32 v15, v0
	v_exp_f32_e32 v23, v23
	v_cmp_nlt_f32_e32 vcc, s4, v8
	v_mul_u32_u24_e32 v15, 0x10001, v15
	s_nop 0
	v_cndmask_b32_e32 v8, v16, v17, vcc
	v_cmp_nlt_f32_e32 vcc, s4, v1
	v_pk_mul_f16 v74, v74, v15
	v_pk_mul_f16 v75, v75, v15
	v_cndmask_b32_e32 v1, v16, v18, vcc
	v_cmp_nlt_f32_e32 vcc, s4, v9
	v_ldexp_f32 v15, v23, v35
	v_max_f32_e32 v18, v3, v3
	v_cndmask_b32_e32 v9, v16, v19, vcc
	v_cmp_nlt_f32_e32 vcc, s4, v2
	v_cvt_f16_f32_e32 v17, v1
	v_pk_fma_f32 v[6:7], v[6:7], v[0:1], v[8:9]
	v_cndmask_b32_e32 v2, v16, v22, vcc
	v_cmp_ngt_f32_e32 vcc, s2, v10
	v_mul_u32_u24_e32 v17, 0x10001, v17
	v_pk_mul_f16 v73, v73, v17
	v_cndmask_b32_e32 v15, 0, v15, vcc
	v_cmp_nlt_f32_e32 vcc, s4, v10
	v_pk_mul_f16 v72, v72, v17
	v_cvt_f16_f32_e32 v17, v2
	v_cndmask_b32_e32 v10, v16, v15, vcc
	v_max_f32_e32 v15, v11, v11
	v_max_f32_e32 v15, v18, v15
	v_sub_f32_e32 v3, v3, v15
	v_mul_f32_e32 v18, 0x3fb8aa3b, v3
	v_fma_f32 v19, v3, s5, -v18
	v_rndne_f32_e32 v22, v18
	v_fmac_f32_e32 v19, 0x32a5705f, v3
	v_sub_f32_e32 v18, v18, v22
	v_add_f32_e32 v18, v18, v19
	v_exp_f32_e32 v18, v18
	v_cvt_i32_f32_e32 v19, v22
	v_mul_u32_u24_e32 v17, 0x10001, v17
	v_sub_f32_e32 v11, v11, v15
	v_pk_mul_f16 v71, v71, v17
	v_pk_mul_f16 v70, v70, v17
	v_ldexp_f32 v17, v18, v19
	v_mul_f32_e32 v18, 0x3fb8aa3b, v11
	v_fma_f32 v19, v11, s5, -v18
	v_rndne_f32_e32 v22, v18
	v_fmac_f32_e32 v19, 0x32a5705f, v11
	v_sub_f32_e32 v18, v18, v22
	v_add_f32_e32 v18, v18, v19
	v_exp_f32_e32 v18, v18
	v_cvt_i32_f32_e32 v19, v22
	v_cmp_ngt_f32_e32 vcc, s2, v3
	s_nop 1
	v_cndmask_b32_e32 v17, 0, v17, vcc
	v_cmp_nlt_f32_e32 vcc, s4, v3
	s_nop 1
	v_cndmask_b32_e32 v3, v16, v17, vcc
	v_ldexp_f32 v17, v18, v19
	v_cvt_f16_f32_e32 v18, v3
	v_cmp_ngt_f32_e32 vcc, s2, v11
	s_nop 1
	v_cndmask_b32_e32 v17, 0, v17, vcc
	v_cmp_nlt_f32_e32 vcc, s4, v11
	s_nop 1
	v_cndmask_b32_e32 v11, v16, v17, vcc
	v_mul_u32_u24_e32 v16, 0x10001, v18
	v_pk_fma_f32 v[4:5], v[4:5], v[2:3], v[10:11]
	v_mov_b64_e32 v[0:1], v[12:13]
	v_pk_mul_f16 v69, v69, v16
	v_pk_mul_f16 v68, v68, v16
	v_mov_b64_e32 v[2:3], v[14:15]
.LBB21_12:
	v_cmp_gt_i32_e32 vcc, s30, v21
	s_and_saveexec_b64 s[4:5], vcc
	s_cbranch_execz .LBB21_29
; %bb.13:
	s_load_dword s8, s[0:1], 0xd4
	v_mov_b32_e32 v10, 1.0
	s_waitcnt lgkmcnt(0)
	s_cmp_lg_u32 s8, 1
	s_cselect_b64 s[0:1], -1, 0
	s_cmp_eq_u32 s8, 1
	s_cselect_b64 s[6:7], -1, 0
	s_and_b64 vcc, exec, s[0:1]
	s_cbranch_vccnz .LBB21_15
; %bb.14:
	v_div_scale_f32 v8, s[4:5], v6, v6, 1.0
	v_rcp_f32_e32 v9, v8
	v_div_scale_f32 v10, vcc, 1.0, v6, 1.0
	v_fma_f32 v11, -v8, v9, 1.0
	v_fmac_f32_e32 v9, v11, v9
	v_mul_f32_e32 v11, v10, v9
	v_fma_f32 v12, -v8, v11, v10
	v_fmac_f32_e32 v11, v12, v9
	v_fma_f32 v8, -v8, v11, v10
	v_div_fmas_f32 v8, v8, v9, v11
	v_div_fixup_f32 v10, v8, v6, 1.0
.LBB21_15:
	s_mul_i32 s33, s33, s30
	v_add_u32_e32 v8, s33, v21
	v_mul_lo_u32 v8, v8, s31
	v_add_u32_e32 v8, s34, v8
	v_cvt_f32_f16_sdwa v15, v74 dst_sel:DWORD dst_unused:UNUSED_PAD src0_sel:WORD_1
	v_cvt_f32_f16_e32 v14, v74
	v_cvt_f32_f16_sdwa v17, v75 dst_sel:DWORD dst_unused:UNUSED_PAD src0_sel:WORD_1
	v_cvt_f32_f16_e32 v16, v75
	v_mul_lo_u32 v8, s8, v8
	v_add_u32_e32 v8, s3, v8
	v_cmp_eq_u32_e32 vcc, 0, v20
	v_lshl_add_u32 v12, v8, 7, v48
	v_mov_b32_e32 v13, 0
	s_and_b64 s[4:5], vcc, s[0:1]
	v_lshl_add_u64 v[18:19], v[12:13], 2, s[24:25]
	v_pk_mul_f32 v[12:13], v[10:11], v[14:15] op_sel_hi:[0,1]
	v_pk_mul_f32 v[14:15], v[10:11], v[16:17] op_sel_hi:[0,1]
	global_store_dwordx4 v[18:19], v[12:15], off
	s_and_saveexec_b64 s[0:1], s[4:5]
	s_cbranch_execz .LBB21_17
; %bb.16:
	v_ashrrev_i32_e32 v9, 31, v8
	v_lshl_add_u64 v[10:11], v[8:9], 3, s[26:27]
	v_mov_b32_e32 v12, v0
	v_mov_b32_e32 v13, v6
	global_store_dwordx2 v[10:11], v[12:13], off
.LBB21_17:
	s_or_b64 exec, exec, s[0:1]
	v_cndmask_b32_e64 v0, 0, 1, s[6:7]
	v_cmp_ne_u32_e64 s[0:1], 1, v0
	s_andn2_b64 vcc, exec, s[6:7]
	v_mov_b32_e32 v0, 1.0
	s_cbranch_vccnz .LBB21_19
; %bb.18:
	v_div_scale_f32 v0, s[2:3], v7, v7, 1.0
	v_rcp_f32_e32 v6, v0
	v_div_scale_f32 v9, vcc, 1.0, v7, 1.0
	v_fma_f32 v10, -v0, v6, 1.0
	v_fmac_f32_e32 v6, v10, v6
	v_mul_f32_e32 v10, v9, v6
	v_fma_f32 v11, -v0, v10, v9
	v_fmac_f32_e32 v10, v11, v6
	v_fma_f32 v0, -v0, v10, v9
	v_div_fmas_f32 v0, v0, v6, v10
	v_div_fixup_f32 v0, v0, v7, 1.0
.LBB21_19:
	v_cvt_f32_f16_sdwa v13, v73 dst_sel:DWORD dst_unused:UNUSED_PAD src0_sel:WORD_1
	v_cvt_f32_f16_e32 v12, v73
	v_cvt_f32_f16_sdwa v15, v72 dst_sel:DWORD dst_unused:UNUSED_PAD src0_sel:WORD_1
	v_cvt_f32_f16_e32 v14, v72
	v_add_u32_e32 v8, s8, v8
	v_lshl_add_u32 v10, v8, 7, v48
	v_mov_b32_e32 v11, 0
	v_lshl_add_u64 v[16:17], v[10:11], 2, s[24:25]
	v_pk_mul_f32 v[10:11], v[0:1], v[12:13] op_sel_hi:[0,1]
	v_pk_mul_f32 v[12:13], v[0:1], v[14:15] op_sel_hi:[0,1]
	global_store_dwordx4 v[16:17], v[10:13], off
	s_and_saveexec_b64 s[2:3], s[4:5]
	s_cbranch_execz .LBB21_21
; %bb.20:
	v_ashrrev_i32_e32 v9, 31, v8
	v_lshl_add_u64 v[10:11], v[8:9], 3, s[26:27]
	v_mov_b32_e32 v6, v1
	global_store_dwordx2 v[10:11], v[6:7], off
.LBB21_21:
	s_or_b64 exec, exec, s[2:3]
	s_and_b64 vcc, exec, s[0:1]
	v_mov_b32_e32 v6, 1.0
	s_cbranch_vccnz .LBB21_23
; %bb.22:
	v_div_scale_f32 v0, s[2:3], v4, v4, 1.0
	v_rcp_f32_e32 v1, v0
	v_div_scale_f32 v6, vcc, 1.0, v4, 1.0
	v_fma_f32 v7, -v0, v1, 1.0
	v_fmac_f32_e32 v1, v7, v1
	v_mul_f32_e32 v7, v6, v1
	v_fma_f32 v9, -v0, v7, v6
	v_fmac_f32_e32 v7, v9, v1
	v_fma_f32 v0, -v0, v7, v6
	v_div_fmas_f32 v0, v0, v1, v7
	v_div_fixup_f32 v6, v0, v4, 1.0
.LBB21_23:
	v_cvt_f32_f16_sdwa v11, v71 dst_sel:DWORD dst_unused:UNUSED_PAD src0_sel:WORD_1
	v_cvt_f32_f16_e32 v10, v71
	v_cvt_f32_f16_sdwa v13, v70 dst_sel:DWORD dst_unused:UNUSED_PAD src0_sel:WORD_1
	v_cvt_f32_f16_e32 v12, v70
	v_add_u32_e32 v0, s8, v8
	v_lshl_add_u32 v8, v0, 7, v48
	v_mov_b32_e32 v9, 0
	v_lshl_add_u64 v[14:15], v[8:9], 2, s[24:25]
	v_pk_mul_f32 v[8:9], v[6:7], v[10:11] op_sel_hi:[0,1]
	v_pk_mul_f32 v[10:11], v[6:7], v[12:13] op_sel_hi:[0,1]
	global_store_dwordx4 v[14:15], v[8:11], off
	s_and_saveexec_b64 s[2:3], s[4:5]
	s_cbranch_execz .LBB21_25
; %bb.24:
	v_ashrrev_i32_e32 v1, 31, v0
	v_lshl_add_u64 v[6:7], v[0:1], 3, s[26:27]
	v_mov_b32_e32 v8, v2
	v_mov_b32_e32 v9, v4
	global_store_dwordx2 v[6:7], v[8:9], off
.LBB21_25:
	s_or_b64 exec, exec, s[2:3]
	s_and_b64 vcc, exec, s[0:1]
	v_mov_b32_e32 v2, 1.0
	s_cbranch_vccnz .LBB21_27
; %bb.26:
	v_div_scale_f32 v1, s[0:1], v5, v5, 1.0
	v_rcp_f32_e32 v2, v1
	v_div_scale_f32 v4, vcc, 1.0, v5, 1.0
	v_fma_f32 v6, -v1, v2, 1.0
	v_fmac_f32_e32 v2, v6, v2
	v_mul_f32_e32 v6, v4, v2
	v_fma_f32 v7, -v1, v6, v4
	v_fmac_f32_e32 v6, v7, v2
	v_fma_f32 v1, -v1, v6, v4
	v_div_fmas_f32 v1, v1, v2, v6
	v_div_fixup_f32 v2, v1, v5, 1.0
.LBB21_27:
	v_cvt_f32_f16_sdwa v9, v69 dst_sel:DWORD dst_unused:UNUSED_PAD src0_sel:WORD_1
	v_cvt_f32_f16_e32 v8, v69
	v_cvt_f32_f16_sdwa v11, v68 dst_sel:DWORD dst_unused:UNUSED_PAD src0_sel:WORD_1
	v_cvt_f32_f16_e32 v10, v68
	v_add_u32_e32 v0, s8, v0
	v_lshl_add_u32 v6, v0, 7, v48
	v_mov_b32_e32 v7, 0
	v_lshl_add_u64 v[12:13], v[6:7], 2, s[24:25]
	v_pk_mul_f32 v[6:7], v[2:3], v[8:9] op_sel_hi:[0,1]
	v_pk_mul_f32 v[8:9], v[2:3], v[10:11] op_sel_hi:[0,1]
	global_store_dwordx4 v[12:13], v[6:9], off
	s_and_b64 exec, exec, s[4:5]
	s_cbranch_execz .LBB21_29
; %bb.28:
	v_ashrrev_i32_e32 v1, 31, v0
	v_lshl_add_u64 v[0:1], v[0:1], 3, s[26:27]
	v_mov_b32_e32 v4, v3
	global_store_dwordx2 v[0:1], v[4:5], off
.LBB21_29:
	s_endpgm
	.section	.rodata,"a",@progbits
	.p2align	6, 0x0
	.amdhsa_kernel _ZL15flash_attn_tileILi128ELi128ELi8ELi4ELb0EEvPKcS1_S1_S1_S1_PKiPfP15HIP_vector_typeIfLj2EEffffjfiS5_IjLj3EEiiiiiiiiiiiliiliiiiil
		.amdhsa_group_segment_fixed_size 21504
		.amdhsa_private_segment_fixed_size 0
		.amdhsa_kernarg_size 464
		.amdhsa_user_sgpr_count 2
		.amdhsa_user_sgpr_dispatch_ptr 0
		.amdhsa_user_sgpr_queue_ptr 0
		.amdhsa_user_sgpr_kernarg_segment_ptr 1
		.amdhsa_user_sgpr_dispatch_id 0
		.amdhsa_user_sgpr_kernarg_preload_length 0
		.amdhsa_user_sgpr_kernarg_preload_offset 0
		.amdhsa_user_sgpr_private_segment_size 0
		.amdhsa_uses_dynamic_stack 0
		.amdhsa_enable_private_segment 0
		.amdhsa_system_sgpr_workgroup_id_x 1
		.amdhsa_system_sgpr_workgroup_id_y 1
		.amdhsa_system_sgpr_workgroup_id_z 1
		.amdhsa_system_sgpr_workgroup_info 0
		.amdhsa_system_vgpr_workitem_id 1
		.amdhsa_next_free_vgpr 114
		.amdhsa_next_free_sgpr 75
		.amdhsa_accum_offset 116
		.amdhsa_reserve_vcc 1
		.amdhsa_float_round_mode_32 0
		.amdhsa_float_round_mode_16_64 0
		.amdhsa_float_denorm_mode_32 3
		.amdhsa_float_denorm_mode_16_64 3
		.amdhsa_dx10_clamp 1
		.amdhsa_ieee_mode 1
		.amdhsa_fp16_overflow 0
		.amdhsa_tg_split 0
		.amdhsa_exception_fp_ieee_invalid_op 0
		.amdhsa_exception_fp_denorm_src 0
		.amdhsa_exception_fp_ieee_div_zero 0
		.amdhsa_exception_fp_ieee_overflow 0
		.amdhsa_exception_fp_ieee_underflow 0
		.amdhsa_exception_fp_ieee_inexact 0
		.amdhsa_exception_int_div_zero 0
	.end_amdhsa_kernel
	.section	.text._ZL15flash_attn_tileILi128ELi128ELi8ELi4ELb0EEvPKcS1_S1_S1_S1_PKiPfP15HIP_vector_typeIfLj2EEffffjfiS5_IjLj3EEiiiiiiiiiiiliiliiiiil,"axG",@progbits,_ZL15flash_attn_tileILi128ELi128ELi8ELi4ELb0EEvPKcS1_S1_S1_S1_PKiPfP15HIP_vector_typeIfLj2EEffffjfiS5_IjLj3EEiiiiiiiiiiiliiliiiiil,comdat
.Lfunc_end21:
	.size	_ZL15flash_attn_tileILi128ELi128ELi8ELi4ELb0EEvPKcS1_S1_S1_S1_PKiPfP15HIP_vector_typeIfLj2EEffffjfiS5_IjLj3EEiiiiiiiiiiiliiliiiiil, .Lfunc_end21-_ZL15flash_attn_tileILi128ELi128ELi8ELi4ELb0EEvPKcS1_S1_S1_S1_PKiPfP15HIP_vector_typeIfLj2EEffffjfiS5_IjLj3EEiiiiiiiiiiiliiliiiiil
                                        ; -- End function
	.set _ZL15flash_attn_tileILi128ELi128ELi8ELi4ELb0EEvPKcS1_S1_S1_S1_PKiPfP15HIP_vector_typeIfLj2EEffffjfiS5_IjLj3EEiiiiiiiiiiiliiliiiiil.num_vgpr, 114
	.set _ZL15flash_attn_tileILi128ELi128ELi8ELi4ELb0EEvPKcS1_S1_S1_S1_PKiPfP15HIP_vector_typeIfLj2EEffffjfiS5_IjLj3EEiiiiiiiiiiiliiliiiiil.num_agpr, 0
	.set _ZL15flash_attn_tileILi128ELi128ELi8ELi4ELb0EEvPKcS1_S1_S1_S1_PKiPfP15HIP_vector_typeIfLj2EEffffjfiS5_IjLj3EEiiiiiiiiiiiliiliiiiil.numbered_sgpr, 44
	.set _ZL15flash_attn_tileILi128ELi128ELi8ELi4ELb0EEvPKcS1_S1_S1_S1_PKiPfP15HIP_vector_typeIfLj2EEffffjfiS5_IjLj3EEiiiiiiiiiiiliiliiiiil.num_named_barrier, 0
	.set _ZL15flash_attn_tileILi128ELi128ELi8ELi4ELb0EEvPKcS1_S1_S1_S1_PKiPfP15HIP_vector_typeIfLj2EEffffjfiS5_IjLj3EEiiiiiiiiiiiliiliiiiil.private_seg_size, 0
	.set _ZL15flash_attn_tileILi128ELi128ELi8ELi4ELb0EEvPKcS1_S1_S1_S1_PKiPfP15HIP_vector_typeIfLj2EEffffjfiS5_IjLj3EEiiiiiiiiiiiliiliiiiil.uses_vcc, 1
	.set _ZL15flash_attn_tileILi128ELi128ELi8ELi4ELb0EEvPKcS1_S1_S1_S1_PKiPfP15HIP_vector_typeIfLj2EEffffjfiS5_IjLj3EEiiiiiiiiiiiliiliiiiil.uses_flat_scratch, 0
	.set _ZL15flash_attn_tileILi128ELi128ELi8ELi4ELb0EEvPKcS1_S1_S1_S1_PKiPfP15HIP_vector_typeIfLj2EEffffjfiS5_IjLj3EEiiiiiiiiiiiliiliiiiil.has_dyn_sized_stack, 0
	.set _ZL15flash_attn_tileILi128ELi128ELi8ELi4ELb0EEvPKcS1_S1_S1_S1_PKiPfP15HIP_vector_typeIfLj2EEffffjfiS5_IjLj3EEiiiiiiiiiiiliiliiiiil.has_recursion, 0
	.set _ZL15flash_attn_tileILi128ELi128ELi8ELi4ELb0EEvPKcS1_S1_S1_S1_PKiPfP15HIP_vector_typeIfLj2EEffffjfiS5_IjLj3EEiiiiiiiiiiiliiliiiiil.has_indirect_call, 0
	.section	.AMDGPU.csdata,"",@progbits
; Kernel info:
; codeLenInByte = 23868
; TotalNumSgprs: 50
; NumVgprs: 114
; NumAgprs: 0
; TotalNumVgprs: 114
; ScratchSize: 0
; MemoryBound: 0
; FloatMode: 240
; IeeeMode: 1
; LDSByteSize: 21504 bytes/workgroup (compile time only)
; SGPRBlocks: 10
; VGPRBlocks: 14
; NumSGPRsForWavesPerEU: 81
; NumVGPRsForWavesPerEU: 114
; AccumOffset: 116
; Occupancy: 4
; WaveLimiterHint : 1
; COMPUTE_PGM_RSRC2:SCRATCH_EN: 0
; COMPUTE_PGM_RSRC2:USER_SGPR: 2
; COMPUTE_PGM_RSRC2:TRAP_HANDLER: 0
; COMPUTE_PGM_RSRC2:TGID_X_EN: 1
; COMPUTE_PGM_RSRC2:TGID_Y_EN: 1
; COMPUTE_PGM_RSRC2:TGID_Z_EN: 1
; COMPUTE_PGM_RSRC2:TIDIG_COMP_CNT: 1
; COMPUTE_PGM_RSRC3_GFX90A:ACCUM_OFFSET: 28
; COMPUTE_PGM_RSRC3_GFX90A:TG_SPLIT: 0
	.section	.text._ZL33flash_attn_stream_k_fixup_uniformILi128ELi8ELi4EEvPfPK15HIP_vector_typeIfLj2EEiiiiiiS1_IjLj3EES5_S5_,"axG",@progbits,_ZL33flash_attn_stream_k_fixup_uniformILi128ELi8ELi4EEvPfPK15HIP_vector_typeIfLj2EEiiiiiiS1_IjLj3EES5_S5_,comdat
	.globl	_ZL33flash_attn_stream_k_fixup_uniformILi128ELi8ELi4EEvPfPK15HIP_vector_typeIfLj2EEiiiiiiS1_IjLj3EES5_S5_ ; -- Begin function _ZL33flash_attn_stream_k_fixup_uniformILi128ELi8ELi4EEvPfPK15HIP_vector_typeIfLj2EEiiiiiiS1_IjLj3EES5_S5_
	.p2align	8
	.type	_ZL33flash_attn_stream_k_fixup_uniformILi128ELi8ELi4EEvPfPK15HIP_vector_typeIfLj2EEiiiiiiS1_IjLj3EES5_S5_,@function
_ZL33flash_attn_stream_k_fixup_uniformILi128ELi8ELi4EEvPfPK15HIP_vector_typeIfLj2EEiiiiiiS1_IjLj3EES5_S5_: ; @_ZL33flash_attn_stream_k_fixup_uniformILi128ELi8ELi4EEvPfPK15HIP_vector_typeIfLj2EEiiiiiiS1_IjLj3EES5_S5_
; %bb.0:
	s_load_dwordx8 s[8:15], s[0:1], 0x1c
	s_load_dwordx2 s[6:7], s[0:1], 0x10
	s_load_dwordx4 s[20:23], s[0:1], 0x3c
	s_waitcnt lgkmcnt(0)
	s_mul_hi_u32 s5, s11, s2
	s_add_i32 s5, s2, s5
	s_lshr_b32 s5, s5, s12
	s_mul_i32 s11, s5, s13
	s_sub_i32 s11, s2, s11
	s_mul_hi_u32 s12, s11, s14
	s_add_i32 s12, s11, s12
	s_lshr_b32 s16, s12, s15
	s_mul_i32 s12, s16, s20
	s_sub_i32 s11, s11, s12
	;; [unrolled: 5-line block ×3, first 2 shown]
	s_lshl_b32 s11, s12, 2
	s_lshl_b32 s12, s17, 3
	s_add_i32 s12, s12, s3
	s_cmp_lt_i32 s12, s6
	s_cselect_b64 s[12:13], -1, 0
	s_add_i32 s14, s11, s4
	s_cmp_lt_i32 s14, s9
	s_cselect_b64 s[14:15], -1, 0
	s_and_b64 s[12:13], s[12:13], s[14:15]
	s_andn2_b64 vcc, exec, s[12:13]
	s_cbranch_vccnz .LBB22_6
; %bb.1:
	s_load_dwordx4 s[12:15], s[0:1], 0x0
	s_mul_i32 s0, s5, s6
	s_add_i32 s0, s0, s3
	s_mul_i32 s0, s0, s7
	s_mul_i32 s16, s16, s9
	s_add_i32 s0, s0, s4
	s_add_i32 s0, s0, s16
	s_mul_i32 s1, s7, s17
	s_add_i32 s0, s0, s11
	s_lshl_b32 s1, s1, 10
	s_lshl_b32 s0, s0, 7
	s_add_i32 s1, s1, s0
	v_or_b32_e32 v4, s1, v0
	s_waitcnt lgkmcnt(0)
	v_mov_b32_e32 v2, s12
	v_mov_b32_e32 v3, s13
	v_ashrrev_i32_e32 v5, 31, v4
	v_lshl_add_u64 v[2:3], v[4:5], 2, v[2:3]
	global_load_dword v5, v[2:3], off
	s_mul_i32 s5, s10, s2
	s_lshl_b32 s11, s3, 2
	s_add_i32 s9, s5, s10
	s_add_i32 s0, s11, s4
	s_lshl_b32 s1, s9, 5
	s_add_i32 s0, s0, s1
	s_sub_i32 s0, s0, 32
	s_ashr_i32 s1, s0, 31
	s_lshl_b64 s[0:1], s[0:1], 3
	s_add_u32 s0, s14, s0
	s_addc_u32 s1, s15, s1
	s_load_dword s12, s[0:1], 0x4
	s_add_i32 s6, s9, -2
	s_cmp_lt_i32 s6, s5
	s_cbranch_scc1 .LBB22_4
; %bb.2:
	s_lshl_b32 s6, s8, 7
	s_ashr_i32 s7, s6, 31
	s_lshl_b64 s[6:7], s[6:7], 2
	s_add_u32 s6, s14, s6
	s_addc_u32 s7, s15, s7
	s_add_i32 s2, s2, 1
	s_load_dword s0, s[0:1], 0x0
	s_mul_i32 s1, s10, s2
	s_lshl_b32 s3, s3, 9
	s_lshl_b32 s10, s4, 7
	;; [unrolled: 1-line block ×3, first 2 shown]
	s_add_i32 s3, s10, s3
	s_lshl_b32 s1, s1, 5
	s_add_i32 s3, s3, s2
	s_add_i32 s1, s4, s1
	s_lshl_b32 s2, s8, 5
	s_add_i32 s1, s1, s2
	v_or_b32_e32 v0, s3, v0
	s_add_i32 s1, s1, s11
	s_add_i32 s9, s9, -1
	v_add_u32_e32 v0, 0xffffe000, v0
	s_sub_i32 s2, s1, 64
	s_waitcnt lgkmcnt(0)
	v_mov_b32_e32 v7, s0
	v_mov_b32_e32 v4, s12
	s_mov_b32 s4, 0x3fb8aa3b
	s_mov_b32 s8, 0xc2ce8ed0
	;; [unrolled: 1-line block ×3, first 2 shown]
	v_mov_b32_e32 v6, 0x7f800000
	s_mov_b32 s11, 0xc1a00000
.LBB22_3:                               ; =>This Inner Loop Header: Depth=1
	v_ashrrev_i32_e32 v1, 31, v0
	v_lshl_add_u64 v[8:9], v[0:1], 2, s[6:7]
	global_load_dword v9, v[8:9], off
	s_ashr_i32 s3, s2, 31
	s_lshl_b64 s[0:1], s[2:3], 3
	s_add_u32 s0, s14, s0
	s_addc_u32 s1, s15, s1
	s_load_dwordx2 s[0:1], s[0:1], 0x0
	v_max_f32_e32 v1, v7, v7
	s_add_i32 s9, s9, -1
	s_sub_i32 s2, s2, 32
	v_add_u32_e32 v0, 0xfffff000, v0
	s_waitcnt lgkmcnt(0)
	v_max_f32_e64 v10, s0, s0
	v_max_f32_e32 v1, v1, v10
	v_sub_f32_e32 v11, s0, v1
	v_sub_f32_e32 v10, v7, v1
	v_mul_f32_e32 v12, 0x3fb8aa3b, v11
	v_mov_b32_e32 v7, v1
	v_mul_f32_e32 v1, 0x3fb8aa3b, v10
	v_fma_f32 v15, v11, s4, -v12
	v_rndne_f32_e32 v16, v12
	v_fma_f32 v13, v10, s4, -v1
	v_rndne_f32_e32 v14, v1
	v_fmac_f32_e32 v15, 0x32a5705f, v11
	v_sub_f32_e32 v12, v12, v16
	v_fmac_f32_e32 v13, 0x32a5705f, v10
	v_sub_f32_e32 v1, v1, v14
	v_add_f32_e32 v12, v12, v15
	v_cvt_i32_f32_e32 v16, v16
	v_add_f32_e32 v1, v1, v13
	v_exp_f32_e32 v12, v12
	v_cvt_i32_f32_e32 v14, v14
	v_exp_f32_e32 v1, v1
	v_cmp_ngt_f32_e32 vcc, s8, v11
	v_ldexp_f32 v12, v12, v16
	v_mov_b32_e32 v8, s1
	v_ldexp_f32 v1, v1, v14
	v_cmp_ngt_f32_e64 s[0:1], s8, v10
	v_cndmask_b32_e32 v12, 0, v12, vcc
	v_cmp_nlt_f32_e32 vcc, s10, v11
	v_cndmask_b32_e64 v1, 0, v1, s[0:1]
	v_cmp_nlt_f32_e64 s[0:1], s10, v10
	v_cndmask_b32_e32 v12, v6, v12, vcc
	v_cmp_le_f32_e32 vcc, s11, v11
	v_cndmask_b32_e64 v1, v6, v1, s[0:1]
	v_cmp_le_f32_e64 s[0:1], s11, v10
	v_cndmask_b32_e32 v12, 0, v12, vcc
	s_cmp_le_i32 s9, s5
	v_cndmask_b32_e64 v10, 0, v1, s[0:1]
	s_waitcnt vmcnt(0)
	v_pk_mul_f32 v[8:9], v[8:9], v[12:13] op_sel_hi:[1,0]
	s_nop 0
	v_pk_fma_f32 v[4:5], v[4:5], v[10:11], v[8:9] op_sel_hi:[1,0,1]
	s_cbranch_scc0 .LBB22_3
	s_branch .LBB22_5
.LBB22_4:
	s_waitcnt lgkmcnt(0)
	v_mov_b32_e32 v4, s12
.LBB22_5:
	s_waitcnt vmcnt(0)
	v_div_scale_f32 v0, s[0:1], v4, v4, v5
	v_rcp_f32_e32 v1, v0
	v_div_scale_f32 v6, vcc, v5, v4, v5
	v_fma_f32 v7, -v0, v1, 1.0
	v_fmac_f32_e32 v1, v7, v1
	v_mul_f32_e32 v7, v6, v1
	v_fma_f32 v8, -v0, v7, v6
	v_fmac_f32_e32 v7, v8, v1
	v_fma_f32 v0, -v0, v7, v6
	v_div_fmas_f32 v0, v0, v1, v7
	v_div_fixup_f32 v0, v0, v4, v5
	global_store_dword v[2:3], v0, off
.LBB22_6:
	s_endpgm
	.section	.rodata,"a",@progbits
	.p2align	6, 0x0
	.amdhsa_kernel _ZL33flash_attn_stream_k_fixup_uniformILi128ELi8ELi4EEvPfPK15HIP_vector_typeIfLj2EEiiiiiiS1_IjLj3EES5_S5_
		.amdhsa_group_segment_fixed_size 0
		.amdhsa_private_segment_fixed_size 0
		.amdhsa_kernarg_size 76
		.amdhsa_user_sgpr_count 2
		.amdhsa_user_sgpr_dispatch_ptr 0
		.amdhsa_user_sgpr_queue_ptr 0
		.amdhsa_user_sgpr_kernarg_segment_ptr 1
		.amdhsa_user_sgpr_dispatch_id 0
		.amdhsa_user_sgpr_kernarg_preload_length 0
		.amdhsa_user_sgpr_kernarg_preload_offset 0
		.amdhsa_user_sgpr_private_segment_size 0
		.amdhsa_uses_dynamic_stack 0
		.amdhsa_enable_private_segment 0
		.amdhsa_system_sgpr_workgroup_id_x 1
		.amdhsa_system_sgpr_workgroup_id_y 1
		.amdhsa_system_sgpr_workgroup_id_z 1
		.amdhsa_system_sgpr_workgroup_info 0
		.amdhsa_system_vgpr_workitem_id 0
		.amdhsa_next_free_vgpr 17
		.amdhsa_next_free_sgpr 24
		.amdhsa_accum_offset 20
		.amdhsa_reserve_vcc 1
		.amdhsa_float_round_mode_32 0
		.amdhsa_float_round_mode_16_64 0
		.amdhsa_float_denorm_mode_32 3
		.amdhsa_float_denorm_mode_16_64 3
		.amdhsa_dx10_clamp 1
		.amdhsa_ieee_mode 1
		.amdhsa_fp16_overflow 0
		.amdhsa_tg_split 0
		.amdhsa_exception_fp_ieee_invalid_op 0
		.amdhsa_exception_fp_denorm_src 0
		.amdhsa_exception_fp_ieee_div_zero 0
		.amdhsa_exception_fp_ieee_overflow 0
		.amdhsa_exception_fp_ieee_underflow 0
		.amdhsa_exception_fp_ieee_inexact 0
		.amdhsa_exception_int_div_zero 0
	.end_amdhsa_kernel
	.section	.text._ZL33flash_attn_stream_k_fixup_uniformILi128ELi8ELi4EEvPfPK15HIP_vector_typeIfLj2EEiiiiiiS1_IjLj3EES5_S5_,"axG",@progbits,_ZL33flash_attn_stream_k_fixup_uniformILi128ELi8ELi4EEvPfPK15HIP_vector_typeIfLj2EEiiiiiiS1_IjLj3EES5_S5_,comdat
.Lfunc_end22:
	.size	_ZL33flash_attn_stream_k_fixup_uniformILi128ELi8ELi4EEvPfPK15HIP_vector_typeIfLj2EEiiiiiiS1_IjLj3EES5_S5_, .Lfunc_end22-_ZL33flash_attn_stream_k_fixup_uniformILi128ELi8ELi4EEvPfPK15HIP_vector_typeIfLj2EEiiiiiiS1_IjLj3EES5_S5_
                                        ; -- End function
	.set _ZL33flash_attn_stream_k_fixup_uniformILi128ELi8ELi4EEvPfPK15HIP_vector_typeIfLj2EEiiiiiiS1_IjLj3EES5_S5_.num_vgpr, 17
	.set _ZL33flash_attn_stream_k_fixup_uniformILi128ELi8ELi4EEvPfPK15HIP_vector_typeIfLj2EEiiiiiiS1_IjLj3EES5_S5_.num_agpr, 0
	.set _ZL33flash_attn_stream_k_fixup_uniformILi128ELi8ELi4EEvPfPK15HIP_vector_typeIfLj2EEiiiiiiS1_IjLj3EES5_S5_.numbered_sgpr, 24
	.set _ZL33flash_attn_stream_k_fixup_uniformILi128ELi8ELi4EEvPfPK15HIP_vector_typeIfLj2EEiiiiiiS1_IjLj3EES5_S5_.num_named_barrier, 0
	.set _ZL33flash_attn_stream_k_fixup_uniformILi128ELi8ELi4EEvPfPK15HIP_vector_typeIfLj2EEiiiiiiS1_IjLj3EES5_S5_.private_seg_size, 0
	.set _ZL33flash_attn_stream_k_fixup_uniformILi128ELi8ELi4EEvPfPK15HIP_vector_typeIfLj2EEiiiiiiS1_IjLj3EES5_S5_.uses_vcc, 1
	.set _ZL33flash_attn_stream_k_fixup_uniformILi128ELi8ELi4EEvPfPK15HIP_vector_typeIfLj2EEiiiiiiS1_IjLj3EES5_S5_.uses_flat_scratch, 0
	.set _ZL33flash_attn_stream_k_fixup_uniformILi128ELi8ELi4EEvPfPK15HIP_vector_typeIfLj2EEiiiiiiS1_IjLj3EES5_S5_.has_dyn_sized_stack, 0
	.set _ZL33flash_attn_stream_k_fixup_uniformILi128ELi8ELi4EEvPfPK15HIP_vector_typeIfLj2EEiiiiiiS1_IjLj3EES5_S5_.has_recursion, 0
	.set _ZL33flash_attn_stream_k_fixup_uniformILi128ELi8ELi4EEvPfPK15HIP_vector_typeIfLj2EEiiiiiiS1_IjLj3EES5_S5_.has_indirect_call, 0
	.section	.AMDGPU.csdata,"",@progbits
; Kernel info:
; codeLenInByte = 836
; TotalNumSgprs: 30
; NumVgprs: 17
; NumAgprs: 0
; TotalNumVgprs: 17
; ScratchSize: 0
; MemoryBound: 0
; FloatMode: 240
; IeeeMode: 1
; LDSByteSize: 0 bytes/workgroup (compile time only)
; SGPRBlocks: 3
; VGPRBlocks: 2
; NumSGPRsForWavesPerEU: 30
; NumVGPRsForWavesPerEU: 17
; AccumOffset: 20
; Occupancy: 8
; WaveLimiterHint : 0
; COMPUTE_PGM_RSRC2:SCRATCH_EN: 0
; COMPUTE_PGM_RSRC2:USER_SGPR: 2
; COMPUTE_PGM_RSRC2:TRAP_HANDLER: 0
; COMPUTE_PGM_RSRC2:TGID_X_EN: 1
; COMPUTE_PGM_RSRC2:TGID_Y_EN: 1
; COMPUTE_PGM_RSRC2:TGID_Z_EN: 1
; COMPUTE_PGM_RSRC2:TIDIG_COMP_CNT: 0
; COMPUTE_PGM_RSRC3_GFX90A:ACCUM_OFFSET: 4
; COMPUTE_PGM_RSRC3_GFX90A:TG_SPLIT: 0
	.section	.text._ZL33flash_attn_stream_k_fixup_generalILi128ELi8ELi4EEvPfPK15HIP_vector_typeIfLj2EEiiiiS1_IjLj3EES5_S5_S5_,"axG",@progbits,_ZL33flash_attn_stream_k_fixup_generalILi128ELi8ELi4EEvPfPK15HIP_vector_typeIfLj2EEiiiiS1_IjLj3EES5_S5_S5_,comdat
	.globl	_ZL33flash_attn_stream_k_fixup_generalILi128ELi8ELi4EEvPfPK15HIP_vector_typeIfLj2EEiiiiS1_IjLj3EES5_S5_S5_ ; -- Begin function _ZL33flash_attn_stream_k_fixup_generalILi128ELi8ELi4EEvPfPK15HIP_vector_typeIfLj2EEiiiiS1_IjLj3EES5_S5_S5_
	.p2align	8
	.type	_ZL33flash_attn_stream_k_fixup_generalILi128ELi8ELi4EEvPfPK15HIP_vector_typeIfLj2EEiiiiS1_IjLj3EES5_S5_S5_,@function
_ZL33flash_attn_stream_k_fixup_generalILi128ELi8ELi4EEvPfPK15HIP_vector_typeIfLj2EEiiiiS1_IjLj3EES5_S5_S5_: ; @_ZL33flash_attn_stream_k_fixup_generalILi128ELi8ELi4EEvPfPK15HIP_vector_typeIfLj2EEiiiiS1_IjLj3EES5_S5_S5_
; %bb.0:
	s_load_dwordx4 s[8:11], s[0:1], 0x10
	s_load_dword s22, s[0:1], 0x50
	s_mov_b32 s12, 0
	s_waitcnt lgkmcnt(0)
	s_mul_hi_i32 s13, s11, s2
	s_cmp_lg_u64 s[12:13], 0
	s_mul_i32 s5, s11, s2
	s_cbranch_scc0 .LBB23_20
; %bb.1:
	s_add_u32 s6, s22, 0
	s_addc_u32 s7, 0, 0
	s_xor_b64 s[6:7], s[6:7], 0
	v_cvt_f32_u32_e32 v1, s6
	v_cvt_f32_u32_e32 v2, s7
	s_sub_u32 s12, 0, s6
	s_subb_u32 s18, 0, s7
	v_fmamk_f32 v1, v2, 0x4f800000, v1
	v_rcp_f32_e32 v1, v1
	s_nop 0
	v_mul_f32_e32 v1, 0x5f7ffffc, v1
	v_mul_f32_e32 v2, 0x2f800000, v1
	v_trunc_f32_e32 v2, v2
	v_fmamk_f32 v1, v2, 0xcf800000, v1
	v_cvt_u32_f32_e32 v2, v2
	v_cvt_u32_f32_e32 v1, v1
	v_readfirstlane_b32 s19, v2
	v_readfirstlane_b32 s14, v1
	s_mul_i32 s15, s12, s19
	s_mul_hi_u32 s21, s12, s14
	s_mul_i32 s20, s18, s14
	s_add_i32 s15, s21, s15
	s_add_i32 s15, s15, s20
	s_mul_i32 s23, s12, s14
	s_mul_i32 s21, s14, s15
	s_mul_hi_u32 s24, s14, s23
	s_mul_hi_u32 s20, s14, s15
	s_add_u32 s21, s24, s21
	s_addc_u32 s20, 0, s20
	s_mul_hi_u32 s25, s19, s23
	s_mul_i32 s23, s19, s23
	s_add_u32 s21, s21, s23
	s_mul_hi_u32 s24, s19, s15
	s_addc_u32 s20, s20, s25
	s_addc_u32 s21, s24, 0
	s_mul_i32 s15, s19, s15
	s_add_u32 s15, s20, s15
	s_addc_u32 s20, 0, s21
	s_add_u32 s21, s14, s15
	s_cselect_b64 s[14:15], -1, 0
	s_cmp_lg_u64 s[14:15], 0
	s_addc_u32 s19, s19, s20
	s_mul_i32 s14, s12, s19
	s_mul_hi_u32 s15, s12, s21
	s_add_i32 s14, s15, s14
	s_mul_i32 s18, s18, s21
	s_add_i32 s14, s14, s18
	s_mul_i32 s12, s12, s21
	s_mul_hi_u32 s18, s19, s12
	s_mul_i32 s20, s19, s12
	s_mul_i32 s24, s21, s14
	s_mul_hi_u32 s12, s21, s12
	s_mul_hi_u32 s23, s21, s14
	s_add_u32 s12, s12, s24
	s_addc_u32 s23, 0, s23
	s_add_u32 s12, s12, s20
	s_mul_hi_u32 s15, s19, s14
	s_addc_u32 s12, s23, s18
	s_addc_u32 s15, s15, 0
	s_mul_i32 s14, s19, s14
	s_add_u32 s12, s12, s14
	s_addc_u32 s18, 0, s15
	s_add_u32 s20, s21, s12
	s_cselect_b64 s[14:15], -1, 0
	s_cmp_lg_u64 s[14:15], 0
	s_addc_u32 s18, s19, s18
	s_ashr_i32 s14, s13, 31
	s_add_u32 s12, s5, s14
	s_mov_b32 s15, s14
	s_addc_u32 s13, s13, s14
	s_xor_b64 s[12:13], s[12:13], s[14:15]
	s_mul_i32 s21, s12, s18
	s_mul_hi_u32 s23, s12, s20
	s_mul_hi_u32 s19, s12, s18
	s_add_u32 s21, s23, s21
	s_addc_u32 s19, 0, s19
	s_mul_hi_u32 s24, s13, s20
	s_mul_i32 s20, s13, s20
	s_add_u32 s20, s21, s20
	s_mul_hi_u32 s23, s13, s18
	s_addc_u32 s19, s19, s24
	s_addc_u32 s20, s23, 0
	s_mul_i32 s18, s13, s18
	s_add_u32 s23, s19, s18
	s_addc_u32 s24, 0, s20
	s_mul_i32 s18, s6, s24
	s_mul_hi_u32 s19, s6, s23
	s_add_i32 s18, s19, s18
	s_mul_i32 s19, s7, s23
	s_add_i32 s25, s18, s19
	s_sub_i32 s20, s13, s25
	s_mul_i32 s18, s6, s23
	s_sub_u32 s12, s12, s18
	s_cselect_b64 s[18:19], -1, 0
	s_cmp_lg_u64 s[18:19], 0
	s_subb_u32 s26, s20, s7
	s_sub_u32 s27, s12, s6
	s_cselect_b64 s[20:21], -1, 0
	s_cmp_lg_u64 s[20:21], 0
	s_subb_u32 s20, s26, 0
	s_cmp_ge_u32 s20, s7
	s_cselect_b32 s21, -1, 0
	s_cmp_ge_u32 s27, s6
	s_cselect_b32 s26, -1, 0
	s_cmp_eq_u32 s20, s7
	s_cselect_b32 s20, s26, s21
	s_add_u32 s21, s23, 1
	s_addc_u32 s26, s24, 0
	s_add_u32 s27, s23, 2
	s_addc_u32 s28, s24, 0
	s_cmp_lg_u32 s20, 0
	s_cselect_b32 s20, s27, s21
	s_cselect_b32 s21, s28, s26
	s_cmp_lg_u64 s[18:19], 0
	s_subb_u32 s13, s13, s25
	s_cmp_ge_u32 s13, s7
	s_cselect_b32 s18, -1, 0
	s_cmp_ge_u32 s12, s6
	s_cselect_b32 s6, -1, 0
	s_cmp_eq_u32 s13, s7
	s_cselect_b32 s6, s6, s18
	s_cmp_lg_u32 s6, 0
	s_cselect_b32 s7, s21, s24
	s_cselect_b32 s6, s20, s23
	s_xor_b64 s[12:13], s[14:15], 0
	s_xor_b64 s[6:7], s[6:7], s[12:13]
	s_sub_u32 s6, s6, s12
	s_load_dwordx4 s[12:15], s[0:1], 0x44
	s_cbranch_execnz .LBB23_3
.LBB23_2:
	v_cvt_f32_u32_e32 v1, s22
	s_sub_i32 s6, 0, s22
	v_rcp_iflag_f32_e32 v1, v1
	s_nop 0
	v_mul_f32_e32 v1, 0x4f7ffffe, v1
	v_cvt_u32_f32_e32 v1, v1
	s_nop 0
	v_readfirstlane_b32 s7, v1
	s_mul_i32 s6, s6, s7
	s_mul_hi_u32 s6, s7, s6
	s_add_i32 s7, s7, s6
	s_mul_hi_u32 s6, s5, s7
	s_waitcnt lgkmcnt(0)
	s_mul_i32 s15, s6, s22
	s_sub_i32 s5, s5, s15
	s_add_i32 s7, s6, 1
	s_sub_i32 s15, s5, s22
	s_cmp_ge_u32 s5, s22
	s_cselect_b32 s6, s7, s6
	s_cselect_b32 s5, s15, s5
	s_add_i32 s7, s6, 1
	s_cmp_ge_u32 s5, s22
	s_cselect_b32 s6, s7, s6
.LBB23_3:
	s_add_i32 s5, s2, 1
	s_mul_hi_i32 s21, s11, s5
	s_mov_b32 s20, 0
	s_cmp_lg_u64 s[20:21], 0
	s_mul_i32 s5, s11, s5
	s_cbranch_scc0 .LBB23_21
; %bb.4:
	s_add_u32 s16, s22, 0
	s_addc_u32 s17, 0, 0
	s_xor_b64 s[18:19], s[16:17], 0
	v_cvt_f32_u32_e32 v1, s18
	v_cvt_f32_u32_e32 v2, s19
	s_sub_u32 s7, 0, s18
	s_waitcnt lgkmcnt(0)
	s_subb_u32 s15, 0, s19
	v_fmamk_f32 v1, v2, 0x4f800000, v1
	v_rcp_f32_e32 v1, v1
	s_nop 0
	v_mul_f32_e32 v1, 0x5f7ffffc, v1
	v_mul_f32_e32 v2, 0x2f800000, v1
	v_trunc_f32_e32 v2, v2
	v_fmamk_f32 v1, v2, 0xcf800000, v1
	v_cvt_u32_f32_e32 v2, v2
	v_cvt_u32_f32_e32 v1, v1
	v_readfirstlane_b32 s20, v2
	v_readfirstlane_b32 s23, v1
	s_mul_i32 s24, s7, s20
	s_mul_hi_u32 s26, s7, s23
	s_mul_i32 s25, s15, s23
	s_add_i32 s24, s26, s24
	s_add_i32 s24, s24, s25
	s_mul_i32 s27, s7, s23
	s_mul_i32 s26, s23, s24
	s_mul_hi_u32 s28, s23, s27
	s_mul_hi_u32 s25, s23, s24
	s_add_u32 s26, s28, s26
	s_addc_u32 s25, 0, s25
	s_mul_hi_u32 s29, s20, s27
	s_mul_i32 s27, s20, s27
	s_add_u32 s26, s26, s27
	s_mul_hi_u32 s28, s20, s24
	s_addc_u32 s25, s25, s29
	s_addc_u32 s26, s28, 0
	s_mul_i32 s24, s20, s24
	s_add_u32 s24, s25, s24
	s_addc_u32 s26, 0, s26
	s_add_u32 s23, s23, s24
	s_cselect_b64 s[24:25], -1, 0
	s_cmp_lg_u64 s[24:25], 0
	s_addc_u32 s20, s20, s26
	s_mul_i32 s24, s7, s20
	s_mul_hi_u32 s25, s7, s23
	s_add_i32 s24, s25, s24
	s_mul_i32 s15, s15, s23
	s_add_i32 s24, s24, s15
	s_mul_i32 s7, s7, s23
	s_mul_hi_u32 s25, s20, s7
	s_mul_i32 s26, s20, s7
	s_mul_i32 s28, s23, s24
	s_mul_hi_u32 s7, s23, s7
	s_mul_hi_u32 s27, s23, s24
	s_add_u32 s7, s7, s28
	s_addc_u32 s27, 0, s27
	s_add_u32 s7, s7, s26
	s_mul_hi_u32 s15, s20, s24
	s_addc_u32 s7, s27, s25
	s_addc_u32 s15, s15, 0
	s_mul_i32 s24, s20, s24
	s_add_u32 s7, s7, s24
	s_addc_u32 s15, 0, s15
	s_add_u32 s7, s23, s7
	s_cselect_b64 s[24:25], -1, 0
	s_cmp_lg_u64 s[24:25], 0
	s_addc_u32 s15, s20, s15
	s_ashr_i32 s24, s21, 31
	s_add_u32 s20, s5, s24
	s_mov_b32 s25, s24
	s_addc_u32 s21, s21, s24
	s_xor_b64 s[20:21], s[20:21], s[24:25]
	s_mul_i32 s26, s20, s15
	s_mul_hi_u32 s27, s20, s7
	s_mul_hi_u32 s23, s20, s15
	s_add_u32 s26, s27, s26
	s_addc_u32 s23, 0, s23
	s_mul_hi_u32 s28, s21, s7
	s_mul_i32 s7, s21, s7
	s_add_u32 s7, s26, s7
	s_mul_hi_u32 s27, s21, s15
	s_addc_u32 s7, s23, s28
	s_addc_u32 s23, s27, 0
	s_mul_i32 s15, s21, s15
	s_add_u32 s7, s7, s15
	s_addc_u32 s15, 0, s23
	s_mul_i32 s23, s18, s15
	s_mul_hi_u32 s26, s18, s7
	s_add_i32 s23, s26, s23
	s_mul_i32 s26, s19, s7
	s_add_i32 s23, s23, s26
	s_sub_i32 s28, s21, s23
	s_mul_i32 s26, s18, s7
	s_sub_u32 s20, s20, s26
	s_cselect_b64 s[26:27], -1, 0
	s_cmp_lg_u64 s[26:27], 0
	s_subb_u32 s30, s28, s19
	s_sub_u32 s31, s20, s18
	s_cselect_b64 s[28:29], -1, 0
	s_cmp_lg_u64 s[28:29], 0
	s_subb_u32 s28, s30, 0
	s_cmp_ge_u32 s28, s19
	s_cselect_b32 s29, -1, 0
	s_cmp_ge_u32 s31, s18
	s_cselect_b32 s30, -1, 0
	s_cmp_eq_u32 s28, s19
	s_cselect_b32 s28, s30, s29
	s_add_u32 s29, s7, 1
	s_addc_u32 s30, s15, 0
	s_add_u32 s31, s7, 2
	s_addc_u32 s33, s15, 0
	s_cmp_lg_u32 s28, 0
	s_cselect_b32 s28, s31, s29
	s_cselect_b32 s29, s33, s30
	s_cmp_lg_u64 s[26:27], 0
	s_subb_u32 s21, s21, s23
	s_cmp_ge_u32 s21, s19
	s_cselect_b32 s23, -1, 0
	s_cmp_ge_u32 s20, s18
	s_cselect_b32 s18, -1, 0
	s_cmp_eq_u32 s21, s19
	s_cselect_b32 s18, s18, s23
	s_cmp_lg_u32 s18, 0
	s_cselect_b32 s19, s29, s15
	s_cselect_b32 s18, s28, s7
	s_xor_b64 s[20:21], s[24:25], 0
	s_xor_b64 s[18:19], s[18:19], s[20:21]
	s_sub_u32 s18, s18, s20
	s_cbranch_execnz .LBB23_6
.LBB23_5:
	v_cvt_f32_u32_e32 v1, s22
	s_sub_i32 s7, 0, s22
	v_rcp_iflag_f32_e32 v1, v1
	s_nop 0
	v_mul_f32_e32 v1, 0x4f7ffffe, v1
	v_cvt_u32_f32_e32 v1, v1
	s_waitcnt lgkmcnt(0)
	v_readfirstlane_b32 s15, v1
	s_mul_i32 s7, s7, s15
	s_mul_hi_u32 s7, s15, s7
	s_add_i32 s15, s15, s7
	s_mul_hi_u32 s7, s5, s15
	s_mul_i32 s16, s7, s22
	s_sub_i32 s5, s5, s16
	s_add_i32 s15, s7, 1
	s_sub_i32 s16, s5, s22
	s_cmp_ge_u32 s5, s22
	s_cselect_b32 s7, s15, s7
	s_cselect_b32 s5, s16, s5
	s_add_i32 s15, s7, 1
	s_cmp_ge_u32 s5, s22
	s_cselect_b32 s18, s15, s7
.LBB23_6:
	s_cmp_eq_u32 s6, s18
	s_waitcnt lgkmcnt(0)
	s_mul_hi_u32 s5, s6, s12
	s_cselect_b64 s[16:17], -1, 0
	s_add_i32 s5, s5, s6
	s_lshr_b32 s7, s5, s13
	s_mul_i32 s5, s7, s14
	s_cmp_eq_u32 s5, s6
	s_mul_hi_u32 s5, s18, s12
	s_cselect_b64 s[20:21], -1, 0
	s_add_i32 s5, s5, s18
	s_lshr_b32 s5, s5, s13
	s_cmp_eq_u32 s7, s5
	s_mul_i32 s5, s5, s14
	s_cselect_b64 s[24:25], -1, 0
	s_cmp_lg_u32 s5, s18
	s_cselect_b64 s[18:19], -1, 0
	s_and_b64 s[18:19], s[24:25], s[18:19]
	s_or_b64 s[16:17], s[16:17], s[20:21]
	s_or_b64 s[16:17], s[16:17], s[18:19]
	s_and_b64 vcc, exec, s[16:17]
	s_cbranch_vccnz .LBB23_23
; %bb.7:
	s_load_dwordx8 s[24:31], s[0:1], 0x20
	s_load_dword s15, s[0:1], 0x40
	s_waitcnt lgkmcnt(0)
	s_mul_hi_u32 s5, s6, s24
	s_add_i32 s5, s5, s6
	s_lshr_b32 s5, s5, s25
	s_mul_i32 s16, s5, s26
	s_sub_i32 s16, s6, s16
	s_mul_hi_u32 s17, s16, s27
	s_add_i32 s17, s16, s17
	s_lshr_b32 s20, s17, s28
	s_mul_i32 s17, s20, s29
	s_sub_i32 s16, s16, s17
	;; [unrolled: 5-line block ×3, first 2 shown]
	s_mul_hi_u32 s16, s15, s12
	s_add_i32 s15, s15, s16
	s_lshr_b32 s23, s15, s13
	s_lshl_b32 s15, s23, 3
	s_lshl_b32 s21, s17, 2
	s_add_i32 s15, s15, s3
	s_cmp_lt_i32 s15, s8
	s_cselect_b64 s[16:17], -1, 0
	s_add_i32 s15, s21, s4
	s_cmp_lt_i32 s15, s10
	s_cselect_b64 s[18:19], -1, 0
	s_and_b64 s[16:17], s[16:17], s[18:19]
	s_andn2_b64 vcc, exec, s[16:17]
	s_cbranch_vccnz .LBB23_23
; %bb.8:
	s_load_dwordx4 s[16:19], s[0:1], 0x0
	s_mov_b32 s0, 0
	s_lshl_b32 s15, s3, 2
	s_lshl_b32 s24, s22, 7
	s_mov_b32 s25, s0
	s_add_i32 s15, s15, s4
	s_waitcnt lgkmcnt(0)
	v_mov_b32_e32 v2, s16
	v_mov_b32_e32 v3, s17
	s_lshl_b64 s[16:17], s[24:25], 2
	s_add_u32 s16, s18, s16
	s_mul_i32 s1, s5, s8
	s_addc_u32 s17, s19, s17
	s_add_i32 s1, s1, s3
	s_mul_i32 s1, s1, s9
	s_mul_i32 s20, s20, s10
	s_add_i32 s1, s1, s4
	s_add_i32 s1, s1, s20
	s_mul_i32 s5, s9, s23
	s_add_i32 s1, s1, s21
	s_lshl_b32 s5, s5, 10
	s_lshl_b32 s1, s1, 7
	s_add_i32 s5, s5, s1
	v_or_b32_e32 v4, s5, v0
	v_ashrrev_i32_e32 v5, 31, v4
	v_lshl_add_u64 v[2:3], v[4:5], 2, v[2:3]
	global_load_dword v1, v[2:3], off
	v_cvt_f32_u32_e32 v4, s22
	s_lshl_b32 s1, s2, 5
	s_add_i32 s4, s15, s1
	s_ashr_i32 s5, s4, 31
	s_lshl_b64 s[4:5], s[4:5], 3
	v_rcp_iflag_f32_e32 v4, v4
	s_add_u32 s4, s18, s4
	s_addc_u32 s5, s19, s5
	s_load_dwordx2 s[4:5], s[4:5], 0x0
	v_mul_f32_e32 v4, 0x4f7ffffe, v4
	v_cvt_u32_f32_e32 v7, v4
	s_add_i32 s24, s2, -1
	v_lshl_or_b32 v6, s15, 7, v0
	s_waitcnt lgkmcnt(0)
	v_mov_b32_e32 v0, s5
	v_mov_b32_e32 v9, s4
	s_mov_b32 s10, 0x3fb8aa3b
	s_mov_b32 s20, 0xc2ce8ed0
	;; [unrolled: 1-line block ×4, first 2 shown]
	v_mov_b32_e32 v8, 0x7f800000
	s_mul_hi_i32 s1, s24, s11
	s_cmp_lg_u64 s[0:1], 0
	s_mul_i32 s8, s24, s11
	s_cbranch_scc0 .LBB23_19
.LBB23_9:
	s_add_u32 s2, s22, 0
	s_addc_u32 s3, 0, 0
	s_xor_b64 s[2:3], s[2:3], 0
	v_cvt_f32_u32_e32 v4, s2
	v_cvt_f32_u32_e32 v5, s3
	s_sub_u32 s9, 0, s2
	s_subb_u32 s25, 0, s3
	v_fmac_f32_e32 v4, 0x4f800000, v5
	v_rcp_f32_e32 v4, v4
	s_nop 0
	v_mul_f32_e32 v4, 0x5f7ffffc, v4
	v_mul_f32_e32 v5, 0x2f800000, v4
	v_trunc_f32_e32 v5, v5
	v_fmac_f32_e32 v4, 0xcf800000, v5
	v_cvt_u32_f32_e32 v5, v5
	v_cvt_u32_f32_e32 v4, v4
	v_readfirstlane_b32 s26, v5
	v_readfirstlane_b32 s4, v4
	s_mul_i32 s5, s9, s26
	s_mul_hi_u32 s28, s9, s4
	s_mul_i32 s27, s25, s4
	s_add_i32 s5, s28, s5
	s_mul_i32 s29, s9, s4
	s_add_i32 s5, s5, s27
	s_mul_i32 s28, s4, s5
	s_mul_hi_u32 s30, s4, s29
	s_mul_hi_u32 s27, s4, s5
	s_add_u32 s28, s30, s28
	s_addc_u32 s27, 0, s27
	s_mul_hi_u32 s31, s26, s29
	s_mul_i32 s29, s26, s29
	s_add_u32 s28, s28, s29
	s_mul_hi_u32 s30, s26, s5
	s_addc_u32 s27, s27, s31
	s_addc_u32 s28, s30, 0
	s_mul_i32 s5, s26, s5
	s_add_u32 s5, s27, s5
	s_addc_u32 s27, 0, s28
	s_add_u32 s28, s4, s5
	s_cselect_b64 s[4:5], -1, 0
	s_cmp_lg_u64 s[4:5], 0
	s_addc_u32 s26, s26, s27
	s_mul_i32 s4, s9, s26
	s_mul_hi_u32 s5, s9, s28
	s_add_i32 s4, s5, s4
	s_mul_i32 s25, s25, s28
	s_add_i32 s4, s4, s25
	s_mul_i32 s9, s9, s28
	s_mul_hi_u32 s25, s26, s9
	s_mul_i32 s27, s26, s9
	s_mul_i32 s30, s28, s4
	s_mul_hi_u32 s9, s28, s9
	s_mul_hi_u32 s29, s28, s4
	s_add_u32 s9, s9, s30
	s_addc_u32 s29, 0, s29
	s_add_u32 s9, s9, s27
	s_mul_hi_u32 s5, s26, s4
	s_addc_u32 s9, s29, s25
	s_addc_u32 s5, s5, 0
	s_mul_i32 s4, s26, s4
	s_add_u32 s4, s9, s4
	s_addc_u32 s9, 0, s5
	s_add_u32 s25, s28, s4
	s_cselect_b64 s[4:5], -1, 0
	s_cmp_lg_u64 s[4:5], 0
	s_addc_u32 s9, s26, s9
	s_ashr_i32 s4, s1, 31
	s_add_u32 s26, s8, s4
	s_mov_b32 s5, s4
	s_addc_u32 s27, s1, s4
	s_xor_b64 s[26:27], s[26:27], s[4:5]
	s_mul_i32 s28, s26, s9
	s_mul_hi_u32 s29, s26, s25
	s_mul_hi_u32 s1, s26, s9
	s_add_u32 s28, s29, s28
	s_addc_u32 s1, 0, s1
	s_mul_hi_u32 s30, s27, s25
	s_mul_i32 s25, s27, s25
	s_add_u32 s25, s28, s25
	s_mul_hi_u32 s29, s27, s9
	s_addc_u32 s1, s1, s30
	s_addc_u32 s25, s29, 0
	s_mul_i32 s9, s27, s9
	s_add_u32 s1, s1, s9
	s_addc_u32 s9, 0, s25
	s_mul_i32 s25, s2, s9
	s_mul_hi_u32 s28, s2, s1
	s_add_i32 s25, s28, s25
	s_mul_i32 s28, s3, s1
	s_add_i32 s25, s25, s28
	s_sub_i32 s30, s27, s25
	s_mul_i32 s28, s2, s1
	s_sub_u32 s26, s26, s28
	s_cselect_b64 s[28:29], -1, 0
	s_cmp_lg_u64 s[28:29], 0
	s_subb_u32 s33, s30, s3
	s_sub_u32 s34, s26, s2
	s_cselect_b64 s[30:31], -1, 0
	s_cmp_lg_u64 s[30:31], 0
	s_subb_u32 s30, s33, 0
	s_cmp_ge_u32 s30, s3
	s_cselect_b32 s31, -1, 0
	s_cmp_ge_u32 s34, s2
	s_cselect_b32 s33, -1, 0
	s_cmp_eq_u32 s30, s3
	s_cselect_b32 s30, s33, s31
	s_add_u32 s31, s1, 1
	s_addc_u32 s33, s9, 0
	s_add_u32 s34, s1, 2
	s_addc_u32 s35, s9, 0
	s_cmp_lg_u32 s30, 0
	s_cselect_b32 s30, s34, s31
	s_cselect_b32 s31, s35, s33
	s_cmp_lg_u64 s[28:29], 0
	s_subb_u32 s25, s27, s25
	s_cmp_ge_u32 s25, s3
	s_cselect_b32 s27, -1, 0
	s_cmp_ge_u32 s26, s2
	s_cselect_b32 s2, -1, 0
	s_cmp_eq_u32 s25, s3
	s_cselect_b32 s2, s2, s27
	s_cmp_lg_u32 s2, 0
	s_cselect_b32 s3, s31, s9
	s_cselect_b32 s2, s30, s1
	s_xor_b64 s[4:5], s[4:5], 0
	s_xor_b64 s[2:3], s[2:3], s[4:5]
	s_sub_u32 s4, s2, s4
	s_cbranch_execnz .LBB23_11
.LBB23_10:
	s_sub_i32 s1, 0, s22
	v_readfirstlane_b32 s2, v7
	s_mul_i32 s1, s1, s2
	s_mul_hi_u32 s1, s2, s1
	s_add_i32 s2, s2, s1
	s_mul_hi_u32 s1, s8, s2
	s_mul_i32 s3, s1, s22
	s_sub_i32 s3, s8, s3
	s_add_i32 s2, s1, 1
	s_sub_i32 s4, s3, s22
	s_cmp_ge_u32 s3, s22
	s_cselect_b32 s1, s2, s1
	s_cselect_b32 s3, s4, s3
	s_add_i32 s2, s1, 1
	s_cmp_ge_u32 s3, s22
	s_cselect_b32 s4, s2, s1
.LBB23_11:
	s_cmp_lg_u32 s6, s4
	s_cbranch_scc0 .LBB23_15
; %bb.12:
	s_add_i32 s1, s24, s22
	s_lshl_b32 s1, s1, 5
	s_add_i32 s2, s1, s15
	s_mov_b32 s3, s0
	s_lshl_b64 s[2:3], s[2:3], 3
	s_add_u32 s8, s18, s2
	s_mul_hi_u32 s1, s4, s12
	s_addc_u32 s9, s19, s3
	s_add_i32 s1, s1, s4
	s_lshr_b32 s1, s1, s13
	s_mul_i32 s2, s1, s14
	s_cmp_eq_u32 s2, s4
	s_cselect_b64 s[2:3], -1, 0
	s_cmp_lt_u32 s1, s7
	s_cselect_b64 s[26:27], -1, 0
	s_or_b64 s[26:27], s[26:27], s[2:3]
	s_mov_b64 s[2:3], -1
	s_and_b64 vcc, exec, s[26:27]
	s_mov_b32 s1, s24
	s_mov_b32 s25, s6
	s_cbranch_vccnz .LBB23_14
; %bb.13:
	s_add_i32 s1, s24, -1
	s_mov_b64 s[2:3], 0
	s_mov_b32 s25, s4
.LBB23_14:
	v_lshl_add_u32 v4, s24, 12, v6
	v_ashrrev_i32_e32 v5, 31, v4
	v_lshl_add_u64 v[4:5], v[4:5], 2, s[16:17]
	global_load_dword v5, v[4:5], off
	s_load_dwordx2 s[4:5], s[8:9], 0x0
	v_max_f32_e32 v4, v9, v9
	s_waitcnt lgkmcnt(0)
	v_max_f32_e64 v10, s4, s4
	v_max_f32_e32 v10, v4, v10
	v_sub_f32_e32 v11, v9, v10
	v_sub_f32_e32 v13, s4, v10
	v_mul_f32_e32 v4, 0x3fb8aa3b, v11
	v_mul_f32_e32 v12, 0x3fb8aa3b, v13
	v_fma_f32 v14, v11, s10, -v4
	v_rndne_f32_e32 v15, v4
	v_fma_f32 v16, v13, s10, -v12
	v_rndne_f32_e32 v17, v12
	v_fmac_f32_e32 v14, 0x32a5705f, v11
	v_sub_f32_e32 v4, v4, v15
	v_fmac_f32_e32 v16, 0x32a5705f, v13
	v_sub_f32_e32 v12, v12, v17
	v_add_f32_e32 v4, v4, v14
	v_cvt_i32_f32_e32 v15, v15
	v_add_f32_e32 v12, v12, v16
	v_exp_f32_e32 v14, v4
	v_cvt_i32_f32_e32 v17, v17
	v_exp_f32_e32 v12, v12
	v_cmp_ngt_f32_e32 vcc, s20, v11
	v_ldexp_f32 v14, v14, v15
	v_mov_b32_e32 v4, s5
	v_ldexp_f32 v12, v12, v17
	v_cndmask_b32_e32 v14, 0, v14, vcc
	v_cmp_ngt_f32_e32 vcc, s20, v13
	s_nop 1
	v_cndmask_b32_e32 v12, 0, v12, vcc
	v_cmp_nlt_f32_e32 vcc, s21, v11
	s_nop 1
	v_cndmask_b32_e32 v14, v8, v14, vcc
	v_cmp_nlt_f32_e32 vcc, s21, v13
	s_nop 1
	v_cndmask_b32_e32 v15, v8, v12, vcc
	v_cmp_le_f32_e32 vcc, s23, v11
	s_nop 1
	v_cndmask_b32_e32 v12, 0, v14, vcc
	v_cmp_le_f32_e32 vcc, s23, v13
	s_nop 1
	v_cndmask_b32_e32 v14, 0, v15, vcc
	s_waitcnt vmcnt(0)
	v_pk_mul_f32 v[4:5], v[4:5], v[14:15] op_sel_hi:[1,0]
	s_nop 0
	v_pk_fma_f32 v[4:5], v[0:1], v[12:13], v[4:5] op_sel_hi:[1,0,1]
	s_cbranch_execz .LBB23_16
	s_branch .LBB23_17
.LBB23_15:
                                        ; implicit-def: $vgpr4_vgpr5
                                        ; implicit-def: $sgpr2_sgpr3
                                        ; implicit-def: $vgpr10
                                        ; implicit-def: $sgpr1
                                        ; implicit-def: $sgpr25
.LBB23_16:
	s_add_i32 s1, s24, -1
	s_mov_b64 s[2:3], 0
	s_mov_b32 s25, s6
	v_mov_b32_e32 v10, v9
	s_waitcnt vmcnt(0)
	v_mov_b64_e32 v[4:5], v[0:1]
.LBB23_17:
	s_andn2_b64 vcc, exec, s[2:3]
	s_cbranch_vccz .LBB23_22
; %bb.18:
	s_mov_b32 s6, s25
	s_mov_b32 s24, s1
	v_mov_b32_e32 v9, v10
	s_waitcnt vmcnt(0)
	v_mov_b64_e32 v[0:1], v[4:5]
	s_mul_hi_i32 s1, s24, s11
	s_cmp_lg_u64 s[0:1], 0
	s_mul_i32 s8, s24, s11
	s_cbranch_scc1 .LBB23_9
.LBB23_19:
                                        ; implicit-def: $sgpr4_sgpr5
	s_branch .LBB23_10
.LBB23_20:
                                        ; implicit-def: $sgpr6_sgpr7
	s_load_dwordx4 s[12:15], s[0:1], 0x44
	s_branch .LBB23_2
.LBB23_21:
                                        ; implicit-def: $sgpr18_sgpr19
	s_branch .LBB23_5
.LBB23_22:
	v_div_scale_f32 v0, s[0:1], v4, v4, v5
	s_waitcnt vmcnt(0)
	v_rcp_f32_e32 v1, v0
	v_div_scale_f32 v6, vcc, v5, v4, v5
	v_fma_f32 v7, -v0, v1, 1.0
	v_fmac_f32_e32 v1, v7, v1
	v_mul_f32_e32 v7, v6, v1
	v_fma_f32 v8, -v0, v7, v6
	v_fmac_f32_e32 v7, v8, v1
	v_fma_f32 v0, -v0, v7, v6
	v_div_fmas_f32 v0, v0, v1, v7
	v_div_fixup_f32 v0, v0, v4, v5
	global_store_dword v[2:3], v0, off
.LBB23_23:
	s_endpgm
	.section	.rodata,"a",@progbits
	.p2align	6, 0x0
	.amdhsa_kernel _ZL33flash_attn_stream_k_fixup_generalILi128ELi8ELi4EEvPfPK15HIP_vector_typeIfLj2EEiiiiS1_IjLj3EES5_S5_S5_
		.amdhsa_group_segment_fixed_size 0
		.amdhsa_private_segment_fixed_size 0
		.amdhsa_kernarg_size 336
		.amdhsa_user_sgpr_count 2
		.amdhsa_user_sgpr_dispatch_ptr 0
		.amdhsa_user_sgpr_queue_ptr 0
		.amdhsa_user_sgpr_kernarg_segment_ptr 1
		.amdhsa_user_sgpr_dispatch_id 0
		.amdhsa_user_sgpr_kernarg_preload_length 0
		.amdhsa_user_sgpr_kernarg_preload_offset 0
		.amdhsa_user_sgpr_private_segment_size 0
		.amdhsa_uses_dynamic_stack 0
		.amdhsa_enable_private_segment 0
		.amdhsa_system_sgpr_workgroup_id_x 1
		.amdhsa_system_sgpr_workgroup_id_y 1
		.amdhsa_system_sgpr_workgroup_id_z 1
		.amdhsa_system_sgpr_workgroup_info 0
		.amdhsa_system_vgpr_workitem_id 0
		.amdhsa_next_free_vgpr 18
		.amdhsa_next_free_sgpr 36
		.amdhsa_accum_offset 20
		.amdhsa_reserve_vcc 1
		.amdhsa_float_round_mode_32 0
		.amdhsa_float_round_mode_16_64 0
		.amdhsa_float_denorm_mode_32 3
		.amdhsa_float_denorm_mode_16_64 3
		.amdhsa_dx10_clamp 1
		.amdhsa_ieee_mode 1
		.amdhsa_fp16_overflow 0
		.amdhsa_tg_split 0
		.amdhsa_exception_fp_ieee_invalid_op 0
		.amdhsa_exception_fp_denorm_src 0
		.amdhsa_exception_fp_ieee_div_zero 0
		.amdhsa_exception_fp_ieee_overflow 0
		.amdhsa_exception_fp_ieee_underflow 0
		.amdhsa_exception_fp_ieee_inexact 0
		.amdhsa_exception_int_div_zero 0
	.end_amdhsa_kernel
	.section	.text._ZL33flash_attn_stream_k_fixup_generalILi128ELi8ELi4EEvPfPK15HIP_vector_typeIfLj2EEiiiiS1_IjLj3EES5_S5_S5_,"axG",@progbits,_ZL33flash_attn_stream_k_fixup_generalILi128ELi8ELi4EEvPfPK15HIP_vector_typeIfLj2EEiiiiS1_IjLj3EES5_S5_S5_,comdat
.Lfunc_end23:
	.size	_ZL33flash_attn_stream_k_fixup_generalILi128ELi8ELi4EEvPfPK15HIP_vector_typeIfLj2EEiiiiS1_IjLj3EES5_S5_S5_, .Lfunc_end23-_ZL33flash_attn_stream_k_fixup_generalILi128ELi8ELi4EEvPfPK15HIP_vector_typeIfLj2EEiiiiS1_IjLj3EES5_S5_S5_
                                        ; -- End function
	.set _ZL33flash_attn_stream_k_fixup_generalILi128ELi8ELi4EEvPfPK15HIP_vector_typeIfLj2EEiiiiS1_IjLj3EES5_S5_S5_.num_vgpr, 18
	.set _ZL33flash_attn_stream_k_fixup_generalILi128ELi8ELi4EEvPfPK15HIP_vector_typeIfLj2EEiiiiS1_IjLj3EES5_S5_S5_.num_agpr, 0
	.set _ZL33flash_attn_stream_k_fixup_generalILi128ELi8ELi4EEvPfPK15HIP_vector_typeIfLj2EEiiiiS1_IjLj3EES5_S5_S5_.numbered_sgpr, 36
	.set _ZL33flash_attn_stream_k_fixup_generalILi128ELi8ELi4EEvPfPK15HIP_vector_typeIfLj2EEiiiiS1_IjLj3EES5_S5_S5_.num_named_barrier, 0
	.set _ZL33flash_attn_stream_k_fixup_generalILi128ELi8ELi4EEvPfPK15HIP_vector_typeIfLj2EEiiiiS1_IjLj3EES5_S5_S5_.private_seg_size, 0
	.set _ZL33flash_attn_stream_k_fixup_generalILi128ELi8ELi4EEvPfPK15HIP_vector_typeIfLj2EEiiiiS1_IjLj3EES5_S5_S5_.uses_vcc, 1
	.set _ZL33flash_attn_stream_k_fixup_generalILi128ELi8ELi4EEvPfPK15HIP_vector_typeIfLj2EEiiiiS1_IjLj3EES5_S5_S5_.uses_flat_scratch, 0
	.set _ZL33flash_attn_stream_k_fixup_generalILi128ELi8ELi4EEvPfPK15HIP_vector_typeIfLj2EEiiiiS1_IjLj3EES5_S5_S5_.has_dyn_sized_stack, 0
	.set _ZL33flash_attn_stream_k_fixup_generalILi128ELi8ELi4EEvPfPK15HIP_vector_typeIfLj2EEiiiiS1_IjLj3EES5_S5_S5_.has_recursion, 0
	.set _ZL33flash_attn_stream_k_fixup_generalILi128ELi8ELi4EEvPfPK15HIP_vector_typeIfLj2EEiiiiS1_IjLj3EES5_S5_S5_.has_indirect_call, 0
	.section	.AMDGPU.csdata,"",@progbits
; Kernel info:
; codeLenInByte = 2940
; TotalNumSgprs: 42
; NumVgprs: 18
; NumAgprs: 0
; TotalNumVgprs: 18
; ScratchSize: 0
; MemoryBound: 0
; FloatMode: 240
; IeeeMode: 1
; LDSByteSize: 0 bytes/workgroup (compile time only)
; SGPRBlocks: 5
; VGPRBlocks: 2
; NumSGPRsForWavesPerEU: 42
; NumVGPRsForWavesPerEU: 18
; AccumOffset: 20
; Occupancy: 8
; WaveLimiterHint : 0
; COMPUTE_PGM_RSRC2:SCRATCH_EN: 0
; COMPUTE_PGM_RSRC2:USER_SGPR: 2
; COMPUTE_PGM_RSRC2:TRAP_HANDLER: 0
; COMPUTE_PGM_RSRC2:TGID_X_EN: 1
; COMPUTE_PGM_RSRC2:TGID_Y_EN: 1
; COMPUTE_PGM_RSRC2:TGID_Z_EN: 1
; COMPUTE_PGM_RSRC2:TIDIG_COMP_CNT: 0
; COMPUTE_PGM_RSRC3_GFX90A:ACCUM_OFFSET: 4
; COMPUTE_PGM_RSRC3_GFX90A:TG_SPLIT: 0
	.section	.text._ZL15flash_attn_tileILi128ELi128ELi4ELi4ELb0EEvPKcS1_S1_S1_S1_PKiPfP15HIP_vector_typeIfLj2EEffffjfiS5_IjLj3EEiiiiiiiiiiiliiliiiiil,"axG",@progbits,_ZL15flash_attn_tileILi128ELi128ELi4ELi4ELb0EEvPKcS1_S1_S1_S1_PKiPfP15HIP_vector_typeIfLj2EEffffjfiS5_IjLj3EEiiiiiiiiiiiliiliiiiil,comdat
	.globl	_ZL15flash_attn_tileILi128ELi128ELi4ELi4ELb0EEvPKcS1_S1_S1_S1_PKiPfP15HIP_vector_typeIfLj2EEffffjfiS5_IjLj3EEiiiiiiiiiiiliiliiiiil ; -- Begin function _ZL15flash_attn_tileILi128ELi128ELi4ELi4ELb0EEvPKcS1_S1_S1_S1_PKiPfP15HIP_vector_typeIfLj2EEffffjfiS5_IjLj3EEiiiiiiiiiiiliiliiiiil
	.p2align	8
	.type	_ZL15flash_attn_tileILi128ELi128ELi4ELi4ELb0EEvPKcS1_S1_S1_S1_PKiPfP15HIP_vector_typeIfLj2EEffffjfiS5_IjLj3EEiiiiiiiiiiiliiliiiiil,@function
_ZL15flash_attn_tileILi128ELi128ELi4ELi4ELb0EEvPKcS1_S1_S1_S1_PKiPfP15HIP_vector_typeIfLj2EEffffjfiS5_IjLj3EEiiiiiiiiiiiliiliiiiil: ; @_ZL15flash_attn_tileILi128ELi128ELi4ELi4ELb0EEvPKcS1_S1_S1_S1_PKiPfP15HIP_vector_typeIfLj2EEffffjfiS5_IjLj3EEiiiiiiiiiiiliiliiiiil
; %bb.0:
	s_load_dwordx4 s[24:27], s[0:1], 0x5c
	s_load_dwordx2 s[28:29], s[0:1], 0x80
	s_mov_b64 s[30:31], 0
	s_waitcnt lgkmcnt(0)
	s_ashr_i32 s5, s27, 31
	s_lshr_b32 s5, s5, 30
	s_add_i32 s5, s27, s5
	s_ashr_i32 s5, s5, 2
	v_cvt_f32_u32_e32 v1, s5
	s_sub_i32 s6, 0, s5
	v_rcp_iflag_f32_e32 v1, v1
	s_nop 0
	v_mul_f32_e32 v1, 0x4f7ffffe, v1
	v_cvt_u32_f32_e32 v1, v1
	s_nop 0
	v_readfirstlane_b32 s7, v1
	s_mul_i32 s6, s6, s7
	s_mul_hi_u32 s6, s7, s6
	s_add_i32 s7, s7, s6
	s_mul_hi_u32 s6, s4, s7
	s_mul_i32 s7, s6, s5
	s_sub_i32 s7, s4, s7
	s_add_i32 s8, s6, 1
	s_sub_i32 s9, s7, s5
	s_cmp_ge_u32 s7, s5
	s_cselect_b32 s6, s8, s6
	s_cselect_b32 s7, s9, s7
	s_add_i32 s8, s6, 1
	s_cmp_ge_u32 s7, s5
	s_cselect_b32 s33, s8, s6
	s_abs_i32 s5, s29
	v_cvt_f32_u32_e32 v1, s5
	s_lshl_b32 s4, s4, 2
	s_mul_i32 s8, s33, s27
	s_xor_b32 s6, s27, s29
	v_rcp_iflag_f32_e32 v1, v1
	s_sub_i32 s9, 0, s5
	s_sub_i32 s29, s4, s8
	s_abs_i32 s7, s27
	v_mul_f32_e32 v1, 0x4f7ffffe, v1
	v_cvt_u32_f32_e32 v1, v1
	s_ashr_i32 s6, s6, 31
	v_readfirstlane_b32 s4, v1
	s_mul_i32 s9, s9, s4
	s_mul_hi_u32 s8, s4, s9
	s_add_i32 s4, s4, s8
	s_mul_hi_u32 s4, s7, s4
	s_mul_i32 s8, s4, s5
	s_sub_i32 s7, s7, s8
	s_add_i32 s9, s4, 1
	s_sub_i32 s8, s7, s5
	s_cmp_ge_u32 s7, s5
	s_cselect_b32 s4, s9, s4
	s_cselect_b32 s7, s8, s7
	s_add_i32 s8, s4, 1
	s_cmp_ge_u32 s7, s5
	s_cselect_b32 s4, s8, s4
	s_xor_b32 s4, s4, s6
	s_sub_i32 s35, s4, s6
	s_abs_i32 s34, s35
	v_cvt_f32_u32_e32 v1, s34
	s_load_dwordx16 s[8:23], s[0:1], 0x0
	s_load_dwordx2 s[4:5], s[0:1], 0xb8
	v_rcp_iflag_f32_e32 v1, v1
	s_waitcnt lgkmcnt(0)
	s_cmp_eq_u64 s[14:15], 0
	v_mul_f32_e32 v1, 0x4f7ffffe, v1
	v_cvt_u32_f32_e32 v1, v1
	s_nop 0
	v_readfirstlane_b32 s36, v1
	s_cbranch_scc1 .LBB24_2
; %bb.1:
	s_abs_i32 s4, s4
	v_cvt_f32_u32_e32 v1, s4
	s_sub_i32 s37, 0, s4
	s_abs_i32 s31, s33
	s_ashr_i32 s30, s33, 31
	v_rcp_iflag_f32_e32 v1, v1
	s_load_dwordx2 s[6:7], s[0:1], 0xc8
	v_mul_f32_e32 v1, 0x4f7ffffe, v1
	v_cvt_u32_f32_e32 v1, v1
	s_nop 0
	v_readfirstlane_b32 s38, v1
	s_mul_i32 s37, s37, s38
	s_mul_hi_u32 s37, s38, s37
	s_add_i32 s38, s38, s37
	s_mul_hi_u32 s37, s31, s38
	s_mul_i32 s37, s37, s4
	s_sub_i32 s31, s31, s37
	s_sub_i32 s37, s31, s4
	s_cmp_ge_u32 s31, s4
	s_cselect_b32 s31, s37, s31
	s_sub_i32 s37, s31, s4
	s_cmp_ge_u32 s31, s4
	s_cselect_b32 s4, s37, s31
	s_xor_b32 s4, s4, s30
	s_sub_i32 s4, s4, s30
	s_ashr_i32 s30, s4, 31
	s_waitcnt lgkmcnt(0)
	s_mul_hi_u32 s31, s6, s4
	s_mul_i32 s30, s6, s30
	s_mul_i32 s7, s7, s4
	s_add_i32 s30, s31, s30
	s_add_i32 s7, s30, s7
	s_mul_i32 s4, s6, s4
	s_add_u32 s30, s14, s4
	s_addc_u32 s31, s15, s7
.LBB24_2:
	s_load_dwordx4 s[40:43], s[0:1], 0x70
	v_lshrrev_b32_e32 v2, 10, v0
	v_bfe_u32 v2, v2, 1, 9
	v_lshl_add_u32 v9, s2, 2, v2
	v_mul_hi_u32 v2, s24, v9
	s_waitcnt lgkmcnt(0)
	s_mul_i32 s4, s33, s42
	s_ashr_i32 s7, s4, 31
	s_mul_i32 s6, s29, s41
	s_add_u32 s4, s8, s4
	s_addc_u32 s7, s9, s7
	s_ashr_i32 s8, s6, 31
	v_add_u32_e32 v2, v9, v2
	s_add_u32 s6, s4, s6
	v_lshrrev_b32_e32 v2, s25, v2
	s_addc_u32 s7, s7, s8
	s_ashr_i32 s9, s41, 31
	s_mov_b32 s8, s41
	v_mul_lo_u32 v2, v2, s26
	s_ashr_i32 s41, s40, 31
	v_sub_u32_e32 v2, v9, v2
	s_lshr_b64 s[24:25], s[40:41], 2
	v_mad_u64_u32 v[4:5], s[24:25], s24, v2, 0
	v_mov_b32_e32 v6, v5
	s_lshr_b32 s4, s41, 2
	v_bfe_u32 v1, v0, 10, 10
	v_mad_u64_u32 v[6:7], s[24:25], s4, v2, v[6:7]
	v_lshlrev_b32_e32 v3, 1, v1
	v_mov_b32_e32 v5, v6
	v_and_b32_e32 v8, 0x3ff, v0
	s_lshr_b64 s[14:15], s[8:9], 2
	v_lshl_add_u64 v[4:5], v[4:5], 2, s[6:7]
	v_lshlrev_b32_e32 v6, 4, v8
	v_mov_b32_e32 v7, 0
	v_and_b32_e32 v32, 2, v3
	s_lshr_b32 s4, s9, 2
	v_bitop3_b32 v14, v3, 3, 1 bitop3:0xc8
	v_lshl_add_u64 v[10:11], v[4:5], 0, v[6:7]
	v_mul_lo_u32 v0, s4, v32
	v_mad_u64_u32 v[4:5], s[6:7], s14, v32, 0
	v_mad_u64_u32 v[12:13], s[6:7], s14, v14, 0
	v_or_b32_e32 v5, v5, v0
	v_mov_b32_e32 v0, v13
	v_mad_u64_u32 v[14:15], s[6:7], s4, v14, v[0:1]
	v_lshl_add_u64 v[4:5], v[4:5], 2, v[10:11]
	v_mov_b32_e32 v13, v14
	global_load_dwordx4 v[4:7], v[4:5], off
	v_lshl_add_u64 v[10:11], v[12:13], 2, v[10:11]
	global_load_dwordx4 v[10:13], v[10:11], off
	s_load_dword s4, s[0:1], 0x40
	v_lshlrev_b32_e32 v34, 3, v8
	v_lshlrev_b32_e32 v0, 9, v1
	v_add_u32_e32 v14, 0x4400, v34
	v_or_b32_e32 v15, 1, v3
	v_add_u32_e32 v16, v14, v0
	s_cmp_eq_u64 s[18:19], 0
	v_lshl_add_u32 v14, v15, 8, v14
	s_waitcnt vmcnt(1) lgkmcnt(0)
	v_fma_mixlo_f16 v4, s4, v4, 0
	v_fma_mixlo_f16 v5, s4, v5, 0
	;; [unrolled: 1-line block ×4, first 2 shown]
	s_waitcnt vmcnt(0)
	v_fma_mixlo_f16 v10, s4, v10, 0
	v_fma_mixlo_f16 v11, s4, v11, 0
	v_lshlrev_b32_e32 v5, 16, v5
	v_and_b32_e32 v4, 0xffff, v4
	v_fma_mixlo_f16 v12, s4, v12, 0
	v_fma_mixlo_f16 v13, s4, v13, 0
	v_lshlrev_b32_e32 v7, 16, v7
	v_and_b32_e32 v6, 0xffff, v6
	v_lshlrev_b32_e32 v11, 16, v11
	v_and_b32_e32 v10, 0xffff, v10
	v_or_b32_e32 v4, v5, v4
	v_lshlrev_b32_e32 v13, 16, v13
	v_and_b32_e32 v12, 0xffff, v12
	v_or3_b32 v5, v7, v6, 0
	v_or_b32_e32 v6, v11, v10
	v_or3_b32 v4, 0, 0, v4
	v_or3_b32 v7, v13, v12, 0
	;; [unrolled: 1-line block ×3, first 2 shown]
	ds_write_b64 v16, v[4:5]
	ds_write_b64 v14, v[6:7]
	s_waitcnt lgkmcnt(0)
	s_barrier
	s_cbranch_scc1 .LBB24_4
; %bb.3:
	s_load_dword s4, s[0:1], 0xd0
	s_mov_b32 s7, 0
	s_waitcnt lgkmcnt(0)
	s_mul_i32 s4, s4, s33
	s_add_i32 s6, s4, s2
	s_lshl_b64 s[6:7], s[6:7], 2
	s_add_u32 s6, s18, s6
	s_addc_u32 s7, s19, s7
	s_load_dword s28, s[6:7], 0x0
.LBB24_4:
	s_lshl_b32 s2, s3, 6
	s_waitcnt lgkmcnt(0)
	s_cmp_lt_i32 s2, s28
	v_mbcnt_lo_u32_b32 v5, -1, 0
	s_cbranch_scc1 .LBB24_7
; %bb.5:
	v_mbcnt_hi_u32_b32 v23, -1, v5
	v_and_b32_e32 v4, 0x60, v23
	v_add_u32_e32 v35, 32, v4
	v_xor_b32_e32 v40, 16, v23
	v_xor_b32_e32 v39, 8, v23
	;; [unrolled: 1-line block ×5, first 2 shown]
	v_lshlrev_b32_e32 v33, 2, v8
	s_cbranch_execz .LBB24_8
; %bb.6:
	v_mov_b32_e32 v15, 0
	v_mov_b32_e32 v5, 0xfeffffff
	;; [unrolled: 1-line block ×8, first 2 shown]
	s_branch .LBB24_10
.LBB24_7:
                                        ; implicit-def: $vgpr23
                                        ; implicit-def: $vgpr35
                                        ; implicit-def: $vgpr40
                                        ; implicit-def: $vgpr39
                                        ; implicit-def: $vgpr38
                                        ; implicit-def: $vgpr37
                                        ; implicit-def: $vgpr36
	v_lshlrev_b32_e32 v33, 2, v8
.LBB24_8:
	s_sub_i32 s4, 0, s34
	s_mul_i32 s4, s4, s36
	s_mul_hi_u32 s4, s36, s4
	s_add_i32 s4, s36, s4
	s_load_dwordx2 s[6:7], s[0:1], 0x8c
	s_load_dwordx4 s[36:39], s[0:1], 0x98
	s_ashr_i32 s24, s35, 31
	s_abs_i32 s14, s29
	s_ashr_i32 s15, s29, 31
	s_waitcnt lgkmcnt(0)
	s_ashr_i32 s19, s6, 2
	s_ashr_i32 s6, s33, 31
	s_mul_hi_u32 s25, s36, s33
	s_mul_i32 s35, s36, s6
	s_add_i32 s25, s25, s35
	s_mul_i32 s35, s37, s33
	s_ashr_i32 s18, s38, 2
	s_ashr_i32 s5, s5, 1
	s_add_i32 s25, s25, s35
	s_mul_i32 s35, s36, s33
	s_mul_hi_u32 s4, s14, s4
	s_add_u32 s10, s10, s35
	s_addc_u32 s11, s11, s25
	s_xor_b32 s15, s15, s24
	s_mul_i32 s24, s4, s34
	s_sub_i32 s14, s14, s24
	s_add_i32 s24, s4, 1
	s_sub_i32 s25, s14, s34
	s_cmp_ge_u32 s14, s34
	s_cselect_b32 s4, s24, s4
	s_cselect_b32 s14, s25, s14
	s_add_i32 s24, s4, 1
	s_cmp_ge_u32 s14, s34
	s_load_dwordx2 s[8:9], s[0:1], 0xa8
	s_cselect_b32 s4, s24, s4
	s_xor_b32 s4, s4, s15
	s_sub_i32 s4, s4, s15
	s_mul_i32 s7, s4, s7
	s_ashr_i32 s14, s7, 31
	s_add_u32 s24, s10, s7
	s_waitcnt lgkmcnt(0)
	s_mul_hi_u32 s7, s8, s33
	s_mul_i32 s6, s8, s6
	s_addc_u32 s25, s11, s14
	s_add_i32 s6, s7, s6
	s_mul_i32 s7, s9, s33
	s_add_i32 s6, s6, s7
	s_mul_i32 s7, s8, s33
	s_add_u32 s7, s12, s7
	s_mul_i32 s4, s4, s39
	s_addc_u32 s6, s13, s6
	s_ashr_i32 s8, s4, 31
	v_lshrrev_b32_e32 v4, 4, v8
	v_and_b32_e32 v6, 60, v33
	s_add_u32 s34, s7, s4
	v_add_u32_e32 v3, v4, v3
	v_lshlrev_b32_e32 v4, 2, v6
	s_movk_i32 s4, 0x110
	s_addc_u32 s35, s6, s8
	v_mad_u32_u24 v41, v3, s4, v4
	v_mul_lo_u32 v12, s19, v3
	s_lshl_b32 s4, s19, 4
	v_add_u32_e32 v16, s4, v12
	v_add_u32_e32 v18, s4, v16
	;; [unrolled: 1-line block ×3, first 2 shown]
	v_mad_u64_u32 v[22:23], s[4:5], v2, s5, v[8:9]
	v_mul_lo_u32 v24, s18, v3
	s_lshl_b32 s4, s18, 4
	v_add_u32_e32 v26, s4, v24
	v_add_u32_e32 v45, 0x4400, v0
	v_mov_b32_e32 v0, 0x5400
	v_add_u32_e32 v28, s4, v26
	v_mbcnt_hi_u32_b32 v23, -1, v5
	v_mov_b32_e32 v11, 0
	v_lshl_add_u32 v47, v1, 8, v0
	v_lshl_or_b32 v48, v3, 8, v4
	v_add_u32_e32 v30, s4, v28
	s_add_u32 s14, s0, 0xd0
	v_mov_b32_e32 v4, 0xfeffffff
	v_and_b32_e32 v0, 0x60, v23
	v_ashrrev_i32_e32 v13, 31, v12
	v_add_u32_e32 v42, 0x1100, v41
	v_ashrrev_i32_e32 v17, 31, v16
	v_add_u32_e32 v43, 0x2200, v41
	;; [unrolled: 2-line block ×3, first 2 shown]
	v_ashrrev_i32_e32 v21, 31, v20
	v_mul_u32_u24_e32 v46, 0x110, v8
	v_ashrrev_i32_e32 v25, 31, v24
	v_add_u32_e32 v49, 0x1000, v48
	v_ashrrev_i32_e32 v27, 31, v26
	v_add_u32_e32 v50, 0x2000, v48
	;; [unrolled: 2-line block ×3, first 2 shown]
	v_ashrrev_i32_e32 v31, 31, v30
	s_addc_u32 s15, s1, 0
	v_lshlrev_b32_e32 v10, 2, v6
	v_add_u32_e32 v35, 32, v0
	v_xor_b32_e32 v40, 16, v23
	v_xor_b32_e32 v39, 8, v23
	;; [unrolled: 1-line block ×5, first 2 shown]
	s_mov_b32 s36, 0x3fb8aa3b
	s_mov_b32 s37, 0xc2ce8ed0
	;; [unrolled: 1-line block ×3, first 2 shown]
	v_mov_b32_e32 v52, 0x7f800000
	s_mov_b32 s39, 0x10001
	v_add_u32_e32 v53, v47, v33
	v_add_u32_e32 v54, 0x800, v34
	;; [unrolled: 1-line block ×8, first 2 shown]
	v_mov_b32_e32 v62, v11
	v_mov_b32_e32 v61, v11
	;; [unrolled: 1-line block ×7, first 2 shown]
.LBB24_9:                               ; =>This Inner Loop Header: Depth=1
	s_mul_hi_i32 s5, s2, s19
	s_mul_i32 s4, s2, s19
	s_lshl_b64 s[4:5], s[4:5], 2
	s_add_u32 s4, s24, s4
	s_addc_u32 s5, s25, s5
	v_lshl_add_u64 v[0:1], v[12:13], 2, s[4:5]
	v_mov_b32_e32 v65, v5
	v_mov_b32_e32 v66, v4
	v_lshl_add_u64 v[2:3], v[16:17], 2, s[4:5]
	v_lshl_add_u64 v[4:5], v[18:19], 2, s[4:5]
	;; [unrolled: 1-line block ×7, first 2 shown]
	global_load_dwordx4 v[0:3], v[80:81], off
	global_load_dwordx4 v[4:7], v[82:83], off
	;; [unrolled: 1-line block ×4, first 2 shown]
	v_mov_b32_e32 v68, 0
	v_mov_b32_e32 v67, 0
	;; [unrolled: 1-line block ×4, first 2 shown]
	v_cmp_lt_i32_e32 vcc, v40, v35
	s_mul_hi_i32 s5, s2, s18
	s_mul_i32 s4, s2, s18
	v_cndmask_b32_e32 v71, v23, v40, vcc
	v_cmp_lt_i32_e32 vcc, v39, v35
	v_lshlrev_b32_e32 v71, 2, v71
	s_lshl_b64 s[4:5], s[4:5], 2
	s_add_u32 s4, s34, s4
	s_addc_u32 s5, s35, s5
	s_waitcnt vmcnt(3)
	ds_write_b128 v41, v[0:3]
	s_waitcnt vmcnt(2)
	ds_write_b128 v42, v[4:7]
	;; [unrolled: 2-line block ×4, first 2 shown]
	s_waitcnt lgkmcnt(0)
	s_barrier
	ds_read_b128 v[0:3], v45
	ds_read_b128 v[4:7], v46
	ds_read_b128 v[72:75], v46 offset:8704
	ds_read_b128 v[76:79], v45 offset:256
	s_waitcnt lgkmcnt(2)
	;;#ASMSTART
	v_dot2_f32_f16 v68, v4, v0, v68
	;;#ASMEND
	s_nop 0
	;;#ASMSTART
	v_dot2_f32_f16 v68, v5, v1, v68
	;;#ASMEND
	s_nop 0
	;; [unrolled: 4-line block ×3, first 2 shown]
	;;#ASMSTART
	v_dot2_f32_f16 v68, v7, v3, v68
	;;#ASMEND
	s_waitcnt lgkmcnt(0)
	;;#ASMSTART
	v_dot2_f32_f16 v67, v4, v76, v67
	;;#ASMEND
	s_nop 0
	;;#ASMSTART
	v_dot2_f32_f16 v67, v5, v77, v67
	;;#ASMEND
	s_nop 0
	;;#ASMSTART
	v_dot2_f32_f16 v67, v6, v78, v67
	;;#ASMEND
	s_nop 0
	;;#ASMSTART
	v_dot2_f32_f16 v67, v7, v79, v67
	;;#ASMEND
	;;#ASMSTART
	v_dot2_f32_f16 v70, v72, v0, v70
	;;#ASMEND
	s_nop 0
	;;#ASMSTART
	v_dot2_f32_f16 v70, v73, v1, v70
	;;#ASMEND
	s_nop 0
	;;#ASMSTART
	v_dot2_f32_f16 v70, v74, v2, v70
	;;#ASMEND
	s_nop 0
	;;#ASMSTART
	v_dot2_f32_f16 v70, v75, v3, v70
	;;#ASMEND
	;;#ASMSTART
	v_dot2_f32_f16 v69, v72, v76, v69
	;;#ASMEND
	s_nop 0
	;;#ASMSTART
	v_dot2_f32_f16 v69, v73, v77, v69
	;;#ASMEND
	s_nop 0
	;;#ASMSTART
	v_dot2_f32_f16 v69, v74, v78, v69
	;;#ASMEND
	s_nop 0
	;;#ASMSTART
	v_dot2_f32_f16 v69, v75, v79, v69
	;;#ASMEND
	ds_read_b128 v[0:3], v45 offset:16
	ds_read_b128 v[4:7], v46 offset:16
	;; [unrolled: 1-line block ×4, first 2 shown]
	s_waitcnt lgkmcnt(2)
	;;#ASMSTART
	v_dot2_f32_f16 v68, v4, v0, v68
	;;#ASMEND
	s_nop 0
	;;#ASMSTART
	v_dot2_f32_f16 v68, v5, v1, v68
	;;#ASMEND
	s_nop 0
	;; [unrolled: 4-line block ×3, first 2 shown]
	;;#ASMSTART
	v_dot2_f32_f16 v68, v7, v3, v68
	;;#ASMEND
	s_waitcnt lgkmcnt(0)
	;;#ASMSTART
	v_dot2_f32_f16 v67, v4, v76, v67
	;;#ASMEND
	s_nop 0
	;;#ASMSTART
	v_dot2_f32_f16 v67, v5, v77, v67
	;;#ASMEND
	s_nop 0
	;;#ASMSTART
	v_dot2_f32_f16 v67, v6, v78, v67
	;;#ASMEND
	s_nop 0
	;;#ASMSTART
	v_dot2_f32_f16 v67, v7, v79, v67
	;;#ASMEND
	;;#ASMSTART
	v_dot2_f32_f16 v70, v72, v0, v70
	;;#ASMEND
	s_nop 0
	;;#ASMSTART
	v_dot2_f32_f16 v70, v73, v1, v70
	;;#ASMEND
	s_nop 0
	;;#ASMSTART
	v_dot2_f32_f16 v70, v74, v2, v70
	;;#ASMEND
	s_nop 0
	;;#ASMSTART
	v_dot2_f32_f16 v70, v75, v3, v70
	;;#ASMEND
	;; [unrolled: 15-line block ×3, first 2 shown]
	ds_read_b128 v[0:3], v45 offset:32
	ds_read_b128 v[4:7], v46 offset:32
	;; [unrolled: 1-line block ×4, first 2 shown]
	s_waitcnt lgkmcnt(2)
	;;#ASMSTART
	v_dot2_f32_f16 v68, v4, v0, v68
	;;#ASMEND
	s_nop 0
	;;#ASMSTART
	v_dot2_f32_f16 v68, v5, v1, v68
	;;#ASMEND
	s_nop 0
	;; [unrolled: 4-line block ×3, first 2 shown]
	;;#ASMSTART
	v_dot2_f32_f16 v68, v7, v3, v68
	;;#ASMEND
	s_waitcnt lgkmcnt(0)
	;;#ASMSTART
	v_dot2_f32_f16 v67, v4, v76, v67
	;;#ASMEND
	s_nop 0
	;;#ASMSTART
	v_dot2_f32_f16 v67, v5, v77, v67
	;;#ASMEND
	s_nop 0
	;;#ASMSTART
	v_dot2_f32_f16 v67, v6, v78, v67
	;;#ASMEND
	s_nop 0
	;;#ASMSTART
	v_dot2_f32_f16 v67, v7, v79, v67
	;;#ASMEND
	;;#ASMSTART
	v_dot2_f32_f16 v70, v72, v0, v70
	;;#ASMEND
	s_nop 0
	;;#ASMSTART
	v_dot2_f32_f16 v70, v73, v1, v70
	;;#ASMEND
	s_nop 0
	;;#ASMSTART
	v_dot2_f32_f16 v70, v74, v2, v70
	;;#ASMEND
	s_nop 0
	;;#ASMSTART
	v_dot2_f32_f16 v70, v75, v3, v70
	;;#ASMEND
	;; [unrolled: 15-line block ×3, first 2 shown]
	ds_read_b128 v[0:3], v45 offset:48
	ds_read_b128 v[4:7], v46 offset:48
	;; [unrolled: 1-line block ×4, first 2 shown]
	s_waitcnt lgkmcnt(2)
	;;#ASMSTART
	v_dot2_f32_f16 v68, v4, v0, v68
	;;#ASMEND
	s_nop 0
	;;#ASMSTART
	v_dot2_f32_f16 v68, v5, v1, v68
	;;#ASMEND
	s_nop 0
	;;#ASMSTART
	v_dot2_f32_f16 v68, v6, v2, v68
	;;#ASMEND
	s_nop 0
	;;#ASMSTART
	v_dot2_f32_f16 v68, v7, v3, v68
	;;#ASMEND
	s_waitcnt lgkmcnt(0)
	;;#ASMSTART
	v_dot2_f32_f16 v67, v4, v76, v67
	;;#ASMEND
	s_nop 0
	;;#ASMSTART
	v_dot2_f32_f16 v67, v5, v77, v67
	;;#ASMEND
	s_nop 0
	;;#ASMSTART
	v_dot2_f32_f16 v67, v6, v78, v67
	;;#ASMEND
	s_nop 0
	;;#ASMSTART
	v_dot2_f32_f16 v67, v7, v79, v67
	;;#ASMEND
	;;#ASMSTART
	v_dot2_f32_f16 v70, v72, v0, v70
	;;#ASMEND
	s_nop 0
	;;#ASMSTART
	v_dot2_f32_f16 v70, v73, v1, v70
	;;#ASMEND
	s_nop 0
	;;#ASMSTART
	v_dot2_f32_f16 v70, v74, v2, v70
	;;#ASMEND
	s_nop 0
	;;#ASMSTART
	v_dot2_f32_f16 v70, v75, v3, v70
	;;#ASMEND
	;;#ASMSTART
	v_dot2_f32_f16 v69, v72, v76, v69
	;;#ASMEND
	s_nop 0
	;;#ASMSTART
	v_dot2_f32_f16 v69, v73, v77, v69
	;;#ASMEND
	s_nop 0
	;;#ASMSTART
	v_dot2_f32_f16 v69, v74, v78, v69
	;;#ASMEND
	s_nop 0
	;;#ASMSTART
	v_dot2_f32_f16 v69, v75, v79, v69
	;;#ASMEND
	ds_read_b128 v[0:3], v45 offset:64
	ds_read_b128 v[4:7], v46 offset:64
	;; [unrolled: 1-line block ×4, first 2 shown]
	s_waitcnt lgkmcnt(2)
	;;#ASMSTART
	v_dot2_f32_f16 v68, v4, v0, v68
	;;#ASMEND
	s_nop 0
	;;#ASMSTART
	v_dot2_f32_f16 v68, v5, v1, v68
	;;#ASMEND
	s_nop 0
	;;#ASMSTART
	v_dot2_f32_f16 v68, v6, v2, v68
	;;#ASMEND
	s_nop 0
	;;#ASMSTART
	v_dot2_f32_f16 v68, v7, v3, v68
	;;#ASMEND
	s_waitcnt lgkmcnt(0)
	;;#ASMSTART
	v_dot2_f32_f16 v67, v4, v76, v67
	;;#ASMEND
	s_nop 0
	;;#ASMSTART
	v_dot2_f32_f16 v67, v5, v77, v67
	;;#ASMEND
	s_nop 0
	;;#ASMSTART
	v_dot2_f32_f16 v67, v6, v78, v67
	;;#ASMEND
	s_nop 0
	;;#ASMSTART
	v_dot2_f32_f16 v67, v7, v79, v67
	;;#ASMEND
	;;#ASMSTART
	v_dot2_f32_f16 v70, v72, v0, v70
	;;#ASMEND
	s_nop 0
	;;#ASMSTART
	v_dot2_f32_f16 v70, v73, v1, v70
	;;#ASMEND
	s_nop 0
	;;#ASMSTART
	v_dot2_f32_f16 v70, v74, v2, v70
	;;#ASMEND
	s_nop 0
	;;#ASMSTART
	v_dot2_f32_f16 v70, v75, v3, v70
	;;#ASMEND
	;; [unrolled: 15-line block ×3, first 2 shown]
	ds_read_b128 v[0:3], v45 offset:80
	ds_read_b128 v[4:7], v46 offset:80
	;; [unrolled: 1-line block ×4, first 2 shown]
	s_waitcnt lgkmcnt(2)
	;;#ASMSTART
	v_dot2_f32_f16 v68, v4, v0, v68
	;;#ASMEND
	s_nop 0
	;;#ASMSTART
	v_dot2_f32_f16 v68, v5, v1, v68
	;;#ASMEND
	s_nop 0
	;; [unrolled: 4-line block ×3, first 2 shown]
	;;#ASMSTART
	v_dot2_f32_f16 v68, v7, v3, v68
	;;#ASMEND
	s_waitcnt lgkmcnt(0)
	;;#ASMSTART
	v_dot2_f32_f16 v67, v4, v76, v67
	;;#ASMEND
	s_nop 0
	;;#ASMSTART
	v_dot2_f32_f16 v67, v5, v77, v67
	;;#ASMEND
	s_nop 0
	;;#ASMSTART
	v_dot2_f32_f16 v67, v6, v78, v67
	;;#ASMEND
	s_nop 0
	;;#ASMSTART
	v_dot2_f32_f16 v67, v7, v79, v67
	;;#ASMEND
	;;#ASMSTART
	v_dot2_f32_f16 v70, v72, v0, v70
	;;#ASMEND
	s_nop 0
	;;#ASMSTART
	v_dot2_f32_f16 v70, v73, v1, v70
	;;#ASMEND
	s_nop 0
	;;#ASMSTART
	v_dot2_f32_f16 v70, v74, v2, v70
	;;#ASMEND
	s_nop 0
	;;#ASMSTART
	v_dot2_f32_f16 v70, v75, v3, v70
	;;#ASMEND
	;; [unrolled: 15-line block ×3, first 2 shown]
	ds_read_b128 v[0:3], v45 offset:96
	ds_read_b128 v[4:7], v46 offset:96
	;; [unrolled: 1-line block ×4, first 2 shown]
	s_waitcnt lgkmcnt(2)
	;;#ASMSTART
	v_dot2_f32_f16 v68, v4, v0, v68
	;;#ASMEND
	s_nop 0
	;;#ASMSTART
	v_dot2_f32_f16 v68, v5, v1, v68
	;;#ASMEND
	s_nop 0
	;; [unrolled: 4-line block ×3, first 2 shown]
	;;#ASMSTART
	v_dot2_f32_f16 v68, v7, v3, v68
	;;#ASMEND
	s_waitcnt lgkmcnt(0)
	;;#ASMSTART
	v_dot2_f32_f16 v67, v4, v76, v67
	;;#ASMEND
	s_nop 0
	;;#ASMSTART
	v_dot2_f32_f16 v67, v5, v77, v67
	;;#ASMEND
	s_nop 0
	;;#ASMSTART
	v_dot2_f32_f16 v67, v6, v78, v67
	;;#ASMEND
	s_nop 0
	;;#ASMSTART
	v_dot2_f32_f16 v67, v7, v79, v67
	;;#ASMEND
	;;#ASMSTART
	v_dot2_f32_f16 v70, v72, v0, v70
	;;#ASMEND
	s_nop 0
	;;#ASMSTART
	v_dot2_f32_f16 v70, v73, v1, v70
	;;#ASMEND
	s_nop 0
	;;#ASMSTART
	v_dot2_f32_f16 v70, v74, v2, v70
	;;#ASMEND
	s_nop 0
	;;#ASMSTART
	v_dot2_f32_f16 v70, v75, v3, v70
	;;#ASMEND
	;; [unrolled: 15-line block ×3, first 2 shown]
	ds_read_b128 v[0:3], v45 offset:112
	ds_read_b128 v[4:7], v46 offset:112
	ds_read_b128 v[72:75], v46 offset:8816
	ds_read_b128 v[76:79], v45 offset:368
	s_waitcnt lgkmcnt(2)
	;;#ASMSTART
	v_dot2_f32_f16 v68, v4, v0, v68
	;;#ASMEND
	s_nop 0
	;;#ASMSTART
	v_dot2_f32_f16 v68, v5, v1, v68
	;;#ASMEND
	s_nop 0
	;; [unrolled: 4-line block ×3, first 2 shown]
	;;#ASMSTART
	v_dot2_f32_f16 v68, v7, v3, v68
	;;#ASMEND
	s_waitcnt lgkmcnt(0)
	;;#ASMSTART
	v_dot2_f32_f16 v67, v4, v76, v67
	;;#ASMEND
	s_nop 0
	;;#ASMSTART
	v_dot2_f32_f16 v67, v5, v77, v67
	;;#ASMEND
	s_nop 0
	;;#ASMSTART
	v_dot2_f32_f16 v67, v6, v78, v67
	;;#ASMEND
	s_nop 0
	;;#ASMSTART
	v_dot2_f32_f16 v67, v7, v79, v67
	;;#ASMEND
	;;#ASMSTART
	v_dot2_f32_f16 v70, v72, v0, v70
	;;#ASMEND
	s_nop 0
	;;#ASMSTART
	v_dot2_f32_f16 v70, v73, v1, v70
	;;#ASMEND
	s_nop 0
	;;#ASMSTART
	v_dot2_f32_f16 v70, v74, v2, v70
	;;#ASMEND
	s_nop 0
	;;#ASMSTART
	v_dot2_f32_f16 v70, v75, v3, v70
	;;#ASMEND
	;; [unrolled: 15-line block ×3, first 2 shown]
	ds_read_b128 v[0:3], v45 offset:128
	ds_read_b128 v[4:7], v46 offset:128
	;; [unrolled: 1-line block ×4, first 2 shown]
	s_waitcnt lgkmcnt(2)
	;;#ASMSTART
	v_dot2_f32_f16 v68, v4, v0, v68
	;;#ASMEND
	s_nop 0
	;;#ASMSTART
	v_dot2_f32_f16 v68, v5, v1, v68
	;;#ASMEND
	s_nop 0
	;; [unrolled: 4-line block ×3, first 2 shown]
	;;#ASMSTART
	v_dot2_f32_f16 v68, v7, v3, v68
	;;#ASMEND
	s_waitcnt lgkmcnt(0)
	;;#ASMSTART
	v_dot2_f32_f16 v67, v4, v76, v67
	;;#ASMEND
	s_nop 0
	;;#ASMSTART
	v_dot2_f32_f16 v67, v5, v77, v67
	;;#ASMEND
	s_nop 0
	;;#ASMSTART
	v_dot2_f32_f16 v67, v6, v78, v67
	;;#ASMEND
	s_nop 0
	;;#ASMSTART
	v_dot2_f32_f16 v67, v7, v79, v67
	;;#ASMEND
	;;#ASMSTART
	v_dot2_f32_f16 v70, v72, v0, v70
	;;#ASMEND
	s_nop 0
	;;#ASMSTART
	v_dot2_f32_f16 v70, v73, v1, v70
	;;#ASMEND
	s_nop 0
	;;#ASMSTART
	v_dot2_f32_f16 v70, v74, v2, v70
	;;#ASMEND
	s_nop 0
	;;#ASMSTART
	v_dot2_f32_f16 v70, v75, v3, v70
	;;#ASMEND
	;; [unrolled: 15-line block ×3, first 2 shown]
	ds_read_b128 v[0:3], v45 offset:144
	ds_read_b128 v[4:7], v46 offset:144
	;; [unrolled: 1-line block ×4, first 2 shown]
	s_waitcnt lgkmcnt(2)
	;;#ASMSTART
	v_dot2_f32_f16 v68, v4, v0, v68
	;;#ASMEND
	s_nop 0
	;;#ASMSTART
	v_dot2_f32_f16 v68, v5, v1, v68
	;;#ASMEND
	s_nop 0
	;; [unrolled: 4-line block ×3, first 2 shown]
	;;#ASMSTART
	v_dot2_f32_f16 v68, v7, v3, v68
	;;#ASMEND
	s_waitcnt lgkmcnt(0)
	;;#ASMSTART
	v_dot2_f32_f16 v67, v4, v76, v67
	;;#ASMEND
	s_nop 0
	;;#ASMSTART
	v_dot2_f32_f16 v67, v5, v77, v67
	;;#ASMEND
	s_nop 0
	;;#ASMSTART
	v_dot2_f32_f16 v67, v6, v78, v67
	;;#ASMEND
	s_nop 0
	;;#ASMSTART
	v_dot2_f32_f16 v67, v7, v79, v67
	;;#ASMEND
	;;#ASMSTART
	v_dot2_f32_f16 v70, v72, v0, v70
	;;#ASMEND
	s_nop 0
	;;#ASMSTART
	v_dot2_f32_f16 v70, v73, v1, v70
	;;#ASMEND
	s_nop 0
	;;#ASMSTART
	v_dot2_f32_f16 v70, v74, v2, v70
	;;#ASMEND
	s_nop 0
	;;#ASMSTART
	v_dot2_f32_f16 v70, v75, v3, v70
	;;#ASMEND
	;; [unrolled: 15-line block ×3, first 2 shown]
	ds_read_b128 v[0:3], v45 offset:160
	ds_read_b128 v[4:7], v46 offset:160
	;; [unrolled: 1-line block ×4, first 2 shown]
	s_waitcnt lgkmcnt(2)
	;;#ASMSTART
	v_dot2_f32_f16 v68, v4, v0, v68
	;;#ASMEND
	s_nop 0
	;;#ASMSTART
	v_dot2_f32_f16 v68, v5, v1, v68
	;;#ASMEND
	s_nop 0
	;; [unrolled: 4-line block ×3, first 2 shown]
	;;#ASMSTART
	v_dot2_f32_f16 v68, v7, v3, v68
	;;#ASMEND
	s_waitcnt lgkmcnt(0)
	;;#ASMSTART
	v_dot2_f32_f16 v67, v4, v76, v67
	;;#ASMEND
	s_nop 0
	;;#ASMSTART
	v_dot2_f32_f16 v67, v5, v77, v67
	;;#ASMEND
	s_nop 0
	;;#ASMSTART
	v_dot2_f32_f16 v67, v6, v78, v67
	;;#ASMEND
	s_nop 0
	;;#ASMSTART
	v_dot2_f32_f16 v67, v7, v79, v67
	;;#ASMEND
	;;#ASMSTART
	v_dot2_f32_f16 v70, v72, v0, v70
	;;#ASMEND
	s_nop 0
	;;#ASMSTART
	v_dot2_f32_f16 v70, v73, v1, v70
	;;#ASMEND
	s_nop 0
	;;#ASMSTART
	v_dot2_f32_f16 v70, v74, v2, v70
	;;#ASMEND
	s_nop 0
	;;#ASMSTART
	v_dot2_f32_f16 v70, v75, v3, v70
	;;#ASMEND
	;; [unrolled: 15-line block ×3, first 2 shown]
	ds_read_b128 v[0:3], v45 offset:176
	ds_read_b128 v[4:7], v46 offset:176
	;; [unrolled: 1-line block ×4, first 2 shown]
	s_waitcnt lgkmcnt(2)
	;;#ASMSTART
	v_dot2_f32_f16 v68, v4, v0, v68
	;;#ASMEND
	s_nop 0
	;;#ASMSTART
	v_dot2_f32_f16 v68, v5, v1, v68
	;;#ASMEND
	s_nop 0
	;; [unrolled: 4-line block ×3, first 2 shown]
	;;#ASMSTART
	v_dot2_f32_f16 v68, v7, v3, v68
	;;#ASMEND
	s_waitcnt lgkmcnt(0)
	;;#ASMSTART
	v_dot2_f32_f16 v67, v4, v76, v67
	;;#ASMEND
	s_nop 0
	;;#ASMSTART
	v_dot2_f32_f16 v67, v5, v77, v67
	;;#ASMEND
	s_nop 0
	;;#ASMSTART
	v_dot2_f32_f16 v67, v6, v78, v67
	;;#ASMEND
	s_nop 0
	;;#ASMSTART
	v_dot2_f32_f16 v67, v7, v79, v67
	;;#ASMEND
	;;#ASMSTART
	v_dot2_f32_f16 v70, v72, v0, v70
	;;#ASMEND
	s_nop 0
	;;#ASMSTART
	v_dot2_f32_f16 v70, v73, v1, v70
	;;#ASMEND
	s_nop 0
	;;#ASMSTART
	v_dot2_f32_f16 v70, v74, v2, v70
	;;#ASMEND
	s_nop 0
	;;#ASMSTART
	v_dot2_f32_f16 v70, v75, v3, v70
	;;#ASMEND
	;; [unrolled: 15-line block ×3, first 2 shown]
	ds_read_b128 v[0:3], v45 offset:192
	ds_read_b128 v[4:7], v46 offset:192
	;; [unrolled: 1-line block ×4, first 2 shown]
	s_waitcnt lgkmcnt(2)
	;;#ASMSTART
	v_dot2_f32_f16 v68, v4, v0, v68
	;;#ASMEND
	s_nop 0
	;;#ASMSTART
	v_dot2_f32_f16 v68, v5, v1, v68
	;;#ASMEND
	s_nop 0
	;;#ASMSTART
	v_dot2_f32_f16 v68, v6, v2, v68
	;;#ASMEND
	s_nop 0
	;;#ASMSTART
	v_dot2_f32_f16 v68, v7, v3, v68
	;;#ASMEND
	s_waitcnt lgkmcnt(0)
	;;#ASMSTART
	v_dot2_f32_f16 v67, v4, v76, v67
	;;#ASMEND
	s_nop 0
	;;#ASMSTART
	v_dot2_f32_f16 v67, v5, v77, v67
	;;#ASMEND
	s_nop 0
	;;#ASMSTART
	v_dot2_f32_f16 v67, v6, v78, v67
	;;#ASMEND
	s_nop 0
	;;#ASMSTART
	v_dot2_f32_f16 v67, v7, v79, v67
	;;#ASMEND
	;;#ASMSTART
	v_dot2_f32_f16 v70, v72, v0, v70
	;;#ASMEND
	s_nop 0
	;;#ASMSTART
	v_dot2_f32_f16 v70, v73, v1, v70
	;;#ASMEND
	s_nop 0
	;;#ASMSTART
	v_dot2_f32_f16 v70, v74, v2, v70
	;;#ASMEND
	s_nop 0
	;;#ASMSTART
	v_dot2_f32_f16 v70, v75, v3, v70
	;;#ASMEND
	;; [unrolled: 15-line block ×3, first 2 shown]
	ds_read_b128 v[0:3], v45 offset:208
	ds_read_b128 v[4:7], v46 offset:208
	;; [unrolled: 1-line block ×4, first 2 shown]
	s_waitcnt lgkmcnt(2)
	;;#ASMSTART
	v_dot2_f32_f16 v68, v4, v0, v68
	;;#ASMEND
	s_nop 0
	;;#ASMSTART
	v_dot2_f32_f16 v68, v5, v1, v68
	;;#ASMEND
	s_nop 0
	;; [unrolled: 4-line block ×3, first 2 shown]
	;;#ASMSTART
	v_dot2_f32_f16 v68, v7, v3, v68
	;;#ASMEND
	s_waitcnt lgkmcnt(0)
	;;#ASMSTART
	v_dot2_f32_f16 v67, v4, v76, v67
	;;#ASMEND
	s_nop 0
	;;#ASMSTART
	v_dot2_f32_f16 v67, v5, v77, v67
	;;#ASMEND
	s_nop 0
	;;#ASMSTART
	v_dot2_f32_f16 v67, v6, v78, v67
	;;#ASMEND
	s_nop 0
	;;#ASMSTART
	v_dot2_f32_f16 v67, v7, v79, v67
	;;#ASMEND
	;;#ASMSTART
	v_dot2_f32_f16 v70, v72, v0, v70
	;;#ASMEND
	s_nop 0
	;;#ASMSTART
	v_dot2_f32_f16 v70, v73, v1, v70
	;;#ASMEND
	s_nop 0
	;;#ASMSTART
	v_dot2_f32_f16 v70, v74, v2, v70
	;;#ASMEND
	s_nop 0
	;;#ASMSTART
	v_dot2_f32_f16 v70, v75, v3, v70
	;;#ASMEND
	;; [unrolled: 15-line block ×3, first 2 shown]
	ds_read_b128 v[0:3], v45 offset:224
	ds_read_b128 v[4:7], v46 offset:224
	;; [unrolled: 1-line block ×4, first 2 shown]
	s_waitcnt lgkmcnt(2)
	;;#ASMSTART
	v_dot2_f32_f16 v68, v4, v0, v68
	;;#ASMEND
	s_nop 0
	;;#ASMSTART
	v_dot2_f32_f16 v68, v5, v1, v68
	;;#ASMEND
	s_nop 0
	;; [unrolled: 4-line block ×3, first 2 shown]
	;;#ASMSTART
	v_dot2_f32_f16 v68, v7, v3, v68
	;;#ASMEND
	s_waitcnt lgkmcnt(0)
	;;#ASMSTART
	v_dot2_f32_f16 v67, v4, v76, v67
	;;#ASMEND
	s_nop 0
	;;#ASMSTART
	v_dot2_f32_f16 v67, v5, v77, v67
	;;#ASMEND
	s_nop 0
	;;#ASMSTART
	v_dot2_f32_f16 v67, v6, v78, v67
	;;#ASMEND
	s_nop 0
	;;#ASMSTART
	v_dot2_f32_f16 v67, v7, v79, v67
	;;#ASMEND
	;;#ASMSTART
	v_dot2_f32_f16 v70, v72, v0, v70
	;;#ASMEND
	s_nop 0
	;;#ASMSTART
	v_dot2_f32_f16 v70, v73, v1, v70
	;;#ASMEND
	s_nop 0
	;;#ASMSTART
	v_dot2_f32_f16 v70, v74, v2, v70
	;;#ASMEND
	s_nop 0
	;;#ASMSTART
	v_dot2_f32_f16 v70, v75, v3, v70
	;;#ASMEND
	;; [unrolled: 15-line block ×3, first 2 shown]
	ds_read_b128 v[72:75], v45 offset:240
	ds_read_b128 v[76:79], v46 offset:240
	;; [unrolled: 1-line block ×4, first 2 shown]
	s_waitcnt lgkmcnt(2)
	;;#ASMSTART
	v_dot2_f32_f16 v68, v76, v72, v68
	;;#ASMEND
	s_nop 0
	;;#ASMSTART
	v_dot2_f32_f16 v68, v77, v73, v68
	;;#ASMEND
	s_nop 0
	;; [unrolled: 4-line block ×3, first 2 shown]
	;;#ASMSTART
	v_dot2_f32_f16 v68, v79, v75, v68
	;;#ASMEND
	s_waitcnt lgkmcnt(0)
	;;#ASMSTART
	v_dot2_f32_f16 v67, v76, v4, v67
	;;#ASMEND
	v_add_u32_e32 v76, s2, v22
	;;#ASMSTART
	v_dot2_f32_f16 v67, v77, v5, v67
	;;#ASMEND
	v_cndmask_b32_e32 v77, v23, v39, vcc
	;;#ASMSTART
	v_dot2_f32_f16 v67, v78, v6, v67
	;;#ASMEND
	v_cmp_lt_i32_e32 vcc, v38, v35
	;;#ASMSTART
	v_dot2_f32_f16 v67, v79, v7, v67
	;;#ASMEND
	;;#ASMSTART
	v_dot2_f32_f16 v70, v0, v72, v70
	;;#ASMEND
	s_nop 0
	;;#ASMSTART
	v_dot2_f32_f16 v70, v1, v73, v70
	;;#ASMEND
	s_nop 0
	;;#ASMSTART
	v_dot2_f32_f16 v70, v2, v74, v70
	;;#ASMEND
	v_cndmask_b32_e32 v72, v23, v38, vcc
	;;#ASMSTART
	v_dot2_f32_f16 v70, v3, v75, v70
	;;#ASMEND
	v_cmp_lt_i32_e32 vcc, v37, v35
	;;#ASMSTART
	v_dot2_f32_f16 v69, v0, v4, v69
	;;#ASMEND
	v_lshlrev_b32_e32 v75, 2, v77
	v_ashrrev_i32_e32 v77, 31, v76
	v_cndmask_b32_e32 v73, v23, v37, vcc
	;;#ASMSTART
	v_dot2_f32_f16 v69, v1, v5, v69
	;;#ASMEND
	v_lshlrev_b32_e32 v78, 2, v72
	v_lshlrev_b32_e32 v79, 2, v73
	v_lshl_add_u64 v[72:73], v[76:77], 1, s[30:31]
	;;#ASMSTART
	v_dot2_f32_f16 v69, v2, v6, v69
	;;#ASMEND
	v_cmp_lt_i32_e32 vcc, v36, v35
	;;#ASMSTART
	v_dot2_f32_f16 v69, v3, v7, v69
	;;#ASMEND
	global_load_ushort v0, v[72:73], off
	global_load_ushort v1, v[72:73], off offset:64
	v_cndmask_b32_e32 v74, v23, v36, vcc
	v_lshlrev_b32_e32 v74, 2, v74
	s_barrier
	s_waitcnt vmcnt(1)
	v_cvt_f32_f16_e32 v0, v0
	s_waitcnt vmcnt(0)
	v_cvt_f32_f16_e32 v1, v1
	v_add_f32_e32 v2, v68, v0
	v_add_f32_e32 v3, v70, v1
	;; [unrolled: 1-line block ×8, first 2 shown]
	v_max3_f32 v4, v66, v4, v5
	v_max3_f32 v5, v65, v6, v7
	ds_bpermute_b32 v6, v71, v4
	ds_bpermute_b32 v7, v71, v5
	s_waitcnt lgkmcnt(1)
	v_max_f32_e32 v6, v6, v6
	s_waitcnt lgkmcnt(0)
	v_max_f32_e32 v7, v7, v7
	v_max_f32_e32 v4, v4, v6
	v_max_f32_e32 v5, v5, v7
	ds_bpermute_b32 v6, v75, v4
	ds_bpermute_b32 v7, v75, v5
	s_waitcnt lgkmcnt(1)
	v_max_f32_e32 v6, v6, v6
	s_waitcnt lgkmcnt(0)
	v_max_f32_e32 v7, v7, v7
	v_max_f32_e32 v4, v4, v6
	v_max_f32_e32 v5, v5, v7
	;; [unrolled: 8-line block ×5, first 2 shown]
	v_sub_f32_e32 v72, v3, v4
	v_sub_f32_e32 v70, v66, v4
	;; [unrolled: 1-line block ×4, first 2 shown]
	v_mul_f32_e32 v1, 0x3fb8aa3b, v72
	v_sub_f32_e32 v73, v0, v5
	v_mul_f32_e32 v0, 0x3fb8aa3b, v71
	v_mul_f32_e32 v2, 0x3fb8aa3b, v70
	v_fma_f32 v68, v72, s36, -v1
	v_rndne_f32_e32 v69, v1
	v_sub_f32_e32 v65, v65, v5
	v_mul_f32_e32 v3, 0x3fb8aa3b, v73
	v_fma_f32 v66, v71, s36, -v0
	v_rndne_f32_e32 v67, v0
	v_fma_f32 v74, v70, s36, -v2
	v_rndne_f32_e32 v75, v2
	v_fmac_f32_e32 v68, 0x32a5705f, v72
	v_sub_f32_e32 v1, v1, v69
	v_mul_f32_e32 v6, 0x3fb8aa3b, v76
	v_mul_f32_e32 v7, 0x3fb8aa3b, v65
	v_fma_f32 v77, v73, s36, -v3
	v_rndne_f32_e32 v78, v3
	v_fmac_f32_e32 v66, 0x32a5705f, v71
	v_sub_f32_e32 v0, v0, v67
	v_add_f32_e32 v68, v1, v68
	v_fmac_f32_e32 v74, 0x32a5705f, v70
	v_sub_f32_e32 v1, v2, v75
	v_add_f32_e32 v66, v0, v66
	v_fma_f32 v0, v76, s36, -v6
	v_rndne_f32_e32 v79, v6
	v_add_f32_e32 v74, v1, v74
	v_fma_f32 v1, v65, s36, -v7
	v_fmac_f32_e32 v77, 0x32a5705f, v73
	v_sub_f32_e32 v2, v3, v78
	v_rndne_f32_e32 v80, v7
	v_add_f32_e32 v77, v2, v77
	v_fmac_f32_e32 v0, 0x32a5705f, v76
	v_sub_f32_e32 v2, v6, v79
	v_fmac_f32_e32 v1, 0x32a5705f, v65
	v_sub_f32_e32 v3, v7, v80
	v_add_f32_e32 v81, v2, v0
	v_add_f32_e32 v82, v3, v1
	v_cvt_i32_f32_e32 v2, v67
	v_cvt_i32_f32_e32 v3, v69
	v_exp_f32_e32 v6, v66
	v_exp_f32_e32 v7, v68
	;; [unrolled: 1-line block ×4, first 2 shown]
	v_ldexp_f32 v83, v6, v2
	v_ldexp_f32 v84, v7, v3
	v_cvt_i32_f32_e32 v6, v75
	v_cvt_i32_f32_e32 v7, v78
	v_exp_f32_e32 v68, v81
	v_exp_f32_e32 v69, v82
	v_ldexp_f32 v77, v66, v6
	v_ldexp_f32 v78, v67, v7
	v_cvt_i32_f32_e32 v66, v79
	v_cvt_i32_f32_e32 v67, v80
	v_lshl_add_u64 v[0:1], v[24:25], 2, s[4:5]
	v_lshl_add_u64 v[2:3], v[26:27], 2, s[4:5]
	;; [unrolled: 1-line block ×3, first 2 shown]
	v_ldexp_f32 v79, v68, v66
	v_ldexp_f32 v80, v69, v67
	v_lshl_add_u64 v[66:67], v[30:31], 2, s[4:5]
	v_cmp_ngt_f32_e32 vcc, s37, v70
	v_cmp_ngt_f32_e64 s[4:5], s37, v72
	v_cmp_ngt_f32_e64 s[6:7], s37, v76
	;; [unrolled: 1-line block ×4, first 2 shown]
	v_lshl_add_u64 v[0:1], v[0:1], 0, v[10:11]
	v_cndmask_b32_e64 v81, 0, v84, s[4:5]
	v_cmp_nlt_f32_e64 s[4:5], s38, v72
	v_cndmask_b32_e32 v72, 0, v77, vcc
	v_cmp_nlt_f32_e32 vcc, s38, v70
	v_cndmask_b32_e64 v70, 0, v78, s[8:9]
	v_cmp_nlt_f32_e64 s[8:9], s38, v73
	v_cndmask_b32_e64 v73, 0, v79, s[6:7]
	v_cmp_nlt_f32_e64 s[6:7], s38, v76
	v_cmp_ngt_f32_e64 s[10:11], s37, v65
	v_cndmask_b32_e64 v76, 0, v83, s[12:13]
	v_cmp_nlt_f32_e64 s[12:13], s38, v71
	v_lshl_add_u64 v[68:69], v[2:3], 0, v[10:11]
	global_load_dwordx4 v[0:3], v[0:1], off
	v_cndmask_b32_e64 v80, 0, v80, s[10:11]
	v_cmp_nlt_f32_e64 s[10:11], s38, v65
	v_cndmask_b32_e64 v76, v52, v76, s[12:13]
	v_cndmask_b32_e64 v78, v52, v81, s[4:5]
	v_cndmask_b32_e64 v77, v52, v70, s[8:9]
	v_cndmask_b32_e64 v79, v52, v73, s[6:7]
	v_lshl_add_u64 v[6:7], v[6:7], 0, v[10:11]
	v_lshl_add_u64 v[74:75], v[66:67], 0, v[10:11]
	global_load_dwordx4 v[66:69], v[68:69], off
	v_cndmask_b32_e32 v70, v52, v72, vcc
	v_cndmask_b32_e64 v71, v52, v80, s[10:11]
	v_pk_add_f32 v[72:73], v[76:77], v[78:79]
	v_cvt_f16_f32_e32 v65, v70
	v_pk_fma_f32 v[14:15], v[14:15], v[70:71], v[72:73]
	v_cvt_f16_f32_e32 v80, v71
	global_load_dwordx4 v[70:73], v[6:7], off
	v_cvt_pk_f16_f32 v6, v76, v77
	global_load_dwordx4 v[74:77], v[74:75], off
	v_cvt_pk_f16_f32 v7, v78, v79
	ds_write2_b32 v53, v6, v7 offset1:32
	s_waitcnt vmcnt(3)
	ds_write_b128 v48, v[0:3]
	s_waitcnt vmcnt(2)
	ds_write_b128 v49, v[66:69]
	;; [unrolled: 2-line block ×4, first 2 shown]
	s_waitcnt lgkmcnt(0)
	s_barrier
	ds_read2_b64 v[0:3], v34 offset1:32
	ds_read_b128 v[66:69], v47
	ds_read_b128 v[70:73], v47 offset:16
	ds_read_b128 v[74:77], v47 offset:32
	v_mul_u32_u24_e32 v6, 0x10001, v65
	v_mul_u32_u24_e32 v7, 0x10001, v80
	s_waitcnt lgkmcnt(2)
	v_mul_u32_u24_sdwa v65, v66, s39 dst_sel:DWORD dst_unused:UNUSED_PAD src0_sel:WORD_0 src1_sel:DWORD
	v_pk_mul_f16 v78, v0, v65
	v_pk_mul_f16 v64, v64, v6
	v_pk_fma_f16 v6, v63, v6, v78
	v_mul_u32_u24_sdwa v63, v66, s39 dst_sel:DWORD dst_unused:UNUSED_PAD src0_sel:WORD_1 src1_sel:DWORD
	v_pk_mul_f16 v62, v62, v7
	v_pk_mul_f16 v0, v0, v63
	v_mul_u32_u24_sdwa v66, v67, s39 dst_sel:DWORD dst_unused:UNUSED_PAD src0_sel:WORD_0 src1_sel:DWORD
	v_pk_fma_f16 v64, v1, v65, v64
	v_mul_u32_u24_sdwa v65, v67, s39 dst_sel:DWORD dst_unused:UNUSED_PAD src0_sel:WORD_1 src1_sel:DWORD
	v_pk_fma_f16 v1, v1, v63, v62
	v_pk_fma_f16 v0, v61, v7, v0
	;; [unrolled: 1-line block ×6, first 2 shown]
	ds_read2_b64 v[62:65], v34 offset0:64 offset1:96
	v_mul_u32_u24_sdwa v67, v68, s39 dst_sel:DWORD dst_unused:UNUSED_PAD src0_sel:WORD_0 src1_sel:DWORD
	v_mul_u32_u24_sdwa v68, v68, s39 dst_sel:DWORD dst_unused:UNUSED_PAD src0_sel:WORD_1 src1_sel:DWORD
	v_mul_u32_u24_sdwa v78, v69, s39 dst_sel:DWORD dst_unused:UNUSED_PAD src0_sel:WORD_0 src1_sel:DWORD
	v_mul_u32_u24_sdwa v69, v69, s39 dst_sel:DWORD dst_unused:UNUSED_PAD src0_sel:WORD_1 src1_sel:DWORD
	s_waitcnt lgkmcnt(0)
	v_pk_fma_f16 v7, v63, v67, v7
	v_pk_fma_f16 v61, v63, v68, v61
	;; [unrolled: 1-line block ×8, first 2 shown]
	ds_read2_b64 v[62:65], v34 offset0:128 offset1:160
	v_mul_u32_u24_sdwa v67, v70, s39 dst_sel:DWORD dst_unused:UNUSED_PAD src0_sel:WORD_0 src1_sel:DWORD
	v_mul_u32_u24_sdwa v68, v70, s39 dst_sel:DWORD dst_unused:UNUSED_PAD src0_sel:WORD_1 src1_sel:DWORD
	v_mul_u32_u24_sdwa v69, v71, s39 dst_sel:DWORD dst_unused:UNUSED_PAD src0_sel:WORD_0 src1_sel:DWORD
	v_mul_u32_u24_sdwa v70, v71, s39 dst_sel:DWORD dst_unused:UNUSED_PAD src0_sel:WORD_1 src1_sel:DWORD
	s_waitcnt lgkmcnt(0)
	v_pk_fma_f16 v7, v63, v67, v7
	v_pk_fma_f16 v61, v63, v68, v61
	;; [unrolled: 1-line block ×8, first 2 shown]
	ds_read2_b64 v[62:65], v34 offset0:192 offset1:224
	ds_read2_b64 v[66:69], v54 offset1:32
	v_mul_u32_u24_sdwa v71, v72, s39 dst_sel:DWORD dst_unused:UNUSED_PAD src0_sel:WORD_0 src1_sel:DWORD
	v_mul_u32_u24_sdwa v72, v72, s39 dst_sel:DWORD dst_unused:UNUSED_PAD src0_sel:WORD_1 src1_sel:DWORD
	v_mul_u32_u24_sdwa v78, v73, s39 dst_sel:DWORD dst_unused:UNUSED_PAD src0_sel:WORD_0 src1_sel:DWORD
	v_mul_u32_u24_sdwa v73, v73, s39 dst_sel:DWORD dst_unused:UNUSED_PAD src0_sel:WORD_1 src1_sel:DWORD
	s_waitcnt lgkmcnt(1)
	v_pk_fma_f16 v7, v63, v71, v7
	v_pk_fma_f16 v61, v63, v72, v61
	;; [unrolled: 1-line block ×8, first 2 shown]
	ds_read2_b64 v[62:65], v54 offset0:64 offset1:96
	v_mul_u32_u24_sdwa v71, v74, s39 dst_sel:DWORD dst_unused:UNUSED_PAD src0_sel:WORD_0 src1_sel:DWORD
	v_mul_u32_u24_sdwa v72, v74, s39 dst_sel:DWORD dst_unused:UNUSED_PAD src0_sel:WORD_1 src1_sel:DWORD
	ds_read_b128 v[0:3], v47 offset:48
	v_mul_u32_u24_sdwa v73, v75, s39 dst_sel:DWORD dst_unused:UNUSED_PAD src0_sel:WORD_0 src1_sel:DWORD
	v_mul_u32_u24_sdwa v74, v75, s39 dst_sel:DWORD dst_unused:UNUSED_PAD src0_sel:WORD_1 src1_sel:DWORD
	s_waitcnt lgkmcnt(2)
	v_pk_fma_f16 v7, v67, v71, v7
	v_pk_fma_f16 v61, v67, v72, v61
	v_pk_fma_f16 v6, v66, v71, v6
	v_pk_fma_f16 v66, v66, v72, v70
	v_pk_fma_f16 v7, v69, v73, v7
	v_pk_fma_f16 v61, v69, v74, v61
	v_pk_fma_f16 v6, v68, v73, v6
	v_pk_fma_f16 v74, v68, v74, v66
	ds_read2_b64 v[66:69], v54 offset0:128 offset1:160
	v_mul_u32_u24_sdwa v75, v76, s39 dst_sel:DWORD dst_unused:UNUSED_PAD src0_sel:WORD_0 src1_sel:DWORD
	v_mul_u32_u24_sdwa v76, v76, s39 dst_sel:DWORD dst_unused:UNUSED_PAD src0_sel:WORD_1 src1_sel:DWORD
	v_mul_u32_u24_sdwa v78, v77, s39 dst_sel:DWORD dst_unused:UNUSED_PAD src0_sel:WORD_0 src1_sel:DWORD
	v_mul_u32_u24_sdwa v77, v77, s39 dst_sel:DWORD dst_unused:UNUSED_PAD src0_sel:WORD_1 src1_sel:DWORD
	s_waitcnt lgkmcnt(2)
	v_pk_fma_f16 v7, v63, v75, v7
	v_pk_fma_f16 v61, v63, v76, v61
	v_pk_fma_f16 v6, v62, v75, v6
	v_pk_fma_f16 v62, v62, v76, v74
	v_pk_fma_f16 v7, v65, v78, v7
	v_pk_fma_f16 v61, v65, v77, v61
	v_pk_fma_f16 v6, v64, v78, v6
	v_pk_fma_f16 v74, v64, v77, v62
	s_waitcnt lgkmcnt(1)
	v_mul_u32_u24_sdwa v75, v0, s39 dst_sel:DWORD dst_unused:UNUSED_PAD src0_sel:WORD_0 src1_sel:DWORD
	v_mul_u32_u24_sdwa v0, v0, s39 dst_sel:DWORD dst_unused:UNUSED_PAD src0_sel:WORD_1 src1_sel:DWORD
	ds_read2_b64 v[70:73], v54 offset0:192 offset1:224
	v_mul_u32_u24_sdwa v76, v1, s39 dst_sel:DWORD dst_unused:UNUSED_PAD src0_sel:WORD_0 src1_sel:DWORD
	v_mul_u32_u24_sdwa v1, v1, s39 dst_sel:DWORD dst_unused:UNUSED_PAD src0_sel:WORD_1 src1_sel:DWORD
	s_waitcnt lgkmcnt(1)
	v_pk_fma_f16 v7, v67, v75, v7
	v_pk_fma_f16 v61, v67, v0, v61
	v_pk_fma_f16 v6, v66, v75, v6
	v_pk_fma_f16 v0, v66, v0, v74
	v_pk_fma_f16 v7, v69, v76, v7
	v_pk_fma_f16 v61, v69, v1, v61
	v_pk_fma_f16 v6, v68, v76, v6
	v_pk_fma_f16 v74, v68, v1, v0
	ds_read_b128 v[66:69], v47 offset:64
	ds_read2_b64 v[62:65], v55 offset1:32
	v_mul_u32_u24_sdwa v75, v2, s39 dst_sel:DWORD dst_unused:UNUSED_PAD src0_sel:WORD_0 src1_sel:DWORD
	v_mul_u32_u24_sdwa v76, v2, s39 dst_sel:DWORD dst_unused:UNUSED_PAD src0_sel:WORD_1 src1_sel:DWORD
	v_mul_u32_u24_sdwa v77, v3, s39 dst_sel:DWORD dst_unused:UNUSED_PAD src0_sel:WORD_0 src1_sel:DWORD
	v_mul_u32_u24_sdwa v78, v3, s39 dst_sel:DWORD dst_unused:UNUSED_PAD src0_sel:WORD_1 src1_sel:DWORD
	s_waitcnt lgkmcnt(2)
	v_pk_fma_f16 v7, v71, v75, v7
	v_pk_fma_f16 v61, v71, v76, v61
	v_pk_fma_f16 v6, v70, v75, v6
	v_pk_fma_f16 v70, v70, v76, v74
	ds_read2_b64 v[0:3], v55 offset0:64 offset1:96
	v_pk_fma_f16 v7, v73, v77, v7
	v_pk_fma_f16 v61, v73, v78, v61
	v_pk_fma_f16 v6, v72, v77, v6
	v_pk_fma_f16 v74, v72, v78, v70
	ds_read_b128 v[70:73], v47 offset:80
	s_waitcnt lgkmcnt(3)
	v_mul_u32_u24_sdwa v75, v66, s39 dst_sel:DWORD dst_unused:UNUSED_PAD src0_sel:WORD_0 src1_sel:DWORD
	v_mul_u32_u24_sdwa v66, v66, s39 dst_sel:DWORD dst_unused:UNUSED_PAD src0_sel:WORD_1 src1_sel:DWORD
	v_mul_u32_u24_sdwa v76, v67, s39 dst_sel:DWORD dst_unused:UNUSED_PAD src0_sel:WORD_0 src1_sel:DWORD
	v_mul_u32_u24_sdwa v67, v67, s39 dst_sel:DWORD dst_unused:UNUSED_PAD src0_sel:WORD_1 src1_sel:DWORD
	s_waitcnt lgkmcnt(2)
	v_pk_fma_f16 v7, v63, v75, v7
	v_pk_fma_f16 v61, v63, v66, v61
	v_pk_fma_f16 v6, v62, v75, v6
	v_pk_fma_f16 v62, v62, v66, v74
	v_pk_fma_f16 v7, v65, v76, v7
	v_pk_fma_f16 v61, v65, v67, v61
	v_pk_fma_f16 v6, v64, v76, v6
	v_pk_fma_f16 v74, v64, v67, v62
	ds_read2_b64 v[62:65], v55 offset0:128 offset1:160
	v_mul_u32_u24_sdwa v75, v68, s39 dst_sel:DWORD dst_unused:UNUSED_PAD src0_sel:WORD_0 src1_sel:DWORD
	v_mul_u32_u24_sdwa v76, v68, s39 dst_sel:DWORD dst_unused:UNUSED_PAD src0_sel:WORD_1 src1_sel:DWORD
	v_mul_u32_u24_sdwa v77, v69, s39 dst_sel:DWORD dst_unused:UNUSED_PAD src0_sel:WORD_0 src1_sel:DWORD
	v_mul_u32_u24_sdwa v78, v69, s39 dst_sel:DWORD dst_unused:UNUSED_PAD src0_sel:WORD_1 src1_sel:DWORD
	s_waitcnt lgkmcnt(2)
	v_pk_fma_f16 v7, v1, v75, v7
	v_pk_fma_f16 v1, v1, v76, v61
	v_pk_fma_f16 v6, v0, v75, v6
	v_pk_fma_f16 v0, v0, v76, v74
	v_pk_fma_f16 v7, v3, v77, v7
	v_pk_fma_f16 v61, v3, v78, v1
	v_pk_fma_f16 v6, v2, v77, v6
	v_pk_fma_f16 v74, v2, v78, v0
	s_waitcnt lgkmcnt(1)
	v_mul_u32_u24_sdwa v75, v70, s39 dst_sel:DWORD dst_unused:UNUSED_PAD src0_sel:WORD_0 src1_sel:DWORD
	v_mul_u32_u24_sdwa v70, v70, s39 dst_sel:DWORD dst_unused:UNUSED_PAD src0_sel:WORD_1 src1_sel:DWORD
	ds_read2_b64 v[66:69], v55 offset0:192 offset1:224
	v_mul_u32_u24_sdwa v76, v71, s39 dst_sel:DWORD dst_unused:UNUSED_PAD src0_sel:WORD_0 src1_sel:DWORD
	v_mul_u32_u24_sdwa v71, v71, s39 dst_sel:DWORD dst_unused:UNUSED_PAD src0_sel:WORD_1 src1_sel:DWORD
	s_waitcnt lgkmcnt(1)
	v_pk_fma_f16 v7, v63, v75, v7
	v_pk_fma_f16 v61, v63, v70, v61
	v_pk_fma_f16 v6, v62, v75, v6
	v_pk_fma_f16 v62, v62, v70, v74
	v_pk_fma_f16 v7, v65, v76, v7
	v_pk_fma_f16 v61, v65, v71, v61
	v_pk_fma_f16 v6, v64, v76, v6
	v_pk_fma_f16 v74, v64, v71, v62
	ds_read_b128 v[62:65], v47 offset:96
	ds_read2_b64 v[0:3], v56 offset1:32
	v_mul_u32_u24_sdwa v75, v72, s39 dst_sel:DWORD dst_unused:UNUSED_PAD src0_sel:WORD_0 src1_sel:DWORD
	v_mul_u32_u24_sdwa v76, v72, s39 dst_sel:DWORD dst_unused:UNUSED_PAD src0_sel:WORD_1 src1_sel:DWORD
	v_mul_u32_u24_sdwa v77, v73, s39 dst_sel:DWORD dst_unused:UNUSED_PAD src0_sel:WORD_0 src1_sel:DWORD
	v_mul_u32_u24_sdwa v78, v73, s39 dst_sel:DWORD dst_unused:UNUSED_PAD src0_sel:WORD_1 src1_sel:DWORD
	s_waitcnt lgkmcnt(2)
	v_pk_fma_f16 v7, v67, v75, v7
	v_pk_fma_f16 v61, v67, v76, v61
	v_pk_fma_f16 v6, v66, v75, v6
	v_pk_fma_f16 v66, v66, v76, v74
	ds_read2_b64 v[70:73], v56 offset0:64 offset1:96
	v_pk_fma_f16 v7, v69, v77, v7
	v_pk_fma_f16 v61, v69, v78, v61
	v_pk_fma_f16 v6, v68, v77, v6
	v_pk_fma_f16 v74, v68, v78, v66
	ds_read_b128 v[66:69], v47 offset:112
	s_waitcnt lgkmcnt(3)
	v_mul_u32_u24_sdwa v75, v62, s39 dst_sel:DWORD dst_unused:UNUSED_PAD src0_sel:WORD_0 src1_sel:DWORD
	v_mul_u32_u24_sdwa v62, v62, s39 dst_sel:DWORD dst_unused:UNUSED_PAD src0_sel:WORD_1 src1_sel:DWORD
	;; [unrolled: 60-line block ×6, first 2 shown]
	v_mul_u32_u24_sdwa v76, v63, s39 dst_sel:DWORD dst_unused:UNUSED_PAD src0_sel:WORD_0 src1_sel:DWORD
	v_mul_u32_u24_sdwa v63, v63, s39 dst_sel:DWORD dst_unused:UNUSED_PAD src0_sel:WORD_1 src1_sel:DWORD
	s_waitcnt lgkmcnt(2)
	v_pk_fma_f16 v7, v1, v75, v7
	v_pk_fma_f16 v1, v1, v62, v61
	;; [unrolled: 1-line block ×8, first 2 shown]
	ds_read2_b64 v[0:3], v60 offset0:128 offset1:160
	ds_read2_b64 v[74:77], v60 offset0:192 offset1:224
	s_waitcnt lgkmcnt(0)
	s_barrier
	s_load_dword s4, s[14:15], 0x4
	v_mul_u32_u24_sdwa v63, v64, s39 dst_sel:DWORD dst_unused:UNUSED_PAD src0_sel:WORD_0 src1_sel:DWORD
	v_mul_u32_u24_sdwa v64, v64, s39 dst_sel:DWORD dst_unused:UNUSED_PAD src0_sel:WORD_1 src1_sel:DWORD
	v_mul_u32_u24_sdwa v78, v65, s39 dst_sel:DWORD dst_unused:UNUSED_PAD src0_sel:WORD_0 src1_sel:DWORD
	v_mul_u32_u24_sdwa v65, v65, s39 dst_sel:DWORD dst_unused:UNUSED_PAD src0_sel:WORD_1 src1_sel:DWORD
	v_pk_fma_f16 v7, v71, v63, v7
	v_pk_fma_f16 v6, v70, v63, v6
	v_pk_fma_f16 v61, v71, v64, v61
	v_pk_fma_f16 v62, v70, v64, v62
	v_mul_u32_u24_sdwa v63, v66, s39 dst_sel:DWORD dst_unused:UNUSED_PAD src0_sel:WORD_0 src1_sel:DWORD
	v_mul_u32_u24_sdwa v64, v66, s39 dst_sel:DWORD dst_unused:UNUSED_PAD src0_sel:WORD_1 src1_sel:DWORD
	v_pk_fma_f16 v7, v73, v78, v7
	v_pk_fma_f16 v6, v72, v78, v6
	v_pk_fma_f16 v61, v73, v65, v61
	v_pk_fma_f16 v62, v72, v65, v62
	;; [unrolled: 6-line block ×3, first 2 shown]
	v_mul_u32_u24_sdwa v67, v68, s39 dst_sel:DWORD dst_unused:UNUSED_PAD src0_sel:WORD_0 src1_sel:DWORD
	v_mul_u32_u24_sdwa v68, v68, s39 dst_sel:DWORD dst_unused:UNUSED_PAD src0_sel:WORD_1 src1_sel:DWORD
	s_waitcnt lgkmcnt(0)
	s_lshl_b32 s4, s4, 6
	v_pk_fma_f16 v7, v3, v66, v7
	v_pk_fma_f16 v1, v3, v65, v1
	;; [unrolled: 1-line block ×4, first 2 shown]
	v_mul_u32_u24_sdwa v70, v69, s39 dst_sel:DWORD dst_unused:UNUSED_PAD src0_sel:WORD_0 src1_sel:DWORD
	v_mul_u32_u24_sdwa v69, v69, s39 dst_sel:DWORD dst_unused:UNUSED_PAD src0_sel:WORD_1 src1_sel:DWORD
	s_add_i32 s2, s4, s2
	v_pk_fma_f16 v2, v75, v67, v7
	v_pk_fma_f16 v1, v75, v68, v1
	;; [unrolled: 1-line block ×4, first 2 shown]
	s_cmp_ge_i32 s2, s28
	v_pk_fma_f16 v64, v77, v70, v2
	v_pk_fma_f16 v62, v77, v69, v1
	;; [unrolled: 1-line block ×4, first 2 shown]
	s_cbranch_scc0 .LBB24_9
.LBB24_10:
	v_cmp_lt_i32_e32 vcc, v40, v35
	s_cmp_lg_u64 s[16:17], 0
	s_cselect_b64 s[4:5], -1, 0
	v_cndmask_b32_e32 v0, v23, v40, vcc
	v_lshlrev_b32_e32 v1, 2, v0
	ds_bpermute_b32 v0, v1, v14
	ds_bpermute_b32 v1, v1, v15
	v_cmp_lt_i32_e32 vcc, v39, v35
	s_cmp_eq_u32 s3, 0
	s_cselect_b64 s[6:7], -1, 0
	v_cndmask_b32_e32 v2, v23, v39, vcc
	v_lshlrev_b32_e32 v3, 2, v2
	s_waitcnt lgkmcnt(0)
	v_pk_add_f32 v[0:1], v[14:15], v[0:1]
	ds_bpermute_b32 v2, v3, v0
	ds_bpermute_b32 v3, v3, v1
	v_cmp_lt_i32_e32 vcc, v38, v35
	s_and_b64 s[4:5], s[6:7], s[4:5]
	s_waitcnt lgkmcnt(0)
	v_pk_add_f32 v[0:1], v[0:1], v[2:3]
	v_cndmask_b32_e32 v6, v23, v38, vcc
	v_lshlrev_b32_e32 v6, 2, v6
	ds_bpermute_b32 v2, v6, v0
	ds_bpermute_b32 v3, v6, v1
	v_cmp_lt_i32_e32 vcc, v37, v35
	s_waitcnt lgkmcnt(0)
	v_pk_add_f32 v[0:1], v[0:1], v[2:3]
	v_cndmask_b32_e32 v6, v23, v37, vcc
	v_lshlrev_b32_e32 v6, 2, v6
	ds_bpermute_b32 v2, v6, v0
	ds_bpermute_b32 v3, v6, v1
	v_cmp_lt_i32_e32 vcc, v36, v35
	s_waitcnt lgkmcnt(0)
	v_pk_add_f32 v[0:1], v[0:1], v[2:3]
	v_cndmask_b32_e32 v6, v23, v36, vcc
	v_lshlrev_b32_e32 v6, 2, v6
	ds_bpermute_b32 v2, v6, v0
	ds_bpermute_b32 v3, v6, v1
	s_and_b64 vcc, exec, s[4:5]
	s_waitcnt lgkmcnt(0)
	v_pk_add_f32 v[0:1], v[0:1], v[2:3]
	s_cbranch_vccz .LBB24_12
; %bb.11:
	v_add_u32_e32 v2, s29, v32
	v_ashrrev_i32_e32 v3, 31, v2
	v_lshl_add_u64 v[2:3], v[2:3], 2, s[16:17]
	global_load_dwordx2 v[2:3], v[2:3], off
	v_max_f32_e32 v6, v4, v4
	v_max_f32_e32 v7, v5, v5
	s_mov_b32 s2, 0x3fb8aa3b
	s_mov_b32 s4, 0xc2ce8ed0
	;; [unrolled: 1-line block ×3, first 2 shown]
	v_mov_b32_e32 v10, 0x7f800000
	s_waitcnt vmcnt(0)
	v_max_f32_e32 v11, v2, v2
	v_max_f32_e32 v6, v6, v11
	;; [unrolled: 1-line block ×3, first 2 shown]
	v_sub_f32_e32 v4, v4, v6
	v_max_f32_e32 v7, v7, v12
	v_sub_f32_e32 v11, v2, v6
	v_mul_f32_e32 v2, 0x3fb8aa3b, v4
	v_sub_f32_e32 v5, v5, v7
	v_sub_f32_e32 v12, v3, v7
	v_mul_f32_e32 v3, 0x3fb8aa3b, v11
	v_fma_f32 v15, v4, s2, -v2
	v_rndne_f32_e32 v16, v2
	v_mul_f32_e32 v13, 0x3fb8aa3b, v5
	v_fma_f32 v17, v11, s2, -v3
	v_rndne_f32_e32 v18, v3
	v_fmac_f32_e32 v15, 0x32a5705f, v4
	v_sub_f32_e32 v2, v2, v16
	v_mul_f32_e32 v14, 0x3fb8aa3b, v12
	v_fma_f32 v19, v5, s2, -v13
	v_rndne_f32_e32 v20, v13
	v_fmac_f32_e32 v17, 0x32a5705f, v11
	v_sub_f32_e32 v3, v3, v18
	v_add_f32_e32 v2, v2, v15
	v_fma_f32 v21, v12, s2, -v14
	v_rndne_f32_e32 v22, v14
	v_cvt_i32_f32_e32 v16, v16
	v_fmac_f32_e32 v19, 0x32a5705f, v5
	v_sub_f32_e32 v13, v13, v20
	v_add_f32_e32 v3, v3, v17
	v_exp_f32_e32 v2, v2
	v_cvt_i32_f32_e32 v18, v18
	v_fmac_f32_e32 v21, 0x32a5705f, v12
	v_sub_f32_e32 v14, v14, v22
	v_add_f32_e32 v13, v13, v19
	v_exp_f32_e32 v3, v3
	v_cvt_i32_f32_e32 v20, v20
	v_add_f32_e32 v14, v14, v21
	v_exp_f32_e32 v13, v13
	v_cvt_i32_f32_e32 v22, v22
	v_exp_f32_e32 v14, v14
	v_ldexp_f32 v2, v2, v16
	v_cmp_ngt_f32_e32 vcc, s4, v4
	v_ldexp_f32 v3, v3, v18
	v_ldexp_f32 v13, v13, v20
	v_cndmask_b32_e32 v2, 0, v2, vcc
	v_cmp_ngt_f32_e32 vcc, s4, v11
	v_ldexp_f32 v14, v14, v22
	s_nop 0
	v_cndmask_b32_e32 v3, 0, v3, vcc
	v_cmp_ngt_f32_e32 vcc, s4, v5
	s_nop 1
	v_cndmask_b32_e32 v13, 0, v13, vcc
	v_cmp_ngt_f32_e32 vcc, s4, v12
	s_nop 1
	v_cndmask_b32_e32 v14, 0, v14, vcc
	v_cmp_nlt_f32_e32 vcc, s5, v4
	s_nop 1
	v_cndmask_b32_e32 v2, v10, v2, vcc
	v_cmp_nlt_f32_e32 vcc, s5, v11
	v_cvt_f16_f32_e32 v11, v2
	s_nop 0
	v_cndmask_b32_e32 v4, v10, v3, vcc
	v_cmp_nlt_f32_e32 vcc, s5, v5
	s_nop 1
	v_cndmask_b32_e32 v3, v10, v13, vcc
	v_cvt_f16_f32_e32 v13, v3
	v_cmp_nlt_f32_e32 vcc, s5, v12
	s_nop 1
	v_cndmask_b32_e32 v5, v10, v14, vcc
	v_pk_fma_f32 v[0:1], v[0:1], v[2:3], v[4:5]
	v_mul_u32_u24_e32 v2, 0x10001, v11
	v_mul_u32_u24_e32 v3, 0x10001, v13
	v_pk_mul_f16 v63, v63, v2
	v_pk_mul_f16 v64, v64, v2
	;; [unrolled: 1-line block ×4, first 2 shown]
	v_mov_b64_e32 v[4:5], v[6:7]
.LBB24_12:
	v_cmp_gt_i32_e32 vcc, s26, v9
	s_and_saveexec_b64 s[4:5], vcc
	s_cbranch_execz .LBB24_21
; %bb.13:
	s_load_dword s6, s[0:1], 0xd4
	v_mov_b32_e32 v6, 1.0
	s_waitcnt lgkmcnt(0)
	s_cmp_lg_u32 s6, 1
	s_cselect_b64 s[0:1], -1, 0
	s_cmp_eq_u32 s6, 1
	s_cselect_b64 s[4:5], -1, 0
	s_and_b64 vcc, exec, s[0:1]
	s_cbranch_vccnz .LBB24_15
; %bb.14:
	v_div_scale_f32 v2, s[8:9], v0, v0, 1.0
	v_rcp_f32_e32 v3, v2
	v_div_scale_f32 v6, vcc, 1.0, v0, 1.0
	v_fma_f32 v7, -v2, v3, 1.0
	v_fmac_f32_e32 v3, v7, v3
	v_mul_f32_e32 v7, v6, v3
	v_fma_f32 v10, -v2, v7, v6
	v_fmac_f32_e32 v7, v10, v3
	v_fma_f32 v2, -v2, v7, v6
	v_div_fmas_f32 v2, v2, v3, v7
	v_div_fixup_f32 v6, v2, v0, 1.0
.LBB24_15:
	s_mul_i32 s33, s33, s26
	v_add_u32_e32 v2, s33, v9
	v_mul_lo_u32 v2, v2, s27
	v_add3_u32 v2, s29, v32, v2
	v_cvt_f32_f16_sdwa v11, v63 dst_sel:DWORD dst_unused:UNUSED_PAD src0_sel:WORD_1
	v_cvt_f32_f16_e32 v10, v63
	v_cvt_f32_f16_sdwa v13, v64 dst_sel:DWORD dst_unused:UNUSED_PAD src0_sel:WORD_1
	v_cvt_f32_f16_e32 v12, v64
	v_mul_lo_u32 v2, s6, v2
	v_add_u32_e32 v2, s3, v2
	v_cmp_eq_u32_e32 vcc, 0, v8
	v_lshl_add_u32 v8, v2, 7, v33
	v_mov_b32_e32 v9, 0
	s_and_b64 s[0:1], vcc, s[0:1]
	v_lshl_add_u64 v[14:15], v[8:9], 2, s[20:21]
	v_pk_mul_f32 v[8:9], v[6:7], v[10:11] op_sel_hi:[0,1]
	v_pk_mul_f32 v[10:11], v[6:7], v[12:13] op_sel_hi:[0,1]
	global_store_dwordx4 v[14:15], v[8:11], off
	s_and_saveexec_b64 s[2:3], s[0:1]
	s_cbranch_execz .LBB24_17
; %bb.16:
	v_ashrrev_i32_e32 v3, 31, v2
	v_lshl_add_u64 v[6:7], v[2:3], 3, s[22:23]
	v_mov_b32_e32 v8, v4
	v_mov_b32_e32 v9, v0
	global_store_dwordx2 v[6:7], v[8:9], off
.LBB24_17:
	s_or_b64 exec, exec, s[2:3]
	s_andn2_b64 vcc, exec, s[4:5]
	v_mov_b32_e32 v0, 1.0
	s_cbranch_vccnz .LBB24_19
; %bb.18:
	v_div_scale_f32 v0, s[2:3], v1, v1, 1.0
	v_rcp_f32_e32 v3, v0
	v_div_scale_f32 v4, vcc, 1.0, v1, 1.0
	v_fma_f32 v6, -v0, v3, 1.0
	v_fmac_f32_e32 v3, v6, v3
	v_mul_f32_e32 v6, v4, v3
	v_fma_f32 v7, -v0, v6, v4
	v_fmac_f32_e32 v6, v7, v3
	v_fma_f32 v0, -v0, v6, v4
	v_div_fmas_f32 v0, v0, v3, v6
	v_div_fixup_f32 v0, v0, v1, 1.0
.LBB24_19:
	v_cvt_f32_f16_sdwa v9, v61 dst_sel:DWORD dst_unused:UNUSED_PAD src0_sel:WORD_1
	v_cvt_f32_f16_e32 v8, v61
	v_cvt_f32_f16_sdwa v11, v62 dst_sel:DWORD dst_unused:UNUSED_PAD src0_sel:WORD_1
	v_cvt_f32_f16_e32 v10, v62
	v_add_u32_e32 v2, s6, v2
	v_lshl_add_u32 v6, v2, 7, v33
	v_mov_b32_e32 v7, 0
	v_lshl_add_u64 v[12:13], v[6:7], 2, s[20:21]
	v_pk_mul_f32 v[6:7], v[0:1], v[8:9] op_sel_hi:[0,1]
	v_pk_mul_f32 v[8:9], v[0:1], v[10:11] op_sel_hi:[0,1]
	global_store_dwordx4 v[12:13], v[6:9], off
	s_and_b64 exec, exec, s[0:1]
	s_cbranch_execz .LBB24_21
; %bb.20:
	v_ashrrev_i32_e32 v3, 31, v2
	v_lshl_add_u64 v[2:3], v[2:3], 3, s[22:23]
	v_mov_b32_e32 v0, v5
	global_store_dwordx2 v[2:3], v[0:1], off
.LBB24_21:
	s_endpgm
	.section	.rodata,"a",@progbits
	.p2align	6, 0x0
	.amdhsa_kernel _ZL15flash_attn_tileILi128ELi128ELi4ELi4ELb0EEvPKcS1_S1_S1_S1_PKiPfP15HIP_vector_typeIfLj2EEffffjfiS5_IjLj3EEiiiiiiiiiiiliiliiiiil
		.amdhsa_group_segment_fixed_size 23552
		.amdhsa_private_segment_fixed_size 0
		.amdhsa_kernarg_size 464
		.amdhsa_user_sgpr_count 2
		.amdhsa_user_sgpr_dispatch_ptr 0
		.amdhsa_user_sgpr_queue_ptr 0
		.amdhsa_user_sgpr_kernarg_segment_ptr 1
		.amdhsa_user_sgpr_dispatch_id 0
		.amdhsa_user_sgpr_kernarg_preload_length 0
		.amdhsa_user_sgpr_kernarg_preload_offset 0
		.amdhsa_user_sgpr_private_segment_size 0
		.amdhsa_uses_dynamic_stack 0
		.amdhsa_enable_private_segment 0
		.amdhsa_system_sgpr_workgroup_id_x 1
		.amdhsa_system_sgpr_workgroup_id_y 1
		.amdhsa_system_sgpr_workgroup_id_z 1
		.amdhsa_system_sgpr_workgroup_info 0
		.amdhsa_system_vgpr_workitem_id 1
		.amdhsa_next_free_vgpr 88
		.amdhsa_next_free_sgpr 91
		.amdhsa_accum_offset 88
		.amdhsa_reserve_vcc 1
		.amdhsa_float_round_mode_32 0
		.amdhsa_float_round_mode_16_64 0
		.amdhsa_float_denorm_mode_32 3
		.amdhsa_float_denorm_mode_16_64 3
		.amdhsa_dx10_clamp 1
		.amdhsa_ieee_mode 1
		.amdhsa_fp16_overflow 0
		.amdhsa_tg_split 0
		.amdhsa_exception_fp_ieee_invalid_op 0
		.amdhsa_exception_fp_denorm_src 0
		.amdhsa_exception_fp_ieee_div_zero 0
		.amdhsa_exception_fp_ieee_overflow 0
		.amdhsa_exception_fp_ieee_underflow 0
		.amdhsa_exception_fp_ieee_inexact 0
		.amdhsa_exception_int_div_zero 0
	.end_amdhsa_kernel
	.section	.text._ZL15flash_attn_tileILi128ELi128ELi4ELi4ELb0EEvPKcS1_S1_S1_S1_PKiPfP15HIP_vector_typeIfLj2EEffffjfiS5_IjLj3EEiiiiiiiiiiiliiliiiiil,"axG",@progbits,_ZL15flash_attn_tileILi128ELi128ELi4ELi4ELb0EEvPKcS1_S1_S1_S1_PKiPfP15HIP_vector_typeIfLj2EEffffjfiS5_IjLj3EEiiiiiiiiiiiliiliiiiil,comdat
.Lfunc_end24:
	.size	_ZL15flash_attn_tileILi128ELi128ELi4ELi4ELb0EEvPKcS1_S1_S1_S1_PKiPfP15HIP_vector_typeIfLj2EEffffjfiS5_IjLj3EEiiiiiiiiiiiliiliiiiil, .Lfunc_end24-_ZL15flash_attn_tileILi128ELi128ELi4ELi4ELb0EEvPKcS1_S1_S1_S1_PKiPfP15HIP_vector_typeIfLj2EEffffjfiS5_IjLj3EEiiiiiiiiiiiliiliiiiil
                                        ; -- End function
	.set _ZL15flash_attn_tileILi128ELi128ELi4ELi4ELb0EEvPKcS1_S1_S1_S1_PKiPfP15HIP_vector_typeIfLj2EEffffjfiS5_IjLj3EEiiiiiiiiiiiliiliiiiil.num_vgpr, 88
	.set _ZL15flash_attn_tileILi128ELi128ELi4ELi4ELb0EEvPKcS1_S1_S1_S1_PKiPfP15HIP_vector_typeIfLj2EEffffjfiS5_IjLj3EEiiiiiiiiiiiliiliiiiil.num_agpr, 0
	.set _ZL15flash_attn_tileILi128ELi128ELi4ELi4ELb0EEvPKcS1_S1_S1_S1_PKiPfP15HIP_vector_typeIfLj2EEffffjfiS5_IjLj3EEiiiiiiiiiiiliiliiiiil.numbered_sgpr, 44
	.set _ZL15flash_attn_tileILi128ELi128ELi4ELi4ELb0EEvPKcS1_S1_S1_S1_PKiPfP15HIP_vector_typeIfLj2EEffffjfiS5_IjLj3EEiiiiiiiiiiiliiliiiiil.num_named_barrier, 0
	.set _ZL15flash_attn_tileILi128ELi128ELi4ELi4ELb0EEvPKcS1_S1_S1_S1_PKiPfP15HIP_vector_typeIfLj2EEffffjfiS5_IjLj3EEiiiiiiiiiiiliiliiiiil.private_seg_size, 0
	.set _ZL15flash_attn_tileILi128ELi128ELi4ELi4ELb0EEvPKcS1_S1_S1_S1_PKiPfP15HIP_vector_typeIfLj2EEffffjfiS5_IjLj3EEiiiiiiiiiiiliiliiiiil.uses_vcc, 1
	.set _ZL15flash_attn_tileILi128ELi128ELi4ELi4ELb0EEvPKcS1_S1_S1_S1_PKiPfP15HIP_vector_typeIfLj2EEffffjfiS5_IjLj3EEiiiiiiiiiiiliiliiiiil.uses_flat_scratch, 0
	.set _ZL15flash_attn_tileILi128ELi128ELi4ELi4ELb0EEvPKcS1_S1_S1_S1_PKiPfP15HIP_vector_typeIfLj2EEffffjfiS5_IjLj3EEiiiiiiiiiiiliiliiiiil.has_dyn_sized_stack, 0
	.set _ZL15flash_attn_tileILi128ELi128ELi4ELi4ELb0EEvPKcS1_S1_S1_S1_PKiPfP15HIP_vector_typeIfLj2EEffffjfiS5_IjLj3EEiiiiiiiiiiiliiliiiiil.has_recursion, 0
	.set _ZL15flash_attn_tileILi128ELi128ELi4ELi4ELb0EEvPKcS1_S1_S1_S1_PKiPfP15HIP_vector_typeIfLj2EEffffjfiS5_IjLj3EEiiiiiiiiiiiliiliiiiil.has_indirect_call, 0
	.section	.AMDGPU.csdata,"",@progbits
; Kernel info:
; codeLenInByte = 13404
; TotalNumSgprs: 50
; NumVgprs: 88
; NumAgprs: 0
; TotalNumVgprs: 88
; ScratchSize: 0
; MemoryBound: 0
; FloatMode: 240
; IeeeMode: 1
; LDSByteSize: 23552 bytes/workgroup (compile time only)
; SGPRBlocks: 12
; VGPRBlocks: 10
; NumSGPRsForWavesPerEU: 97
; NumVGPRsForWavesPerEU: 88
; AccumOffset: 88
; Occupancy: 5
; WaveLimiterHint : 1
; COMPUTE_PGM_RSRC2:SCRATCH_EN: 0
; COMPUTE_PGM_RSRC2:USER_SGPR: 2
; COMPUTE_PGM_RSRC2:TRAP_HANDLER: 0
; COMPUTE_PGM_RSRC2:TGID_X_EN: 1
; COMPUTE_PGM_RSRC2:TGID_Y_EN: 1
; COMPUTE_PGM_RSRC2:TGID_Z_EN: 1
; COMPUTE_PGM_RSRC2:TIDIG_COMP_CNT: 1
; COMPUTE_PGM_RSRC3_GFX90A:ACCUM_OFFSET: 21
; COMPUTE_PGM_RSRC3_GFX90A:TG_SPLIT: 0
	.section	.text._ZL33flash_attn_stream_k_fixup_uniformILi128ELi4ELi4EEvPfPK15HIP_vector_typeIfLj2EEiiiiiiS1_IjLj3EES5_S5_,"axG",@progbits,_ZL33flash_attn_stream_k_fixup_uniformILi128ELi4ELi4EEvPfPK15HIP_vector_typeIfLj2EEiiiiiiS1_IjLj3EES5_S5_,comdat
	.globl	_ZL33flash_attn_stream_k_fixup_uniformILi128ELi4ELi4EEvPfPK15HIP_vector_typeIfLj2EEiiiiiiS1_IjLj3EES5_S5_ ; -- Begin function _ZL33flash_attn_stream_k_fixup_uniformILi128ELi4ELi4EEvPfPK15HIP_vector_typeIfLj2EEiiiiiiS1_IjLj3EES5_S5_
	.p2align	8
	.type	_ZL33flash_attn_stream_k_fixup_uniformILi128ELi4ELi4EEvPfPK15HIP_vector_typeIfLj2EEiiiiiiS1_IjLj3EES5_S5_,@function
_ZL33flash_attn_stream_k_fixup_uniformILi128ELi4ELi4EEvPfPK15HIP_vector_typeIfLj2EEiiiiiiS1_IjLj3EES5_S5_: ; @_ZL33flash_attn_stream_k_fixup_uniformILi128ELi4ELi4EEvPfPK15HIP_vector_typeIfLj2EEiiiiiiS1_IjLj3EES5_S5_
; %bb.0:
	s_load_dwordx8 s[8:15], s[0:1], 0x1c
	s_load_dwordx2 s[6:7], s[0:1], 0x10
	s_load_dwordx4 s[20:23], s[0:1], 0x3c
	s_waitcnt lgkmcnt(0)
	s_mul_hi_u32 s5, s11, s2
	s_add_i32 s5, s2, s5
	s_lshr_b32 s5, s5, s12
	s_mul_i32 s11, s5, s13
	s_sub_i32 s11, s2, s11
	s_mul_hi_u32 s12, s11, s14
	s_add_i32 s12, s11, s12
	s_lshr_b32 s16, s12, s15
	s_mul_i32 s12, s16, s20
	s_sub_i32 s11, s11, s12
	;; [unrolled: 5-line block ×3, first 2 shown]
	s_lshl_b32 s11, s12, 2
	s_lshl_b32 s12, s17, 2
	s_add_i32 s12, s12, s3
	s_cmp_lt_i32 s12, s6
	s_cselect_b64 s[12:13], -1, 0
	s_add_i32 s14, s11, s4
	s_cmp_lt_i32 s14, s9
	s_cselect_b64 s[14:15], -1, 0
	s_and_b64 s[12:13], s[12:13], s[14:15]
	s_andn2_b64 vcc, exec, s[12:13]
	s_cbranch_vccnz .LBB25_6
; %bb.1:
	s_load_dwordx4 s[12:15], s[0:1], 0x0
	s_mul_i32 s0, s5, s6
	s_add_i32 s0, s0, s3
	s_mul_i32 s0, s0, s7
	s_mul_i32 s16, s16, s9
	s_add_i32 s0, s0, s4
	s_add_i32 s0, s0, s16
	s_mul_i32 s1, s7, s17
	s_add_i32 s0, s0, s11
	s_lshl_b32 s1, s1, 9
	s_lshl_b32 s0, s0, 7
	s_add_i32 s1, s1, s0
	v_or_b32_e32 v4, s1, v0
	s_waitcnt lgkmcnt(0)
	v_mov_b32_e32 v2, s12
	v_mov_b32_e32 v3, s13
	v_ashrrev_i32_e32 v5, 31, v4
	v_lshl_add_u64 v[2:3], v[4:5], 2, v[2:3]
	global_load_dword v5, v[2:3], off
	s_mul_i32 s5, s10, s2
	s_lshl_b32 s11, s3, 2
	s_add_i32 s9, s5, s10
	s_add_i32 s0, s11, s4
	s_lshl_b32 s1, s9, 4
	s_add_i32 s0, s0, s1
	s_add_i32 s0, s0, -16
	s_ashr_i32 s1, s0, 31
	s_lshl_b64 s[0:1], s[0:1], 3
	s_add_u32 s0, s14, s0
	s_addc_u32 s1, s15, s1
	s_load_dword s12, s[0:1], 0x4
	s_add_i32 s6, s9, -2
	s_cmp_lt_i32 s6, s5
	s_cbranch_scc1 .LBB25_4
; %bb.2:
	s_lshl_b32 s6, s8, 6
	s_ashr_i32 s7, s6, 31
	s_lshl_b64 s[6:7], s[6:7], 2
	s_add_u32 s6, s14, s6
	s_addc_u32 s7, s15, s7
	s_add_i32 s2, s2, 1
	s_load_dword s0, s[0:1], 0x0
	s_mul_i32 s1, s10, s2
	s_lshl_b32 s3, s3, 9
	s_lshl_b32 s10, s4, 7
	;; [unrolled: 1-line block ×3, first 2 shown]
	s_add_i32 s3, s10, s3
	s_lshl_b32 s1, s1, 4
	s_add_i32 s3, s3, s2
	s_add_i32 s1, s4, s1
	s_lshl_b32 s2, s8, 4
	s_add_i32 s1, s1, s2
	v_or_b32_e32 v0, s3, v0
	s_add_i32 s1, s1, s11
	s_add_i32 s9, s9, -1
	v_add_u32_e32 v0, 0xfffff000, v0
	s_sub_i32 s2, s1, 32
	s_waitcnt lgkmcnt(0)
	v_mov_b32_e32 v7, s0
	v_mov_b32_e32 v4, s12
	s_mov_b32 s4, 0x3fb8aa3b
	s_mov_b32 s8, 0xc2ce8ed0
	;; [unrolled: 1-line block ×3, first 2 shown]
	v_mov_b32_e32 v6, 0x7f800000
	s_mov_b32 s11, 0xc1a00000
.LBB25_3:                               ; =>This Inner Loop Header: Depth=1
	v_ashrrev_i32_e32 v1, 31, v0
	v_lshl_add_u64 v[8:9], v[0:1], 2, s[6:7]
	global_load_dword v9, v[8:9], off
	s_ashr_i32 s3, s2, 31
	s_lshl_b64 s[0:1], s[2:3], 3
	s_add_u32 s0, s14, s0
	s_addc_u32 s1, s15, s1
	s_load_dwordx2 s[0:1], s[0:1], 0x0
	v_max_f32_e32 v1, v7, v7
	s_add_i32 s9, s9, -1
	s_add_i32 s2, s2, -16
	v_add_u32_e32 v0, 0xfffff800, v0
	s_waitcnt lgkmcnt(0)
	v_max_f32_e64 v10, s0, s0
	v_max_f32_e32 v1, v1, v10
	v_sub_f32_e32 v11, s0, v1
	v_sub_f32_e32 v10, v7, v1
	v_mul_f32_e32 v12, 0x3fb8aa3b, v11
	v_mov_b32_e32 v7, v1
	v_mul_f32_e32 v1, 0x3fb8aa3b, v10
	v_fma_f32 v15, v11, s4, -v12
	v_rndne_f32_e32 v16, v12
	v_fma_f32 v13, v10, s4, -v1
	v_rndne_f32_e32 v14, v1
	v_fmac_f32_e32 v15, 0x32a5705f, v11
	v_sub_f32_e32 v12, v12, v16
	v_fmac_f32_e32 v13, 0x32a5705f, v10
	v_sub_f32_e32 v1, v1, v14
	v_add_f32_e32 v12, v12, v15
	v_cvt_i32_f32_e32 v16, v16
	v_add_f32_e32 v1, v1, v13
	v_exp_f32_e32 v12, v12
	v_cvt_i32_f32_e32 v14, v14
	v_exp_f32_e32 v1, v1
	v_cmp_ngt_f32_e32 vcc, s8, v11
	v_ldexp_f32 v12, v12, v16
	v_mov_b32_e32 v8, s1
	v_ldexp_f32 v1, v1, v14
	v_cmp_ngt_f32_e64 s[0:1], s8, v10
	v_cndmask_b32_e32 v12, 0, v12, vcc
	v_cmp_nlt_f32_e32 vcc, s10, v11
	v_cndmask_b32_e64 v1, 0, v1, s[0:1]
	v_cmp_nlt_f32_e64 s[0:1], s10, v10
	v_cndmask_b32_e32 v12, v6, v12, vcc
	v_cmp_le_f32_e32 vcc, s11, v11
	v_cndmask_b32_e64 v1, v6, v1, s[0:1]
	v_cmp_le_f32_e64 s[0:1], s11, v10
	v_cndmask_b32_e32 v12, 0, v12, vcc
	s_cmp_le_i32 s9, s5
	v_cndmask_b32_e64 v10, 0, v1, s[0:1]
	s_waitcnt vmcnt(0)
	v_pk_mul_f32 v[8:9], v[8:9], v[12:13] op_sel_hi:[1,0]
	s_nop 0
	v_pk_fma_f32 v[4:5], v[4:5], v[10:11], v[8:9] op_sel_hi:[1,0,1]
	s_cbranch_scc0 .LBB25_3
	s_branch .LBB25_5
.LBB25_4:
	s_waitcnt lgkmcnt(0)
	v_mov_b32_e32 v4, s12
.LBB25_5:
	s_waitcnt vmcnt(0)
	v_div_scale_f32 v0, s[0:1], v4, v4, v5
	v_rcp_f32_e32 v1, v0
	v_div_scale_f32 v6, vcc, v5, v4, v5
	v_fma_f32 v7, -v0, v1, 1.0
	v_fmac_f32_e32 v1, v7, v1
	v_mul_f32_e32 v7, v6, v1
	v_fma_f32 v8, -v0, v7, v6
	v_fmac_f32_e32 v7, v8, v1
	v_fma_f32 v0, -v0, v7, v6
	v_div_fmas_f32 v0, v0, v1, v7
	v_div_fixup_f32 v0, v0, v4, v5
	global_store_dword v[2:3], v0, off
.LBB25_6:
	s_endpgm
	.section	.rodata,"a",@progbits
	.p2align	6, 0x0
	.amdhsa_kernel _ZL33flash_attn_stream_k_fixup_uniformILi128ELi4ELi4EEvPfPK15HIP_vector_typeIfLj2EEiiiiiiS1_IjLj3EES5_S5_
		.amdhsa_group_segment_fixed_size 0
		.amdhsa_private_segment_fixed_size 0
		.amdhsa_kernarg_size 76
		.amdhsa_user_sgpr_count 2
		.amdhsa_user_sgpr_dispatch_ptr 0
		.amdhsa_user_sgpr_queue_ptr 0
		.amdhsa_user_sgpr_kernarg_segment_ptr 1
		.amdhsa_user_sgpr_dispatch_id 0
		.amdhsa_user_sgpr_kernarg_preload_length 0
		.amdhsa_user_sgpr_kernarg_preload_offset 0
		.amdhsa_user_sgpr_private_segment_size 0
		.amdhsa_uses_dynamic_stack 0
		.amdhsa_enable_private_segment 0
		.amdhsa_system_sgpr_workgroup_id_x 1
		.amdhsa_system_sgpr_workgroup_id_y 1
		.amdhsa_system_sgpr_workgroup_id_z 1
		.amdhsa_system_sgpr_workgroup_info 0
		.amdhsa_system_vgpr_workitem_id 0
		.amdhsa_next_free_vgpr 17
		.amdhsa_next_free_sgpr 24
		.amdhsa_accum_offset 20
		.amdhsa_reserve_vcc 1
		.amdhsa_float_round_mode_32 0
		.amdhsa_float_round_mode_16_64 0
		.amdhsa_float_denorm_mode_32 3
		.amdhsa_float_denorm_mode_16_64 3
		.amdhsa_dx10_clamp 1
		.amdhsa_ieee_mode 1
		.amdhsa_fp16_overflow 0
		.amdhsa_tg_split 0
		.amdhsa_exception_fp_ieee_invalid_op 0
		.amdhsa_exception_fp_denorm_src 0
		.amdhsa_exception_fp_ieee_div_zero 0
		.amdhsa_exception_fp_ieee_overflow 0
		.amdhsa_exception_fp_ieee_underflow 0
		.amdhsa_exception_fp_ieee_inexact 0
		.amdhsa_exception_int_div_zero 0
	.end_amdhsa_kernel
	.section	.text._ZL33flash_attn_stream_k_fixup_uniformILi128ELi4ELi4EEvPfPK15HIP_vector_typeIfLj2EEiiiiiiS1_IjLj3EES5_S5_,"axG",@progbits,_ZL33flash_attn_stream_k_fixup_uniformILi128ELi4ELi4EEvPfPK15HIP_vector_typeIfLj2EEiiiiiiS1_IjLj3EES5_S5_,comdat
.Lfunc_end25:
	.size	_ZL33flash_attn_stream_k_fixup_uniformILi128ELi4ELi4EEvPfPK15HIP_vector_typeIfLj2EEiiiiiiS1_IjLj3EES5_S5_, .Lfunc_end25-_ZL33flash_attn_stream_k_fixup_uniformILi128ELi4ELi4EEvPfPK15HIP_vector_typeIfLj2EEiiiiiiS1_IjLj3EES5_S5_
                                        ; -- End function
	.set _ZL33flash_attn_stream_k_fixup_uniformILi128ELi4ELi4EEvPfPK15HIP_vector_typeIfLj2EEiiiiiiS1_IjLj3EES5_S5_.num_vgpr, 17
	.set _ZL33flash_attn_stream_k_fixup_uniformILi128ELi4ELi4EEvPfPK15HIP_vector_typeIfLj2EEiiiiiiS1_IjLj3EES5_S5_.num_agpr, 0
	.set _ZL33flash_attn_stream_k_fixup_uniformILi128ELi4ELi4EEvPfPK15HIP_vector_typeIfLj2EEiiiiiiS1_IjLj3EES5_S5_.numbered_sgpr, 24
	.set _ZL33flash_attn_stream_k_fixup_uniformILi128ELi4ELi4EEvPfPK15HIP_vector_typeIfLj2EEiiiiiiS1_IjLj3EES5_S5_.num_named_barrier, 0
	.set _ZL33flash_attn_stream_k_fixup_uniformILi128ELi4ELi4EEvPfPK15HIP_vector_typeIfLj2EEiiiiiiS1_IjLj3EES5_S5_.private_seg_size, 0
	.set _ZL33flash_attn_stream_k_fixup_uniformILi128ELi4ELi4EEvPfPK15HIP_vector_typeIfLj2EEiiiiiiS1_IjLj3EES5_S5_.uses_vcc, 1
	.set _ZL33flash_attn_stream_k_fixup_uniformILi128ELi4ELi4EEvPfPK15HIP_vector_typeIfLj2EEiiiiiiS1_IjLj3EES5_S5_.uses_flat_scratch, 0
	.set _ZL33flash_attn_stream_k_fixup_uniformILi128ELi4ELi4EEvPfPK15HIP_vector_typeIfLj2EEiiiiiiS1_IjLj3EES5_S5_.has_dyn_sized_stack, 0
	.set _ZL33flash_attn_stream_k_fixup_uniformILi128ELi4ELi4EEvPfPK15HIP_vector_typeIfLj2EEiiiiiiS1_IjLj3EES5_S5_.has_recursion, 0
	.set _ZL33flash_attn_stream_k_fixup_uniformILi128ELi4ELi4EEvPfPK15HIP_vector_typeIfLj2EEiiiiiiS1_IjLj3EES5_S5_.has_indirect_call, 0
	.section	.AMDGPU.csdata,"",@progbits
; Kernel info:
; codeLenInByte = 836
; TotalNumSgprs: 30
; NumVgprs: 17
; NumAgprs: 0
; TotalNumVgprs: 17
; ScratchSize: 0
; MemoryBound: 0
; FloatMode: 240
; IeeeMode: 1
; LDSByteSize: 0 bytes/workgroup (compile time only)
; SGPRBlocks: 3
; VGPRBlocks: 2
; NumSGPRsForWavesPerEU: 30
; NumVGPRsForWavesPerEU: 17
; AccumOffset: 20
; Occupancy: 8
; WaveLimiterHint : 0
; COMPUTE_PGM_RSRC2:SCRATCH_EN: 0
; COMPUTE_PGM_RSRC2:USER_SGPR: 2
; COMPUTE_PGM_RSRC2:TRAP_HANDLER: 0
; COMPUTE_PGM_RSRC2:TGID_X_EN: 1
; COMPUTE_PGM_RSRC2:TGID_Y_EN: 1
; COMPUTE_PGM_RSRC2:TGID_Z_EN: 1
; COMPUTE_PGM_RSRC2:TIDIG_COMP_CNT: 0
; COMPUTE_PGM_RSRC3_GFX90A:ACCUM_OFFSET: 4
; COMPUTE_PGM_RSRC3_GFX90A:TG_SPLIT: 0
	.section	.text._ZL33flash_attn_stream_k_fixup_generalILi128ELi4ELi4EEvPfPK15HIP_vector_typeIfLj2EEiiiiS1_IjLj3EES5_S5_S5_,"axG",@progbits,_ZL33flash_attn_stream_k_fixup_generalILi128ELi4ELi4EEvPfPK15HIP_vector_typeIfLj2EEiiiiS1_IjLj3EES5_S5_S5_,comdat
	.globl	_ZL33flash_attn_stream_k_fixup_generalILi128ELi4ELi4EEvPfPK15HIP_vector_typeIfLj2EEiiiiS1_IjLj3EES5_S5_S5_ ; -- Begin function _ZL33flash_attn_stream_k_fixup_generalILi128ELi4ELi4EEvPfPK15HIP_vector_typeIfLj2EEiiiiS1_IjLj3EES5_S5_S5_
	.p2align	8
	.type	_ZL33flash_attn_stream_k_fixup_generalILi128ELi4ELi4EEvPfPK15HIP_vector_typeIfLj2EEiiiiS1_IjLj3EES5_S5_S5_,@function
_ZL33flash_attn_stream_k_fixup_generalILi128ELi4ELi4EEvPfPK15HIP_vector_typeIfLj2EEiiiiS1_IjLj3EES5_S5_S5_: ; @_ZL33flash_attn_stream_k_fixup_generalILi128ELi4ELi4EEvPfPK15HIP_vector_typeIfLj2EEiiiiS1_IjLj3EES5_S5_S5_
; %bb.0:
	s_load_dwordx4 s[8:11], s[0:1], 0x10
	s_load_dword s22, s[0:1], 0x50
	s_mov_b32 s12, 0
	s_waitcnt lgkmcnt(0)
	s_mul_hi_i32 s13, s11, s2
	s_cmp_lg_u64 s[12:13], 0
	s_mul_i32 s5, s11, s2
	s_cbranch_scc0 .LBB26_20
; %bb.1:
	s_add_u32 s6, s22, 0
	s_addc_u32 s7, 0, 0
	s_xor_b64 s[6:7], s[6:7], 0
	v_cvt_f32_u32_e32 v1, s6
	v_cvt_f32_u32_e32 v2, s7
	s_sub_u32 s12, 0, s6
	s_subb_u32 s18, 0, s7
	v_fmamk_f32 v1, v2, 0x4f800000, v1
	v_rcp_f32_e32 v1, v1
	s_nop 0
	v_mul_f32_e32 v1, 0x5f7ffffc, v1
	v_mul_f32_e32 v2, 0x2f800000, v1
	v_trunc_f32_e32 v2, v2
	v_fmamk_f32 v1, v2, 0xcf800000, v1
	v_cvt_u32_f32_e32 v2, v2
	v_cvt_u32_f32_e32 v1, v1
	v_readfirstlane_b32 s19, v2
	v_readfirstlane_b32 s14, v1
	s_mul_i32 s15, s12, s19
	s_mul_hi_u32 s21, s12, s14
	s_mul_i32 s20, s18, s14
	s_add_i32 s15, s21, s15
	s_add_i32 s15, s15, s20
	s_mul_i32 s23, s12, s14
	s_mul_i32 s21, s14, s15
	s_mul_hi_u32 s24, s14, s23
	s_mul_hi_u32 s20, s14, s15
	s_add_u32 s21, s24, s21
	s_addc_u32 s20, 0, s20
	s_mul_hi_u32 s25, s19, s23
	s_mul_i32 s23, s19, s23
	s_add_u32 s21, s21, s23
	s_mul_hi_u32 s24, s19, s15
	s_addc_u32 s20, s20, s25
	s_addc_u32 s21, s24, 0
	s_mul_i32 s15, s19, s15
	s_add_u32 s15, s20, s15
	s_addc_u32 s20, 0, s21
	s_add_u32 s21, s14, s15
	s_cselect_b64 s[14:15], -1, 0
	s_cmp_lg_u64 s[14:15], 0
	s_addc_u32 s19, s19, s20
	s_mul_i32 s14, s12, s19
	s_mul_hi_u32 s15, s12, s21
	s_add_i32 s14, s15, s14
	s_mul_i32 s18, s18, s21
	s_add_i32 s14, s14, s18
	s_mul_i32 s12, s12, s21
	s_mul_hi_u32 s18, s19, s12
	s_mul_i32 s20, s19, s12
	s_mul_i32 s24, s21, s14
	s_mul_hi_u32 s12, s21, s12
	s_mul_hi_u32 s23, s21, s14
	s_add_u32 s12, s12, s24
	s_addc_u32 s23, 0, s23
	s_add_u32 s12, s12, s20
	s_mul_hi_u32 s15, s19, s14
	s_addc_u32 s12, s23, s18
	s_addc_u32 s15, s15, 0
	s_mul_i32 s14, s19, s14
	s_add_u32 s12, s12, s14
	s_addc_u32 s18, 0, s15
	s_add_u32 s20, s21, s12
	s_cselect_b64 s[14:15], -1, 0
	s_cmp_lg_u64 s[14:15], 0
	s_addc_u32 s18, s19, s18
	s_ashr_i32 s14, s13, 31
	s_add_u32 s12, s5, s14
	s_mov_b32 s15, s14
	s_addc_u32 s13, s13, s14
	s_xor_b64 s[12:13], s[12:13], s[14:15]
	s_mul_i32 s21, s12, s18
	s_mul_hi_u32 s23, s12, s20
	s_mul_hi_u32 s19, s12, s18
	s_add_u32 s21, s23, s21
	s_addc_u32 s19, 0, s19
	s_mul_hi_u32 s24, s13, s20
	s_mul_i32 s20, s13, s20
	s_add_u32 s20, s21, s20
	s_mul_hi_u32 s23, s13, s18
	s_addc_u32 s19, s19, s24
	s_addc_u32 s20, s23, 0
	s_mul_i32 s18, s13, s18
	s_add_u32 s23, s19, s18
	s_addc_u32 s24, 0, s20
	s_mul_i32 s18, s6, s24
	s_mul_hi_u32 s19, s6, s23
	s_add_i32 s18, s19, s18
	s_mul_i32 s19, s7, s23
	s_add_i32 s25, s18, s19
	s_sub_i32 s20, s13, s25
	s_mul_i32 s18, s6, s23
	s_sub_u32 s12, s12, s18
	s_cselect_b64 s[18:19], -1, 0
	s_cmp_lg_u64 s[18:19], 0
	s_subb_u32 s26, s20, s7
	s_sub_u32 s27, s12, s6
	s_cselect_b64 s[20:21], -1, 0
	s_cmp_lg_u64 s[20:21], 0
	s_subb_u32 s20, s26, 0
	s_cmp_ge_u32 s20, s7
	s_cselect_b32 s21, -1, 0
	s_cmp_ge_u32 s27, s6
	s_cselect_b32 s26, -1, 0
	s_cmp_eq_u32 s20, s7
	s_cselect_b32 s20, s26, s21
	s_add_u32 s21, s23, 1
	s_addc_u32 s26, s24, 0
	s_add_u32 s27, s23, 2
	s_addc_u32 s28, s24, 0
	s_cmp_lg_u32 s20, 0
	s_cselect_b32 s20, s27, s21
	s_cselect_b32 s21, s28, s26
	s_cmp_lg_u64 s[18:19], 0
	s_subb_u32 s13, s13, s25
	s_cmp_ge_u32 s13, s7
	s_cselect_b32 s18, -1, 0
	s_cmp_ge_u32 s12, s6
	s_cselect_b32 s6, -1, 0
	s_cmp_eq_u32 s13, s7
	s_cselect_b32 s6, s6, s18
	s_cmp_lg_u32 s6, 0
	s_cselect_b32 s7, s21, s24
	s_cselect_b32 s6, s20, s23
	s_xor_b64 s[12:13], s[14:15], 0
	s_xor_b64 s[6:7], s[6:7], s[12:13]
	s_sub_u32 s6, s6, s12
	s_load_dwordx4 s[12:15], s[0:1], 0x44
	s_cbranch_execnz .LBB26_3
.LBB26_2:
	v_cvt_f32_u32_e32 v1, s22
	s_sub_i32 s6, 0, s22
	v_rcp_iflag_f32_e32 v1, v1
	s_nop 0
	v_mul_f32_e32 v1, 0x4f7ffffe, v1
	v_cvt_u32_f32_e32 v1, v1
	s_nop 0
	v_readfirstlane_b32 s7, v1
	s_mul_i32 s6, s6, s7
	s_mul_hi_u32 s6, s7, s6
	s_add_i32 s7, s7, s6
	s_mul_hi_u32 s6, s5, s7
	s_waitcnt lgkmcnt(0)
	s_mul_i32 s15, s6, s22
	s_sub_i32 s5, s5, s15
	s_add_i32 s7, s6, 1
	s_sub_i32 s15, s5, s22
	s_cmp_ge_u32 s5, s22
	s_cselect_b32 s6, s7, s6
	s_cselect_b32 s5, s15, s5
	s_add_i32 s7, s6, 1
	s_cmp_ge_u32 s5, s22
	s_cselect_b32 s6, s7, s6
.LBB26_3:
	s_add_i32 s5, s2, 1
	s_mul_hi_i32 s21, s11, s5
	s_mov_b32 s20, 0
	s_cmp_lg_u64 s[20:21], 0
	s_mul_i32 s5, s11, s5
	s_cbranch_scc0 .LBB26_21
; %bb.4:
	s_add_u32 s16, s22, 0
	s_addc_u32 s17, 0, 0
	s_xor_b64 s[18:19], s[16:17], 0
	v_cvt_f32_u32_e32 v1, s18
	v_cvt_f32_u32_e32 v2, s19
	s_sub_u32 s7, 0, s18
	s_waitcnt lgkmcnt(0)
	s_subb_u32 s15, 0, s19
	v_fmamk_f32 v1, v2, 0x4f800000, v1
	v_rcp_f32_e32 v1, v1
	s_nop 0
	v_mul_f32_e32 v1, 0x5f7ffffc, v1
	v_mul_f32_e32 v2, 0x2f800000, v1
	v_trunc_f32_e32 v2, v2
	v_fmamk_f32 v1, v2, 0xcf800000, v1
	v_cvt_u32_f32_e32 v2, v2
	v_cvt_u32_f32_e32 v1, v1
	v_readfirstlane_b32 s20, v2
	v_readfirstlane_b32 s23, v1
	s_mul_i32 s24, s7, s20
	s_mul_hi_u32 s26, s7, s23
	s_mul_i32 s25, s15, s23
	s_add_i32 s24, s26, s24
	s_add_i32 s24, s24, s25
	s_mul_i32 s27, s7, s23
	s_mul_i32 s26, s23, s24
	s_mul_hi_u32 s28, s23, s27
	s_mul_hi_u32 s25, s23, s24
	s_add_u32 s26, s28, s26
	s_addc_u32 s25, 0, s25
	s_mul_hi_u32 s29, s20, s27
	s_mul_i32 s27, s20, s27
	s_add_u32 s26, s26, s27
	s_mul_hi_u32 s28, s20, s24
	s_addc_u32 s25, s25, s29
	s_addc_u32 s26, s28, 0
	s_mul_i32 s24, s20, s24
	s_add_u32 s24, s25, s24
	s_addc_u32 s26, 0, s26
	s_add_u32 s23, s23, s24
	s_cselect_b64 s[24:25], -1, 0
	s_cmp_lg_u64 s[24:25], 0
	s_addc_u32 s20, s20, s26
	s_mul_i32 s24, s7, s20
	s_mul_hi_u32 s25, s7, s23
	s_add_i32 s24, s25, s24
	s_mul_i32 s15, s15, s23
	s_add_i32 s24, s24, s15
	s_mul_i32 s7, s7, s23
	s_mul_hi_u32 s25, s20, s7
	s_mul_i32 s26, s20, s7
	s_mul_i32 s28, s23, s24
	s_mul_hi_u32 s7, s23, s7
	s_mul_hi_u32 s27, s23, s24
	s_add_u32 s7, s7, s28
	s_addc_u32 s27, 0, s27
	s_add_u32 s7, s7, s26
	s_mul_hi_u32 s15, s20, s24
	s_addc_u32 s7, s27, s25
	s_addc_u32 s15, s15, 0
	s_mul_i32 s24, s20, s24
	s_add_u32 s7, s7, s24
	s_addc_u32 s15, 0, s15
	s_add_u32 s7, s23, s7
	s_cselect_b64 s[24:25], -1, 0
	s_cmp_lg_u64 s[24:25], 0
	s_addc_u32 s15, s20, s15
	s_ashr_i32 s24, s21, 31
	s_add_u32 s20, s5, s24
	s_mov_b32 s25, s24
	s_addc_u32 s21, s21, s24
	s_xor_b64 s[20:21], s[20:21], s[24:25]
	s_mul_i32 s26, s20, s15
	s_mul_hi_u32 s27, s20, s7
	s_mul_hi_u32 s23, s20, s15
	s_add_u32 s26, s27, s26
	s_addc_u32 s23, 0, s23
	s_mul_hi_u32 s28, s21, s7
	s_mul_i32 s7, s21, s7
	s_add_u32 s7, s26, s7
	s_mul_hi_u32 s27, s21, s15
	s_addc_u32 s7, s23, s28
	s_addc_u32 s23, s27, 0
	s_mul_i32 s15, s21, s15
	s_add_u32 s7, s7, s15
	s_addc_u32 s15, 0, s23
	s_mul_i32 s23, s18, s15
	s_mul_hi_u32 s26, s18, s7
	s_add_i32 s23, s26, s23
	s_mul_i32 s26, s19, s7
	s_add_i32 s23, s23, s26
	s_sub_i32 s28, s21, s23
	s_mul_i32 s26, s18, s7
	s_sub_u32 s20, s20, s26
	s_cselect_b64 s[26:27], -1, 0
	s_cmp_lg_u64 s[26:27], 0
	s_subb_u32 s30, s28, s19
	s_sub_u32 s31, s20, s18
	s_cselect_b64 s[28:29], -1, 0
	s_cmp_lg_u64 s[28:29], 0
	s_subb_u32 s28, s30, 0
	s_cmp_ge_u32 s28, s19
	s_cselect_b32 s29, -1, 0
	s_cmp_ge_u32 s31, s18
	s_cselect_b32 s30, -1, 0
	s_cmp_eq_u32 s28, s19
	s_cselect_b32 s28, s30, s29
	s_add_u32 s29, s7, 1
	s_addc_u32 s30, s15, 0
	s_add_u32 s31, s7, 2
	s_addc_u32 s33, s15, 0
	s_cmp_lg_u32 s28, 0
	s_cselect_b32 s28, s31, s29
	s_cselect_b32 s29, s33, s30
	s_cmp_lg_u64 s[26:27], 0
	s_subb_u32 s21, s21, s23
	s_cmp_ge_u32 s21, s19
	s_cselect_b32 s23, -1, 0
	s_cmp_ge_u32 s20, s18
	s_cselect_b32 s18, -1, 0
	s_cmp_eq_u32 s21, s19
	s_cselect_b32 s18, s18, s23
	s_cmp_lg_u32 s18, 0
	s_cselect_b32 s19, s29, s15
	s_cselect_b32 s18, s28, s7
	s_xor_b64 s[20:21], s[24:25], 0
	s_xor_b64 s[18:19], s[18:19], s[20:21]
	s_sub_u32 s18, s18, s20
	s_cbranch_execnz .LBB26_6
.LBB26_5:
	v_cvt_f32_u32_e32 v1, s22
	s_sub_i32 s7, 0, s22
	v_rcp_iflag_f32_e32 v1, v1
	s_nop 0
	v_mul_f32_e32 v1, 0x4f7ffffe, v1
	v_cvt_u32_f32_e32 v1, v1
	s_waitcnt lgkmcnt(0)
	v_readfirstlane_b32 s15, v1
	s_mul_i32 s7, s7, s15
	s_mul_hi_u32 s7, s15, s7
	s_add_i32 s15, s15, s7
	s_mul_hi_u32 s7, s5, s15
	s_mul_i32 s16, s7, s22
	s_sub_i32 s5, s5, s16
	s_add_i32 s15, s7, 1
	s_sub_i32 s16, s5, s22
	s_cmp_ge_u32 s5, s22
	s_cselect_b32 s7, s15, s7
	s_cselect_b32 s5, s16, s5
	s_add_i32 s15, s7, 1
	s_cmp_ge_u32 s5, s22
	s_cselect_b32 s18, s15, s7
.LBB26_6:
	s_cmp_eq_u32 s6, s18
	s_waitcnt lgkmcnt(0)
	s_mul_hi_u32 s5, s6, s12
	s_cselect_b64 s[16:17], -1, 0
	s_add_i32 s5, s5, s6
	s_lshr_b32 s7, s5, s13
	s_mul_i32 s5, s7, s14
	s_cmp_eq_u32 s5, s6
	s_mul_hi_u32 s5, s18, s12
	s_cselect_b64 s[20:21], -1, 0
	s_add_i32 s5, s5, s18
	s_lshr_b32 s5, s5, s13
	s_cmp_eq_u32 s7, s5
	s_mul_i32 s5, s5, s14
	s_cselect_b64 s[24:25], -1, 0
	s_cmp_lg_u32 s5, s18
	s_cselect_b64 s[18:19], -1, 0
	s_and_b64 s[18:19], s[24:25], s[18:19]
	s_or_b64 s[16:17], s[16:17], s[20:21]
	s_or_b64 s[16:17], s[16:17], s[18:19]
	s_and_b64 vcc, exec, s[16:17]
	s_cbranch_vccnz .LBB26_23
; %bb.7:
	s_load_dwordx8 s[24:31], s[0:1], 0x20
	s_load_dword s15, s[0:1], 0x40
	s_waitcnt lgkmcnt(0)
	s_mul_hi_u32 s5, s6, s24
	s_add_i32 s5, s5, s6
	s_lshr_b32 s5, s5, s25
	s_mul_i32 s16, s5, s26
	s_sub_i32 s16, s6, s16
	s_mul_hi_u32 s17, s16, s27
	s_add_i32 s17, s16, s17
	s_lshr_b32 s20, s17, s28
	s_mul_i32 s17, s20, s29
	s_sub_i32 s16, s16, s17
	;; [unrolled: 5-line block ×3, first 2 shown]
	s_mul_hi_u32 s16, s15, s12
	s_add_i32 s15, s15, s16
	s_lshr_b32 s23, s15, s13
	s_lshl_b32 s15, s23, 2
	s_lshl_b32 s21, s17, 2
	s_add_i32 s15, s15, s3
	s_cmp_lt_i32 s15, s8
	s_cselect_b64 s[16:17], -1, 0
	s_add_i32 s15, s21, s4
	s_cmp_lt_i32 s15, s10
	s_cselect_b64 s[18:19], -1, 0
	s_and_b64 s[16:17], s[16:17], s[18:19]
	s_andn2_b64 vcc, exec, s[16:17]
	s_cbranch_vccnz .LBB26_23
; %bb.8:
	s_load_dwordx4 s[16:19], s[0:1], 0x0
	s_mov_b32 s0, 0
	s_lshl_b32 s15, s3, 2
	s_lshl_b32 s24, s22, 6
	s_mov_b32 s25, s0
	s_add_i32 s15, s15, s4
	s_waitcnt lgkmcnt(0)
	v_mov_b32_e32 v2, s16
	v_mov_b32_e32 v3, s17
	s_lshl_b64 s[16:17], s[24:25], 2
	s_add_u32 s16, s18, s16
	s_mul_i32 s1, s5, s8
	s_addc_u32 s17, s19, s17
	s_add_i32 s1, s1, s3
	s_mul_i32 s1, s1, s9
	s_mul_i32 s20, s20, s10
	s_add_i32 s1, s1, s4
	s_add_i32 s1, s1, s20
	s_mul_i32 s5, s9, s23
	s_add_i32 s1, s1, s21
	s_lshl_b32 s5, s5, 9
	s_lshl_b32 s1, s1, 7
	s_add_i32 s5, s5, s1
	v_or_b32_e32 v4, s5, v0
	v_ashrrev_i32_e32 v5, 31, v4
	v_lshl_add_u64 v[2:3], v[4:5], 2, v[2:3]
	global_load_dword v1, v[2:3], off
	v_cvt_f32_u32_e32 v4, s22
	s_lshl_b32 s1, s2, 4
	s_add_i32 s4, s15, s1
	s_ashr_i32 s5, s4, 31
	s_lshl_b64 s[4:5], s[4:5], 3
	v_rcp_iflag_f32_e32 v4, v4
	s_add_u32 s4, s18, s4
	s_addc_u32 s5, s19, s5
	s_load_dwordx2 s[4:5], s[4:5], 0x0
	v_mul_f32_e32 v4, 0x4f7ffffe, v4
	v_cvt_u32_f32_e32 v7, v4
	s_add_i32 s24, s2, -1
	v_lshl_or_b32 v6, s15, 7, v0
	s_waitcnt lgkmcnt(0)
	v_mov_b32_e32 v0, s5
	v_mov_b32_e32 v9, s4
	s_mov_b32 s10, 0x3fb8aa3b
	s_mov_b32 s20, 0xc2ce8ed0
	;; [unrolled: 1-line block ×4, first 2 shown]
	v_mov_b32_e32 v8, 0x7f800000
	s_mul_hi_i32 s1, s24, s11
	s_cmp_lg_u64 s[0:1], 0
	s_mul_i32 s8, s24, s11
	s_cbranch_scc0 .LBB26_19
.LBB26_9:
	s_add_u32 s2, s22, 0
	s_addc_u32 s3, 0, 0
	s_xor_b64 s[2:3], s[2:3], 0
	v_cvt_f32_u32_e32 v4, s2
	v_cvt_f32_u32_e32 v5, s3
	s_sub_u32 s9, 0, s2
	s_subb_u32 s25, 0, s3
	v_fmac_f32_e32 v4, 0x4f800000, v5
	v_rcp_f32_e32 v4, v4
	s_nop 0
	v_mul_f32_e32 v4, 0x5f7ffffc, v4
	v_mul_f32_e32 v5, 0x2f800000, v4
	v_trunc_f32_e32 v5, v5
	v_fmac_f32_e32 v4, 0xcf800000, v5
	v_cvt_u32_f32_e32 v5, v5
	v_cvt_u32_f32_e32 v4, v4
	v_readfirstlane_b32 s26, v5
	v_readfirstlane_b32 s4, v4
	s_mul_i32 s5, s9, s26
	s_mul_hi_u32 s28, s9, s4
	s_mul_i32 s27, s25, s4
	s_add_i32 s5, s28, s5
	s_mul_i32 s29, s9, s4
	s_add_i32 s5, s5, s27
	s_mul_i32 s28, s4, s5
	s_mul_hi_u32 s30, s4, s29
	s_mul_hi_u32 s27, s4, s5
	s_add_u32 s28, s30, s28
	s_addc_u32 s27, 0, s27
	s_mul_hi_u32 s31, s26, s29
	s_mul_i32 s29, s26, s29
	s_add_u32 s28, s28, s29
	s_mul_hi_u32 s30, s26, s5
	s_addc_u32 s27, s27, s31
	s_addc_u32 s28, s30, 0
	s_mul_i32 s5, s26, s5
	s_add_u32 s5, s27, s5
	s_addc_u32 s27, 0, s28
	s_add_u32 s28, s4, s5
	s_cselect_b64 s[4:5], -1, 0
	s_cmp_lg_u64 s[4:5], 0
	s_addc_u32 s26, s26, s27
	s_mul_i32 s4, s9, s26
	s_mul_hi_u32 s5, s9, s28
	s_add_i32 s4, s5, s4
	s_mul_i32 s25, s25, s28
	s_add_i32 s4, s4, s25
	s_mul_i32 s9, s9, s28
	s_mul_hi_u32 s25, s26, s9
	s_mul_i32 s27, s26, s9
	s_mul_i32 s30, s28, s4
	s_mul_hi_u32 s9, s28, s9
	s_mul_hi_u32 s29, s28, s4
	s_add_u32 s9, s9, s30
	s_addc_u32 s29, 0, s29
	s_add_u32 s9, s9, s27
	s_mul_hi_u32 s5, s26, s4
	s_addc_u32 s9, s29, s25
	s_addc_u32 s5, s5, 0
	s_mul_i32 s4, s26, s4
	s_add_u32 s4, s9, s4
	s_addc_u32 s9, 0, s5
	s_add_u32 s25, s28, s4
	s_cselect_b64 s[4:5], -1, 0
	s_cmp_lg_u64 s[4:5], 0
	s_addc_u32 s9, s26, s9
	s_ashr_i32 s4, s1, 31
	s_add_u32 s26, s8, s4
	s_mov_b32 s5, s4
	s_addc_u32 s27, s1, s4
	s_xor_b64 s[26:27], s[26:27], s[4:5]
	s_mul_i32 s28, s26, s9
	s_mul_hi_u32 s29, s26, s25
	s_mul_hi_u32 s1, s26, s9
	s_add_u32 s28, s29, s28
	s_addc_u32 s1, 0, s1
	s_mul_hi_u32 s30, s27, s25
	s_mul_i32 s25, s27, s25
	s_add_u32 s25, s28, s25
	s_mul_hi_u32 s29, s27, s9
	s_addc_u32 s1, s1, s30
	s_addc_u32 s25, s29, 0
	s_mul_i32 s9, s27, s9
	s_add_u32 s1, s1, s9
	s_addc_u32 s9, 0, s25
	s_mul_i32 s25, s2, s9
	s_mul_hi_u32 s28, s2, s1
	s_add_i32 s25, s28, s25
	s_mul_i32 s28, s3, s1
	s_add_i32 s25, s25, s28
	s_sub_i32 s30, s27, s25
	s_mul_i32 s28, s2, s1
	s_sub_u32 s26, s26, s28
	s_cselect_b64 s[28:29], -1, 0
	s_cmp_lg_u64 s[28:29], 0
	s_subb_u32 s33, s30, s3
	s_sub_u32 s34, s26, s2
	s_cselect_b64 s[30:31], -1, 0
	s_cmp_lg_u64 s[30:31], 0
	s_subb_u32 s30, s33, 0
	s_cmp_ge_u32 s30, s3
	s_cselect_b32 s31, -1, 0
	s_cmp_ge_u32 s34, s2
	s_cselect_b32 s33, -1, 0
	s_cmp_eq_u32 s30, s3
	s_cselect_b32 s30, s33, s31
	s_add_u32 s31, s1, 1
	s_addc_u32 s33, s9, 0
	s_add_u32 s34, s1, 2
	s_addc_u32 s35, s9, 0
	s_cmp_lg_u32 s30, 0
	s_cselect_b32 s30, s34, s31
	s_cselect_b32 s31, s35, s33
	s_cmp_lg_u64 s[28:29], 0
	s_subb_u32 s25, s27, s25
	s_cmp_ge_u32 s25, s3
	s_cselect_b32 s27, -1, 0
	s_cmp_ge_u32 s26, s2
	s_cselect_b32 s2, -1, 0
	s_cmp_eq_u32 s25, s3
	s_cselect_b32 s2, s2, s27
	s_cmp_lg_u32 s2, 0
	s_cselect_b32 s3, s31, s9
	s_cselect_b32 s2, s30, s1
	s_xor_b64 s[4:5], s[4:5], 0
	s_xor_b64 s[2:3], s[2:3], s[4:5]
	s_sub_u32 s4, s2, s4
	s_cbranch_execnz .LBB26_11
.LBB26_10:
	s_sub_i32 s1, 0, s22
	v_readfirstlane_b32 s2, v7
	s_mul_i32 s1, s1, s2
	s_mul_hi_u32 s1, s2, s1
	s_add_i32 s2, s2, s1
	s_mul_hi_u32 s1, s8, s2
	s_mul_i32 s3, s1, s22
	s_sub_i32 s3, s8, s3
	s_add_i32 s2, s1, 1
	s_sub_i32 s4, s3, s22
	s_cmp_ge_u32 s3, s22
	s_cselect_b32 s1, s2, s1
	s_cselect_b32 s3, s4, s3
	s_add_i32 s2, s1, 1
	s_cmp_ge_u32 s3, s22
	s_cselect_b32 s4, s2, s1
.LBB26_11:
	s_cmp_lg_u32 s6, s4
	s_cbranch_scc0 .LBB26_15
; %bb.12:
	s_add_i32 s1, s24, s22
	s_lshl_b32 s1, s1, 4
	s_add_i32 s2, s1, s15
	s_mov_b32 s3, s0
	s_lshl_b64 s[2:3], s[2:3], 3
	s_add_u32 s8, s18, s2
	s_mul_hi_u32 s1, s4, s12
	s_addc_u32 s9, s19, s3
	s_add_i32 s1, s1, s4
	s_lshr_b32 s1, s1, s13
	s_mul_i32 s2, s1, s14
	s_cmp_eq_u32 s2, s4
	s_cselect_b64 s[2:3], -1, 0
	s_cmp_lt_u32 s1, s7
	s_cselect_b64 s[26:27], -1, 0
	s_or_b64 s[26:27], s[26:27], s[2:3]
	s_mov_b64 s[2:3], -1
	s_and_b64 vcc, exec, s[26:27]
	s_mov_b32 s1, s24
	s_mov_b32 s25, s6
	s_cbranch_vccnz .LBB26_14
; %bb.13:
	s_add_i32 s1, s24, -1
	s_mov_b64 s[2:3], 0
	s_mov_b32 s25, s4
.LBB26_14:
	v_lshl_add_u32 v4, s24, 11, v6
	v_ashrrev_i32_e32 v5, 31, v4
	v_lshl_add_u64 v[4:5], v[4:5], 2, s[16:17]
	global_load_dword v5, v[4:5], off
	s_load_dwordx2 s[4:5], s[8:9], 0x0
	v_max_f32_e32 v4, v9, v9
	s_waitcnt lgkmcnt(0)
	v_max_f32_e64 v10, s4, s4
	v_max_f32_e32 v10, v4, v10
	v_sub_f32_e32 v11, v9, v10
	v_sub_f32_e32 v13, s4, v10
	v_mul_f32_e32 v4, 0x3fb8aa3b, v11
	v_mul_f32_e32 v12, 0x3fb8aa3b, v13
	v_fma_f32 v14, v11, s10, -v4
	v_rndne_f32_e32 v15, v4
	v_fma_f32 v16, v13, s10, -v12
	v_rndne_f32_e32 v17, v12
	v_fmac_f32_e32 v14, 0x32a5705f, v11
	v_sub_f32_e32 v4, v4, v15
	v_fmac_f32_e32 v16, 0x32a5705f, v13
	v_sub_f32_e32 v12, v12, v17
	v_add_f32_e32 v4, v4, v14
	v_cvt_i32_f32_e32 v15, v15
	v_add_f32_e32 v12, v12, v16
	v_exp_f32_e32 v14, v4
	v_cvt_i32_f32_e32 v17, v17
	v_exp_f32_e32 v12, v12
	v_cmp_ngt_f32_e32 vcc, s20, v11
	v_ldexp_f32 v14, v14, v15
	v_mov_b32_e32 v4, s5
	v_ldexp_f32 v12, v12, v17
	v_cndmask_b32_e32 v14, 0, v14, vcc
	v_cmp_ngt_f32_e32 vcc, s20, v13
	s_nop 1
	v_cndmask_b32_e32 v12, 0, v12, vcc
	v_cmp_nlt_f32_e32 vcc, s21, v11
	s_nop 1
	v_cndmask_b32_e32 v14, v8, v14, vcc
	v_cmp_nlt_f32_e32 vcc, s21, v13
	s_nop 1
	v_cndmask_b32_e32 v15, v8, v12, vcc
	v_cmp_le_f32_e32 vcc, s23, v11
	s_nop 1
	v_cndmask_b32_e32 v12, 0, v14, vcc
	v_cmp_le_f32_e32 vcc, s23, v13
	s_nop 1
	v_cndmask_b32_e32 v14, 0, v15, vcc
	s_waitcnt vmcnt(0)
	v_pk_mul_f32 v[4:5], v[4:5], v[14:15] op_sel_hi:[1,0]
	s_nop 0
	v_pk_fma_f32 v[4:5], v[0:1], v[12:13], v[4:5] op_sel_hi:[1,0,1]
	s_cbranch_execz .LBB26_16
	s_branch .LBB26_17
.LBB26_15:
                                        ; implicit-def: $vgpr4_vgpr5
                                        ; implicit-def: $sgpr2_sgpr3
                                        ; implicit-def: $vgpr10
                                        ; implicit-def: $sgpr1
                                        ; implicit-def: $sgpr25
.LBB26_16:
	s_add_i32 s1, s24, -1
	s_mov_b64 s[2:3], 0
	s_mov_b32 s25, s6
	v_mov_b32_e32 v10, v9
	s_waitcnt vmcnt(0)
	v_mov_b64_e32 v[4:5], v[0:1]
.LBB26_17:
	s_andn2_b64 vcc, exec, s[2:3]
	s_cbranch_vccz .LBB26_22
; %bb.18:
	s_mov_b32 s6, s25
	s_mov_b32 s24, s1
	v_mov_b32_e32 v9, v10
	s_waitcnt vmcnt(0)
	v_mov_b64_e32 v[0:1], v[4:5]
	s_mul_hi_i32 s1, s24, s11
	s_cmp_lg_u64 s[0:1], 0
	s_mul_i32 s8, s24, s11
	s_cbranch_scc1 .LBB26_9
.LBB26_19:
                                        ; implicit-def: $sgpr4_sgpr5
	s_branch .LBB26_10
.LBB26_20:
                                        ; implicit-def: $sgpr6_sgpr7
	s_load_dwordx4 s[12:15], s[0:1], 0x44
	s_branch .LBB26_2
.LBB26_21:
                                        ; implicit-def: $sgpr18_sgpr19
	s_branch .LBB26_5
.LBB26_22:
	v_div_scale_f32 v0, s[0:1], v4, v4, v5
	s_waitcnt vmcnt(0)
	v_rcp_f32_e32 v1, v0
	v_div_scale_f32 v6, vcc, v5, v4, v5
	v_fma_f32 v7, -v0, v1, 1.0
	v_fmac_f32_e32 v1, v7, v1
	v_mul_f32_e32 v7, v6, v1
	v_fma_f32 v8, -v0, v7, v6
	v_fmac_f32_e32 v7, v8, v1
	v_fma_f32 v0, -v0, v7, v6
	v_div_fmas_f32 v0, v0, v1, v7
	v_div_fixup_f32 v0, v0, v4, v5
	global_store_dword v[2:3], v0, off
.LBB26_23:
	s_endpgm
	.section	.rodata,"a",@progbits
	.p2align	6, 0x0
	.amdhsa_kernel _ZL33flash_attn_stream_k_fixup_generalILi128ELi4ELi4EEvPfPK15HIP_vector_typeIfLj2EEiiiiS1_IjLj3EES5_S5_S5_
		.amdhsa_group_segment_fixed_size 0
		.amdhsa_private_segment_fixed_size 0
		.amdhsa_kernarg_size 336
		.amdhsa_user_sgpr_count 2
		.amdhsa_user_sgpr_dispatch_ptr 0
		.amdhsa_user_sgpr_queue_ptr 0
		.amdhsa_user_sgpr_kernarg_segment_ptr 1
		.amdhsa_user_sgpr_dispatch_id 0
		.amdhsa_user_sgpr_kernarg_preload_length 0
		.amdhsa_user_sgpr_kernarg_preload_offset 0
		.amdhsa_user_sgpr_private_segment_size 0
		.amdhsa_uses_dynamic_stack 0
		.amdhsa_enable_private_segment 0
		.amdhsa_system_sgpr_workgroup_id_x 1
		.amdhsa_system_sgpr_workgroup_id_y 1
		.amdhsa_system_sgpr_workgroup_id_z 1
		.amdhsa_system_sgpr_workgroup_info 0
		.amdhsa_system_vgpr_workitem_id 0
		.amdhsa_next_free_vgpr 18
		.amdhsa_next_free_sgpr 36
		.amdhsa_accum_offset 20
		.amdhsa_reserve_vcc 1
		.amdhsa_float_round_mode_32 0
		.amdhsa_float_round_mode_16_64 0
		.amdhsa_float_denorm_mode_32 3
		.amdhsa_float_denorm_mode_16_64 3
		.amdhsa_dx10_clamp 1
		.amdhsa_ieee_mode 1
		.amdhsa_fp16_overflow 0
		.amdhsa_tg_split 0
		.amdhsa_exception_fp_ieee_invalid_op 0
		.amdhsa_exception_fp_denorm_src 0
		.amdhsa_exception_fp_ieee_div_zero 0
		.amdhsa_exception_fp_ieee_overflow 0
		.amdhsa_exception_fp_ieee_underflow 0
		.amdhsa_exception_fp_ieee_inexact 0
		.amdhsa_exception_int_div_zero 0
	.end_amdhsa_kernel
	.section	.text._ZL33flash_attn_stream_k_fixup_generalILi128ELi4ELi4EEvPfPK15HIP_vector_typeIfLj2EEiiiiS1_IjLj3EES5_S5_S5_,"axG",@progbits,_ZL33flash_attn_stream_k_fixup_generalILi128ELi4ELi4EEvPfPK15HIP_vector_typeIfLj2EEiiiiS1_IjLj3EES5_S5_S5_,comdat
.Lfunc_end26:
	.size	_ZL33flash_attn_stream_k_fixup_generalILi128ELi4ELi4EEvPfPK15HIP_vector_typeIfLj2EEiiiiS1_IjLj3EES5_S5_S5_, .Lfunc_end26-_ZL33flash_attn_stream_k_fixup_generalILi128ELi4ELi4EEvPfPK15HIP_vector_typeIfLj2EEiiiiS1_IjLj3EES5_S5_S5_
                                        ; -- End function
	.set _ZL33flash_attn_stream_k_fixup_generalILi128ELi4ELi4EEvPfPK15HIP_vector_typeIfLj2EEiiiiS1_IjLj3EES5_S5_S5_.num_vgpr, 18
	.set _ZL33flash_attn_stream_k_fixup_generalILi128ELi4ELi4EEvPfPK15HIP_vector_typeIfLj2EEiiiiS1_IjLj3EES5_S5_S5_.num_agpr, 0
	.set _ZL33flash_attn_stream_k_fixup_generalILi128ELi4ELi4EEvPfPK15HIP_vector_typeIfLj2EEiiiiS1_IjLj3EES5_S5_S5_.numbered_sgpr, 36
	.set _ZL33flash_attn_stream_k_fixup_generalILi128ELi4ELi4EEvPfPK15HIP_vector_typeIfLj2EEiiiiS1_IjLj3EES5_S5_S5_.num_named_barrier, 0
	.set _ZL33flash_attn_stream_k_fixup_generalILi128ELi4ELi4EEvPfPK15HIP_vector_typeIfLj2EEiiiiS1_IjLj3EES5_S5_S5_.private_seg_size, 0
	.set _ZL33flash_attn_stream_k_fixup_generalILi128ELi4ELi4EEvPfPK15HIP_vector_typeIfLj2EEiiiiS1_IjLj3EES5_S5_S5_.uses_vcc, 1
	.set _ZL33flash_attn_stream_k_fixup_generalILi128ELi4ELi4EEvPfPK15HIP_vector_typeIfLj2EEiiiiS1_IjLj3EES5_S5_S5_.uses_flat_scratch, 0
	.set _ZL33flash_attn_stream_k_fixup_generalILi128ELi4ELi4EEvPfPK15HIP_vector_typeIfLj2EEiiiiS1_IjLj3EES5_S5_S5_.has_dyn_sized_stack, 0
	.set _ZL33flash_attn_stream_k_fixup_generalILi128ELi4ELi4EEvPfPK15HIP_vector_typeIfLj2EEiiiiS1_IjLj3EES5_S5_S5_.has_recursion, 0
	.set _ZL33flash_attn_stream_k_fixup_generalILi128ELi4ELi4EEvPfPK15HIP_vector_typeIfLj2EEiiiiS1_IjLj3EES5_S5_S5_.has_indirect_call, 0
	.section	.AMDGPU.csdata,"",@progbits
; Kernel info:
; codeLenInByte = 2940
; TotalNumSgprs: 42
; NumVgprs: 18
; NumAgprs: 0
; TotalNumVgprs: 18
; ScratchSize: 0
; MemoryBound: 0
; FloatMode: 240
; IeeeMode: 1
; LDSByteSize: 0 bytes/workgroup (compile time only)
; SGPRBlocks: 5
; VGPRBlocks: 2
; NumSGPRsForWavesPerEU: 42
; NumVGPRsForWavesPerEU: 18
; AccumOffset: 20
; Occupancy: 8
; WaveLimiterHint : 0
; COMPUTE_PGM_RSRC2:SCRATCH_EN: 0
; COMPUTE_PGM_RSRC2:USER_SGPR: 2
; COMPUTE_PGM_RSRC2:TRAP_HANDLER: 0
; COMPUTE_PGM_RSRC2:TGID_X_EN: 1
; COMPUTE_PGM_RSRC2:TGID_Y_EN: 1
; COMPUTE_PGM_RSRC2:TGID_Z_EN: 1
; COMPUTE_PGM_RSRC2:TIDIG_COMP_CNT: 0
; COMPUTE_PGM_RSRC3_GFX90A:ACCUM_OFFSET: 4
; COMPUTE_PGM_RSRC3_GFX90A:TG_SPLIT: 0
	.section	.text._ZL15flash_attn_tileILi128ELi128ELi2ELi4ELb0EEvPKcS1_S1_S1_S1_PKiPfP15HIP_vector_typeIfLj2EEffffjfiS5_IjLj3EEiiiiiiiiiiiliiliiiiil,"axG",@progbits,_ZL15flash_attn_tileILi128ELi128ELi2ELi4ELb0EEvPKcS1_S1_S1_S1_PKiPfP15HIP_vector_typeIfLj2EEffffjfiS5_IjLj3EEiiiiiiiiiiiliiliiiiil,comdat
	.globl	_ZL15flash_attn_tileILi128ELi128ELi2ELi4ELb0EEvPKcS1_S1_S1_S1_PKiPfP15HIP_vector_typeIfLj2EEffffjfiS5_IjLj3EEiiiiiiiiiiiliiliiiiil ; -- Begin function _ZL15flash_attn_tileILi128ELi128ELi2ELi4ELb0EEvPKcS1_S1_S1_S1_PKiPfP15HIP_vector_typeIfLj2EEffffjfiS5_IjLj3EEiiiiiiiiiiiliiliiiiil
	.p2align	8
	.type	_ZL15flash_attn_tileILi128ELi128ELi2ELi4ELb0EEvPKcS1_S1_S1_S1_PKiPfP15HIP_vector_typeIfLj2EEffffjfiS5_IjLj3EEiiiiiiiiiiiliiliiiiil,@function
_ZL15flash_attn_tileILi128ELi128ELi2ELi4ELb0EEvPKcS1_S1_S1_S1_PKiPfP15HIP_vector_typeIfLj2EEffffjfiS5_IjLj3EEiiiiiiiiiiiliiliiiiil: ; @_ZL15flash_attn_tileILi128ELi128ELi2ELi4ELb0EEvPKcS1_S1_S1_S1_PKiPfP15HIP_vector_typeIfLj2EEffffjfiS5_IjLj3EEiiiiiiiiiiiliiliiiiil
; %bb.0:
	s_load_dwordx4 s[20:23], s[0:1], 0x5c
	s_load_dwordx2 s[28:29], s[0:1], 0x80
	s_load_dwordx2 s[34:35], s[0:1], 0xb8
	s_mov_b64 s[30:31], 0
	s_waitcnt lgkmcnt(0)
	s_ashr_i32 s5, s23, 31
	s_lshr_b32 s5, s5, 30
	s_add_i32 s5, s23, s5
	s_ashr_i32 s5, s5, 2
	v_cvt_f32_u32_e32 v1, s5
	s_sub_i32 s6, 0, s5
	v_rcp_iflag_f32_e32 v1, v1
	s_nop 0
	v_mul_f32_e32 v1, 0x4f7ffffe, v1
	v_cvt_u32_f32_e32 v1, v1
	s_nop 0
	v_readfirstlane_b32 s7, v1
	s_mul_i32 s6, s6, s7
	s_mul_hi_u32 s6, s7, s6
	s_add_i32 s7, s7, s6
	s_mul_hi_u32 s6, s4, s7
	s_mul_i32 s7, s6, s5
	s_sub_i32 s7, s4, s7
	s_add_i32 s8, s6, 1
	s_sub_i32 s9, s7, s5
	s_cmp_ge_u32 s7, s5
	s_cselect_b32 s6, s8, s6
	s_cselect_b32 s7, s9, s7
	s_add_i32 s8, s6, 1
	s_cmp_ge_u32 s7, s5
	s_cselect_b32 s33, s8, s6
	s_abs_i32 s5, s29
	v_cvt_f32_u32_e32 v1, s5
	s_lshl_b32 s4, s4, 2
	s_mul_i32 s8, s33, s23
	s_xor_b32 s6, s23, s29
	v_rcp_iflag_f32_e32 v1, v1
	s_sub_i32 s9, 0, s5
	s_sub_i32 s29, s4, s8
	s_abs_i32 s7, s23
	v_mul_f32_e32 v1, 0x4f7ffffe, v1
	v_cvt_u32_f32_e32 v1, v1
	s_ashr_i32 s6, s6, 31
	v_readfirstlane_b32 s4, v1
	s_mul_i32 s9, s9, s4
	s_mul_hi_u32 s8, s4, s9
	s_add_i32 s4, s4, s8
	s_mul_hi_u32 s4, s7, s4
	s_mul_i32 s8, s4, s5
	s_sub_i32 s7, s7, s8
	s_add_i32 s9, s4, 1
	s_sub_i32 s8, s7, s5
	s_cmp_ge_u32 s7, s5
	s_cselect_b32 s4, s9, s4
	s_cselect_b32 s7, s8, s7
	s_add_i32 s8, s4, 1
	s_cmp_ge_u32 s7, s5
	s_cselect_b32 s4, s8, s4
	s_xor_b32 s4, s4, s6
	s_sub_i32 s37, s4, s6
	s_abs_i32 s36, s37
	v_cvt_f32_u32_e32 v1, s36
	s_load_dwordx16 s[4:19], s[0:1], 0x0
	v_rcp_iflag_f32_e32 v1, v1
	s_waitcnt lgkmcnt(0)
	s_cmp_eq_u64 s[10:11], 0
	v_mul_f32_e32 v1, 0x4f7ffffe, v1
	v_cvt_u32_f32_e32 v1, v1
	s_nop 0
	v_readfirstlane_b32 s38, v1
	s_cbranch_scc1 .LBB27_2
; %bb.1:
	s_abs_i32 s26, s34
	v_cvt_f32_u32_e32 v1, s26
	s_sub_i32 s31, 0, s26
	s_abs_i32 s30, s33
	s_ashr_i32 s27, s33, 31
	v_rcp_iflag_f32_e32 v1, v1
	s_load_dwordx2 s[24:25], s[0:1], 0xc8
	v_mul_f32_e32 v1, 0x4f7ffffe, v1
	v_cvt_u32_f32_e32 v1, v1
	s_nop 0
	v_readfirstlane_b32 s34, v1
	s_mul_i32 s31, s31, s34
	s_mul_hi_u32 s31, s34, s31
	s_add_i32 s34, s34, s31
	s_mul_hi_u32 s31, s30, s34
	s_mul_i32 s31, s31, s26
	s_sub_i32 s30, s30, s31
	s_sub_i32 s31, s30, s26
	s_cmp_ge_u32 s30, s26
	s_cselect_b32 s30, s31, s30
	s_sub_i32 s31, s30, s26
	s_cmp_ge_u32 s30, s26
	s_cselect_b32 s26, s31, s30
	s_xor_b32 s26, s26, s27
	s_sub_i32 s26, s26, s27
	s_ashr_i32 s27, s26, 31
	s_waitcnt lgkmcnt(0)
	s_mul_hi_u32 s30, s24, s26
	s_mul_i32 s27, s24, s27
	s_mul_i32 s25, s25, s26
	s_add_i32 s27, s30, s27
	s_add_i32 s27, s27, s25
	s_mul_i32 s24, s24, s26
	s_add_u32 s30, s10, s24
	s_addc_u32 s31, s11, s27
.LBB27_2:
	s_load_dwordx4 s[24:27], s[0:1], 0x70
	v_lshrrev_b32_e32 v1, 10, v0
	v_bfe_u32 v1, v1, 2, 8
	v_lshl_add_u32 v24, s2, 1, v1
	v_bfe_u32 v3, v0, 10, 2
	s_waitcnt lgkmcnt(0)
	s_mul_i32 s10, s33, s26
	s_ashr_i32 s26, s10, 31
	s_mul_i32 s11, s29, s25
	s_add_u32 s4, s4, s10
	s_addc_u32 s5, s5, s26
	s_ashr_i32 s10, s11, 31
	s_add_u32 s4, s4, s11
	s_addc_u32 s5, s5, s10
	s_ashr_i32 s11, s25, 31
	s_mov_b32 s10, s25
	s_lshr_b64 s[26:27], s[10:11], 2
	v_mul_hi_u32 v1, s20, v24
	s_lshr_b32 s25, s11, 2
	v_mad_u64_u32 v[4:5], s[10:11], s26, v3, 0
	v_add_u32_e32 v1, v24, v1
	v_mov_b32_e32 v2, v5
	v_lshrrev_b32_e32 v1, s21, v1
	v_mad_u64_u32 v[6:7], s[10:11], s25, v3, v[2:3]
	v_mul_lo_u32 v1, v1, s22
	s_ashr_i32 s25, s24, 31
	v_sub_u32_e32 v12, v24, v1
	s_lshr_b64 s[10:11], s[24:25], 2
	v_mov_b32_e32 v5, v6
	v_mad_u64_u32 v[6:7], s[10:11], s10, v12, 0
	v_mov_b32_e32 v2, v7
	s_lshr_b32 s10, s25, 2
	v_mad_u64_u32 v[8:9], s[10:11], s10, v12, v[2:3]
	v_mov_b32_e32 v7, v8
	v_and_b32_e32 v2, 0x3ff, v0
	v_lshl_add_u64 v[4:5], v[4:5], 2, s[4:5]
	v_lshl_add_u64 v[4:5], v[6:7], 2, v[4:5]
	v_lshlrev_b32_e32 v6, 4, v2
	v_mov_b32_e32 v7, 0
	v_lshl_add_u64 v[4:5], v[4:5], 0, v[6:7]
	global_load_dwordx4 v[4:7], v[4:5], off
	s_load_dword s4, s[0:1], 0x40
	v_bfe_u32 v0, v0, 10, 10
	v_mov_b32_e32 v1, 0x4400
	v_lshlrev_b32_e32 v26, 3, v2
	v_lshl_add_u32 v27, v0, 8, v1
	v_add_u32_e32 v1, v27, v26
	s_cmp_eq_u64 s[14:15], 0
	s_waitcnt vmcnt(0) lgkmcnt(0)
	v_fma_mixlo_f16 v8, s4, v4, 0
	v_mov_b32_e32 v4, v7
	v_pk_mul_f32 v[4:5], s[4:5], v[4:5] op_sel_hi:[0,1]
	v_cvt_pk_f16_f32 v4, v4, v5
	v_fma_mixlo_f16 v6, s4, v6, 0
	v_and_b32_e32 v7, 0xffff, v8
	v_lshlrev_b32_e32 v5, 16, v4
	v_and_b32_e32 v4, 0xffff0000, v4
	v_and_b32_e32 v6, 0xffff, v6
	v_or_b32_e32 v4, v4, v7
	v_or3_b32 v5, v5, v6, 0
	v_or3_b32 v4, 0, 0, v4
	ds_write_b64 v1, v[4:5]
	s_waitcnt lgkmcnt(0)
	s_barrier
	s_cbranch_scc1 .LBB27_4
; %bb.3:
	s_load_dword s4, s[0:1], 0xd0
	s_mov_b32 s5, 0
	s_waitcnt lgkmcnt(0)
	s_mul_i32 s4, s4, s33
	s_add_i32 s4, s4, s2
	s_lshl_b64 s[4:5], s[4:5], 2
	s_add_u32 s4, s14, s4
	s_addc_u32 s5, s15, s5
	s_load_dword s28, s[4:5], 0x0
.LBB27_4:
	s_lshl_b32 s2, s3, 6
	s_waitcnt lgkmcnt(0)
	s_cmp_lt_i32 s2, s28
	v_mbcnt_lo_u32_b32 v23, -1, 0
	s_cbranch_scc1 .LBB27_7
; %bb.5:
	v_mbcnt_hi_u32_b32 v13, -1, v23
	v_and_b32_e32 v1, 0x60, v13
	v_add_u32_e32 v28, 32, v1
	v_xor_b32_e32 v33, 16, v13
	v_xor_b32_e32 v32, 8, v13
	v_xor_b32_e32 v31, 4, v13
	v_xor_b32_e32 v30, 2, v13
	v_xor_b32_e32 v29, 1, v13
	v_lshlrev_b32_e32 v25, 2, v2
	s_cbranch_execz .LBB27_8
; %bb.6:
	v_mov_b32_e32 v46, 0
	v_mov_b32_e32 v23, 0
	v_mov_b32_e32 v22, 0xfeffffff
	v_mov_b32_e32 v54, 0
	s_branch .LBB27_10
.LBB27_7:
                                        ; implicit-def: $vgpr13
                                        ; implicit-def: $vgpr28
                                        ; implicit-def: $vgpr33
                                        ; implicit-def: $vgpr32
                                        ; implicit-def: $vgpr31
                                        ; implicit-def: $vgpr30
                                        ; implicit-def: $vgpr29
	v_lshlrev_b32_e32 v25, 2, v2
.LBB27_8:
	s_sub_i32 s4, 0, s36
	s_mul_i32 s4, s4, s38
	s_mul_hi_u32 s4, s38, s4
	s_add_i32 s38, s38, s4
	s_load_dwordx2 s[4:5], s[0:1], 0x8c
	s_load_dwordx4 s[24:27], s[0:1], 0x98
	s_abs_i32 s20, s29
	s_mul_hi_u32 s21, s20, s38
	s_ashr_i32 s34, s29, 31
	s_waitcnt lgkmcnt(0)
	s_ashr_i32 s15, s4, 2
	s_ashr_i32 s4, s33, 31
	;; [unrolled: 1-line block ×4, first 2 shown]
	s_mul_hi_u32 s35, s24, s33
	s_mul_i32 s38, s24, s4
	s_add_i32 s35, s35, s38
	s_mul_i32 s25, s25, s33
	s_ashr_i32 s37, s37, 31
	s_add_i32 s35, s35, s25
	s_mul_i32 s24, s24, s33
	s_add_u32 s6, s6, s24
	s_mul_i32 s25, s21, s36
	s_addc_u32 s7, s7, s35
	s_sub_i32 s20, s20, s25
	s_xor_b32 s24, s34, s37
	s_add_i32 s25, s21, 1
	s_sub_i32 s34, s20, s36
	s_cmp_ge_u32 s20, s36
	s_cselect_b32 s21, s25, s21
	s_cselect_b32 s20, s34, s20
	s_add_i32 s25, s21, 1
	s_cmp_ge_u32 s20, s36
	s_load_dwordx2 s[10:11], s[0:1], 0xa8
	s_cselect_b32 s20, s25, s21
	s_xor_b32 s20, s20, s24
	s_sub_i32 s24, s20, s24
	s_mul_i32 s5, s24, s5
	s_ashr_i32 s21, s5, 31
	s_add_u32 s20, s6, s5
	s_waitcnt lgkmcnt(0)
	s_mul_hi_u32 s5, s10, s33
	s_mul_i32 s4, s10, s4
	s_addc_u32 s21, s7, s21
	s_add_i32 s4, s5, s4
	s_mul_i32 s5, s11, s33
	s_add_i32 s4, s4, s5
	s_mul_i32 s5, s10, s33
	s_add_u32 s5, s8, s5
	s_mul_i32 s24, s24, s27
	s_addc_u32 s4, s9, s4
	s_ashr_i32 s6, s24, 31
	s_add_u32 s24, s5, s24
	v_lshrrev_b32_e32 v1, 4, v2
	v_and_b32_e32 v28, 60, v25
	s_addc_u32 s25, s4, s6
	v_lshl_add_u32 v14, v0, 1, v1
	v_lshlrev_b32_e32 v15, 2, v28
	s_movk_i32 s4, 0x110
	v_mad_u32_u24 v34, v14, s4, v15
	v_mul_lo_u32 v4, s15, v14
	s_lshl_b32 s4, s15, 4
	v_add_u32_e32 v6, s4, v4
	v_add_u32_e32 v8, s4, v6
	;; [unrolled: 1-line block ×3, first 2 shown]
	v_mad_u64_u32 v[12:13], s[4:5], v12, s26, v[2:3]
	v_lshl_or_b32 v41, v14, 8, v15
	v_mul_lo_u32 v14, s14, v14
	s_lshl_b32 s4, s14, 4
	v_mov_b32_e32 v13, 0x4c00
	v_add_u32_e32 v16, s4, v14
	v_lshl_add_u32 v39, v0, 7, v13
	v_add_u32_e32 v18, s4, v16
	v_mbcnt_hi_u32_b32 v13, -1, v23
	v_mov_b32_e32 v1, 0
	v_add_u32_e32 v20, s4, v18
	s_add_u32 s6, s0, 0xd0
	v_and_b32_e32 v23, 0x60, v13
	v_ashrrev_i32_e32 v5, 31, v4
	v_add_u32_e32 v35, 0x1100, v34
	v_ashrrev_i32_e32 v7, 31, v6
	v_add_u32_e32 v36, 0x2200, v34
	;; [unrolled: 2-line block ×3, first 2 shown]
	v_ashrrev_i32_e32 v11, 31, v10
	v_mul_u32_u24_e32 v38, 0x110, v2
	v_lshl_add_u32 v40, v2, 1, v39
	v_ashrrev_i32_e32 v15, 31, v14
	v_add_u32_e32 v42, 0x1000, v41
	v_ashrrev_i32_e32 v17, 31, v16
	v_add_u32_e32 v43, 0x2000, v41
	;; [unrolled: 2-line block ×3, first 2 shown]
	v_ashrrev_i32_e32 v21, 31, v20
	s_addc_u32 s7, s1, 0
	v_mov_b32_e32 v22, 0xfeffffff
	v_lshlrev_b32_e32 v0, 2, v28
	v_add_u32_e32 v28, 32, v23
	v_xor_b32_e32 v33, 16, v13
	v_xor_b32_e32 v32, 8, v13
	;; [unrolled: 1-line block ×5, first 2 shown]
	s_mov_b32 s26, 0x3fb8aa3b
	s_mov_b32 s27, 0xc2ce8ed0
	;; [unrolled: 1-line block ×3, first 2 shown]
	v_mov_b32_e32 v45, 0x7f800000
	s_mov_b32 s35, 0x10001
	v_add_u32_e32 v47, 0x800, v26
	v_add_u32_e32 v48, 0x1000, v26
	;; [unrolled: 1-line block ×7, first 2 shown]
	v_mov_b32_e32 v54, v1
	v_mov_b32_e32 v46, v1
	;; [unrolled: 1-line block ×3, first 2 shown]
.LBB27_9:                               ; =>This Inner Loop Header: Depth=1
	s_mul_hi_i32 s11, s2, s15
	s_mul_i32 s10, s2, s15
	s_lshl_b64 s[10:11], s[10:11], 2
	s_add_u32 s10, s20, s10
	s_addc_u32 s11, s21, s11
	v_lshl_add_u64 v[58:59], v[4:5], 2, s[10:11]
	v_lshl_add_u64 v[60:61], v[6:7], 2, s[10:11]
	v_lshl_add_u64 v[62:63], v[8:9], 2, s[10:11]
	v_lshl_add_u64 v[64:65], v[10:11], 2, s[10:11]
	v_lshl_add_u64 v[66:67], v[58:59], 0, v[0:1]
	v_lshl_add_u64 v[68:69], v[60:61], 0, v[0:1]
	v_lshl_add_u64 v[70:71], v[62:63], 0, v[0:1]
	v_lshl_add_u64 v[72:73], v[64:65], 0, v[0:1]
	global_load_dwordx4 v[58:61], v[66:67], off
	global_load_dwordx4 v[62:65], v[68:69], off
	v_mov_b32_e32 v55, 0
	v_mov_b32_e32 v56, 0
	;; [unrolled: 1-line block ×3, first 2 shown]
	v_add_u32_e32 v22, s2, v12
	v_cmp_lt_i32_e32 vcc, v33, v28
	v_cmp_lt_i32_e64 s[4:5], v29, v28
	s_mul_hi_i32 s9, s2, s14
	s_mul_i32 s8, s2, s14
	s_waitcnt vmcnt(1)
	ds_write_b128 v34, v[58:61]
	global_load_dwordx4 v[58:61], v[70:71], off
	global_load_dwordx4 v[66:69], v[72:73], off
	v_mov_b32_e32 v72, v23
	v_ashrrev_i32_e32 v23, 31, v22
	v_lshl_add_u64 v[22:23], v[22:23], 1, s[30:31]
	s_waitcnt vmcnt(2)
	ds_write_b128 v35, v[62:65]
	s_waitcnt vmcnt(1)
	ds_write_b128 v36, v[58:61]
	;; [unrolled: 2-line block ×3, first 2 shown]
	s_waitcnt lgkmcnt(0)
	s_barrier
	ds_read_b128 v[58:61], v38
	ds_read_b128 v[62:65], v27
	ds_read_b128 v[66:69], v38 offset:8704
	s_waitcnt lgkmcnt(1)
	;;#ASMSTART
	v_dot2_f32_f16 v55, v58, v62, v55
	;;#ASMEND
	s_nop 0
	;;#ASMSTART
	v_dot2_f32_f16 v55, v59, v63, v55
	;;#ASMEND
	s_nop 0
	;;#ASMSTART
	v_dot2_f32_f16 v55, v60, v64, v55
	;;#ASMEND
	s_nop 0
	;;#ASMSTART
	v_dot2_f32_f16 v55, v61, v65, v55
	;;#ASMEND
	s_waitcnt lgkmcnt(0)
	;;#ASMSTART
	v_dot2_f32_f16 v56, v66, v62, v56
	;;#ASMEND
	s_nop 0
	;;#ASMSTART
	v_dot2_f32_f16 v56, v67, v63, v56
	;;#ASMEND
	s_nop 0
	;;#ASMSTART
	v_dot2_f32_f16 v56, v68, v64, v56
	;;#ASMEND
	s_nop 0
	;;#ASMSTART
	v_dot2_f32_f16 v56, v69, v65, v56
	;;#ASMEND
	ds_read_b128 v[58:61], v38 offset:16
	ds_read_b128 v[62:65], v27 offset:16
	ds_read_b128 v[66:69], v38 offset:8720
	s_waitcnt lgkmcnt(1)
	;;#ASMSTART
	v_dot2_f32_f16 v55, v58, v62, v55
	;;#ASMEND
	s_nop 0
	;;#ASMSTART
	v_dot2_f32_f16 v55, v59, v63, v55
	;;#ASMEND
	s_nop 0
	;;#ASMSTART
	v_dot2_f32_f16 v55, v60, v64, v55
	;;#ASMEND
	s_nop 0
	;;#ASMSTART
	v_dot2_f32_f16 v55, v61, v65, v55
	;;#ASMEND
	s_waitcnt lgkmcnt(0)
	;;#ASMSTART
	v_dot2_f32_f16 v56, v66, v62, v56
	;;#ASMEND
	s_nop 0
	;;#ASMSTART
	v_dot2_f32_f16 v56, v67, v63, v56
	;;#ASMEND
	s_nop 0
	;;#ASMSTART
	v_dot2_f32_f16 v56, v68, v64, v56
	;;#ASMEND
	s_nop 0
	;;#ASMSTART
	v_dot2_f32_f16 v56, v69, v65, v56
	;;#ASMEND
	ds_read_b128 v[58:61], v38 offset:32
	ds_read_b128 v[62:65], v27 offset:32
	;; [unrolled: 35-line block ×15, first 2 shown]
	ds_read_b128 v[66:69], v38 offset:8944
	s_waitcnt lgkmcnt(1)
	;;#ASMSTART
	v_dot2_f32_f16 v55, v58, v62, v55
	;;#ASMEND
	s_nop 0
	;;#ASMSTART
	v_dot2_f32_f16 v55, v59, v63, v55
	;;#ASMEND
	v_cndmask_b32_e32 v58, v13, v33, vcc
	;;#ASMSTART
	v_dot2_f32_f16 v55, v60, v64, v55
	;;#ASMEND
	v_cmp_lt_i32_e32 vcc, v32, v28
	;;#ASMSTART
	v_dot2_f32_f16 v55, v61, v65, v55
	;;#ASMEND
	s_waitcnt lgkmcnt(0)
	;;#ASMSTART
	v_dot2_f32_f16 v56, v66, v62, v56
	;;#ASMEND
	v_cndmask_b32_e64 v62, v13, v29, s[4:5]
	;;#ASMSTART
	v_dot2_f32_f16 v56, v67, v63, v56
	;;#ASMEND
	s_lshl_b64 s[4:5], s[8:9], 2
	;;#ASMSTART
	v_dot2_f32_f16 v56, v68, v64, v56
	;;#ASMEND
	v_lshlrev_b32_e32 v64, 2, v58
	;;#ASMSTART
	v_dot2_f32_f16 v56, v69, v65, v56
	;;#ASMEND
	global_load_ushort v69, v[22:23], off
	global_load_ushort v70, v[22:23], off offset:64
	v_cndmask_b32_e32 v59, v13, v32, vcc
	v_lshlrev_b32_e32 v65, 2, v59
	v_cmp_lt_i32_e32 vcc, v31, v28
	v_lshlrev_b32_e32 v68, 2, v62
	s_add_u32 s4, s24, s4
	v_cndmask_b32_e32 v60, v13, v31, vcc
	v_lshlrev_b32_e32 v66, 2, v60
	v_cmp_lt_i32_e32 vcc, v30, v28
	s_addc_u32 s5, s25, s5
	v_lshl_add_u64 v[62:63], v[18:19], 2, s[4:5]
	v_cndmask_b32_e32 v61, v13, v30, vcc
	v_lshlrev_b32_e32 v67, 2, v61
	v_lshl_add_u64 v[60:61], v[16:17], 2, s[4:5]
	v_lshl_add_u64 v[58:59], v[14:15], 2, s[4:5]
	;; [unrolled: 1-line block ×3, first 2 shown]
	s_barrier
	s_waitcnt vmcnt(1)
	v_cvt_f32_f16_e32 v22, v69
	s_waitcnt vmcnt(0)
	v_cvt_f32_f16_e32 v23, v70
	v_add_f32_e32 v55, v55, v22
	v_add_f32_e32 v23, v56, v23
	;; [unrolled: 1-line block ×4, first 2 shown]
	v_max3_f32 v22, v57, v22, v56
	ds_bpermute_b32 v56, v64, v22
	s_waitcnt lgkmcnt(0)
	v_max_f32_e32 v56, v56, v56
	v_max_f32_e32 v22, v22, v56
	ds_bpermute_b32 v56, v65, v22
	s_waitcnt lgkmcnt(0)
	v_max_f32_e32 v56, v56, v56
	v_max_f32_e32 v22, v22, v56
	;; [unrolled: 4-line block ×4, first 2 shown]
	ds_bpermute_b32 v56, v68, v22
	v_lshl_add_u64 v[68:69], v[62:63], 0, v[0:1]
	s_waitcnt lgkmcnt(0)
	v_max_f32_e32 v56, v56, v56
	v_max_f32_e32 v22, v22, v56
	v_sub_f32_e32 v55, v55, v22
	v_sub_f32_e32 v23, v23, v22
	v_mul_f32_e32 v56, 0x3fb8aa3b, v55
	v_mul_f32_e32 v64, 0x3fb8aa3b, v23
	v_fma_f32 v65, v55, s26, -v56
	v_fma_f32 v66, v23, s26, -v64
	v_rndne_f32_e32 v73, v56
	v_rndne_f32_e32 v74, v64
	v_fmac_f32_e32 v65, 0x32a5705f, v55
	v_fmac_f32_e32 v66, 0x32a5705f, v23
	v_sub_f32_e32 v56, v56, v73
	v_sub_f32_e32 v64, v64, v74
	v_add_f32_e32 v56, v56, v65
	v_add_f32_e32 v75, v64, v66
	v_lshl_add_u64 v[66:67], v[60:61], 0, v[0:1]
	v_cvt_i32_f32_e32 v60, v73
	v_cvt_i32_f32_e32 v61, v74
	v_exp_f32_e32 v56, v56
	v_exp_f32_e32 v62, v75
	v_lshl_add_u64 v[64:65], v[20:21], 2, s[4:5]
	v_cmp_ngt_f32_e32 vcc, s27, v55
	v_ldexp_f32 v56, v56, v60
	v_ldexp_f32 v62, v62, v61
	global_load_dwordx4 v[58:61], v[58:59], off
	v_cmp_ngt_f32_e64 s[4:5], s27, v23
	v_lshl_add_u64 v[70:71], v[64:65], 0, v[0:1]
	s_nop 0
	v_cndmask_b32_e64 v62, 0, v62, s[4:5]
	v_cmp_nlt_f32_e64 s[4:5], s34, v23
	v_cndmask_b32_e32 v23, 0, v56, vcc
	v_cmp_nlt_f32_e32 vcc, s34, v55
	v_cndmask_b32_e64 v55, v45, v62, s[4:5]
	v_cvt_f16_f32_e32 v62, v55
	v_cndmask_b32_e32 v23, v45, v23, vcc
	v_cvt_f16_f32_e32 v56, v23
	ds_write_b16 v40, v56
	ds_write_b16 v40, v62 offset:64
	global_load_dwordx4 v[62:65], v[66:67], off
	v_sub_f32_e32 v66, v57, v22
	v_mul_f32_e32 v56, 0x3fb8aa3b, v66
	v_fma_f32 v57, v66, s26, -v56
	v_fmac_f32_e32 v57, 0x32a5705f, v66
	v_cmp_ngt_f32_e32 vcc, s27, v66
	v_add_f32_e32 v23, v23, v55
	s_waitcnt vmcnt(1)
	ds_write_b128 v41, v[58:61]
	v_rndne_f32_e32 v60, v56
	v_sub_f32_e32 v56, v56, v60
	v_add_f32_e32 v61, v56, v57
	v_cvt_i32_f32_e32 v60, v60
	v_exp_f32_e32 v61, v61
	global_load_dwordx4 v[56:59], v[68:69], off
	v_ldexp_f32 v60, v61, v60
	v_cndmask_b32_e32 v60, 0, v60, vcc
	v_cmp_nlt_f32_e32 vcc, s34, v66
	global_load_dwordx4 v[66:69], v[70:71], off
	s_waitcnt vmcnt(2)
	ds_write_b128 v42, v[62:65]
	s_waitcnt vmcnt(1)
	ds_write_b128 v43, v[56:59]
	;; [unrolled: 2-line block ×3, first 2 shown]
	v_cndmask_b32_e32 v60, v45, v60, vcc
	v_cvt_f16_f32_e32 v55, v60
	v_fmac_f32_e32 v23, v72, v60
	s_waitcnt lgkmcnt(0)
	s_barrier
	ds_read_b128 v[56:59], v39
	ds_read2_b64 v[60:63], v26 offset1:32
	v_mul_u32_u24_e32 v55, 0x10001, v55
	ds_read_b128 v[64:67], v39 offset:16
	s_waitcnt lgkmcnt(2)
	v_mul_u32_u24_sdwa v68, v56, s35 dst_sel:DWORD dst_unused:UNUSED_PAD src0_sel:WORD_0 src1_sel:DWORD
	s_waitcnt lgkmcnt(1)
	v_pk_mul_f16 v60, v60, v68
	v_mul_u32_u24_sdwa v56, v56, s35 dst_sel:DWORD dst_unused:UNUSED_PAD src0_sel:WORD_1 src1_sel:DWORD
	v_pk_fma_f16 v54, v54, v55, v60
	v_pk_mul_f16 v60, v61, v68
	v_pk_fma_f16 v54, v62, v56, v54
	v_pk_fma_f16 v46, v46, v55, v60
	v_mul_u32_u24_sdwa v55, v57, s35 dst_sel:DWORD dst_unused:UNUSED_PAD src0_sel:WORD_0 src1_sel:DWORD
	v_pk_fma_f16 v46, v63, v56, v46
	ds_read2_b64 v[60:63], v26 offset0:64 offset1:96
	v_mul_u32_u24_sdwa v56, v57, s35 dst_sel:DWORD dst_unused:UNUSED_PAD src0_sel:WORD_1 src1_sel:DWORD
	v_mul_u32_u24_sdwa v68, v59, s35 dst_sel:DWORD dst_unused:UNUSED_PAD src0_sel:WORD_1 src1_sel:DWORD
	s_waitcnt lgkmcnt(0)
	v_pk_fma_f16 v54, v60, v55, v54
	v_pk_fma_f16 v46, v61, v55, v46
	;; [unrolled: 1-line block ×4, first 2 shown]
	ds_read2_b64 v[54:57], v26 offset0:128 offset1:160
	v_mul_u32_u24_sdwa v61, v58, s35 dst_sel:DWORD dst_unused:UNUSED_PAD src0_sel:WORD_0 src1_sel:DWORD
	v_mul_u32_u24_sdwa v62, v58, s35 dst_sel:DWORD dst_unused:UNUSED_PAD src0_sel:WORD_1 src1_sel:DWORD
	v_mul_u32_u24_sdwa v63, v59, s35 dst_sel:DWORD dst_unused:UNUSED_PAD src0_sel:WORD_0 src1_sel:DWORD
	s_waitcnt lgkmcnt(0)
	v_pk_fma_f16 v54, v54, v61, v60
	v_pk_fma_f16 v46, v55, v61, v46
	ds_read2_b64 v[58:61], v26 offset0:192 offset1:224
	v_pk_fma_f16 v69, v56, v62, v54
	v_pk_fma_f16 v46, v57, v62, v46
	ds_read2_b64 v[54:57], v47 offset1:32
	s_waitcnt lgkmcnt(1)
	v_pk_fma_f16 v58, v58, v63, v69
	v_pk_fma_f16 v46, v59, v63, v46
	v_pk_fma_f16 v62, v60, v68, v58
	v_pk_fma_f16 v46, v61, v68, v46
	ds_read2_b64 v[58:61], v47 offset0:64 offset1:96
	v_mul_u32_u24_sdwa v63, v64, s35 dst_sel:DWORD dst_unused:UNUSED_PAD src0_sel:WORD_0 src1_sel:DWORD
	v_mul_u32_u24_sdwa v64, v64, s35 dst_sel:DWORD dst_unused:UNUSED_PAD src0_sel:WORD_1 src1_sel:DWORD
	s_waitcnt lgkmcnt(1)
	v_pk_fma_f16 v54, v54, v63, v62
	v_pk_fma_f16 v46, v55, v63, v46
	v_pk_fma_f16 v62, v56, v64, v54
	v_pk_fma_f16 v46, v57, v64, v46
	ds_read2_b64 v[54:57], v47 offset0:128 offset1:160
	v_mul_u32_u24_sdwa v63, v65, s35 dst_sel:DWORD dst_unused:UNUSED_PAD src0_sel:WORD_0 src1_sel:DWORD
	v_mul_u32_u24_sdwa v64, v65, s35 dst_sel:DWORD dst_unused:UNUSED_PAD src0_sel:WORD_1 src1_sel:DWORD
	;; [unrolled: 8-line block ×3, first 2 shown]
	s_waitcnt lgkmcnt(1)
	v_pk_fma_f16 v54, v54, v63, v62
	v_pk_fma_f16 v46, v55, v63, v46
	ds_read_b128 v[62:65], v39 offset:32
	v_pk_fma_f16 v69, v56, v66, v54
	v_pk_fma_f16 v46, v57, v66, v46
	ds_read2_b64 v[54:57], v48 offset1:32
	v_mul_u32_u24_sdwa v68, v67, s35 dst_sel:DWORD dst_unused:UNUSED_PAD src0_sel:WORD_0 src1_sel:DWORD
	v_mul_u32_u24_sdwa v67, v67, s35 dst_sel:DWORD dst_unused:UNUSED_PAD src0_sel:WORD_1 src1_sel:DWORD
	s_waitcnt lgkmcnt(2)
	v_pk_fma_f16 v58, v58, v68, v69
	v_pk_fma_f16 v46, v59, v68, v46
	;; [unrolled: 1-line block ×4, first 2 shown]
	ds_read_b128 v[58:61], v39 offset:48
	s_waitcnt lgkmcnt(2)
	v_mul_u32_u24_sdwa v67, v62, s35 dst_sel:DWORD dst_unused:UNUSED_PAD src0_sel:WORD_0 src1_sel:DWORD
	v_mul_u32_u24_sdwa v62, v62, s35 dst_sel:DWORD dst_unused:UNUSED_PAD src0_sel:WORD_1 src1_sel:DWORD
	s_waitcnt lgkmcnt(1)
	v_pk_fma_f16 v54, v54, v67, v66
	v_pk_fma_f16 v46, v55, v67, v46
	;; [unrolled: 1-line block ×4, first 2 shown]
	ds_read2_b64 v[54:57], v48 offset0:64 offset1:96
	v_mul_u32_u24_sdwa v62, v63, s35 dst_sel:DWORD dst_unused:UNUSED_PAD src0_sel:WORD_0 src1_sel:DWORD
	v_mul_u32_u24_sdwa v63, v63, s35 dst_sel:DWORD dst_unused:UNUSED_PAD src0_sel:WORD_1 src1_sel:DWORD
	v_mul_u32_u24_sdwa v67, v65, s35 dst_sel:DWORD dst_unused:UNUSED_PAD src0_sel:WORD_0 src1_sel:DWORD
	v_mul_u32_u24_sdwa v68, v65, s35 dst_sel:DWORD dst_unused:UNUSED_PAD src0_sel:WORD_1 src1_sel:DWORD
	s_waitcnt lgkmcnt(0)
	v_pk_fma_f16 v54, v54, v62, v66
	v_pk_fma_f16 v46, v55, v62, v46
	;; [unrolled: 1-line block ×4, first 2 shown]
	ds_read2_b64 v[54:57], v48 offset0:128 offset1:160
	v_mul_u32_u24_sdwa v63, v64, s35 dst_sel:DWORD dst_unused:UNUSED_PAD src0_sel:WORD_0 src1_sel:DWORD
	v_mul_u32_u24_sdwa v66, v64, s35 dst_sel:DWORD dst_unused:UNUSED_PAD src0_sel:WORD_1 src1_sel:DWORD
	s_waitcnt lgkmcnt(0)
	v_pk_fma_f16 v54, v54, v63, v62
	v_pk_fma_f16 v46, v55, v63, v46
	ds_read2_b64 v[62:65], v48 offset0:192 offset1:224
	v_pk_fma_f16 v69, v56, v66, v54
	v_pk_fma_f16 v46, v57, v66, v46
	ds_read2_b64 v[54:57], v49 offset1:32
	s_waitcnt lgkmcnt(1)
	v_pk_fma_f16 v62, v62, v67, v69
	v_pk_fma_f16 v46, v63, v67, v46
	v_pk_fma_f16 v66, v64, v68, v62
	v_pk_fma_f16 v46, v65, v68, v46
	ds_read2_b64 v[62:65], v49 offset0:64 offset1:96
	v_mul_u32_u24_sdwa v67, v58, s35 dst_sel:DWORD dst_unused:UNUSED_PAD src0_sel:WORD_0 src1_sel:DWORD
	v_mul_u32_u24_sdwa v58, v58, s35 dst_sel:DWORD dst_unused:UNUSED_PAD src0_sel:WORD_1 src1_sel:DWORD
	s_waitcnt lgkmcnt(1)
	v_pk_fma_f16 v54, v54, v67, v66
	v_pk_fma_f16 v46, v55, v67, v46
	v_pk_fma_f16 v66, v56, v58, v54
	v_pk_fma_f16 v46, v57, v58, v46
	ds_read2_b64 v[54:57], v49 offset0:128 offset1:160
	v_mul_u32_u24_sdwa v58, v59, s35 dst_sel:DWORD dst_unused:UNUSED_PAD src0_sel:WORD_0 src1_sel:DWORD
	v_mul_u32_u24_sdwa v59, v59, s35 dst_sel:DWORD dst_unused:UNUSED_PAD src0_sel:WORD_1 src1_sel:DWORD
	;; [unrolled: 8-line block ×3, first 2 shown]
	v_mul_u32_u24_sdwa v67, v61, s35 dst_sel:DWORD dst_unused:UNUSED_PAD src0_sel:WORD_0 src1_sel:DWORD
	v_mul_u32_u24_sdwa v68, v61, s35 dst_sel:DWORD dst_unused:UNUSED_PAD src0_sel:WORD_1 src1_sel:DWORD
	s_waitcnt lgkmcnt(1)
	v_pk_fma_f16 v54, v54, v59, v58
	v_pk_fma_f16 v46, v55, v59, v46
	ds_read_b128 v[58:61], v39 offset:64
	v_pk_fma_f16 v69, v56, v66, v54
	v_pk_fma_f16 v46, v57, v66, v46
	ds_read2_b64 v[54:57], v50 offset1:32
	s_waitcnt lgkmcnt(2)
	v_pk_fma_f16 v62, v62, v67, v69
	v_pk_fma_f16 v46, v63, v67, v46
	;; [unrolled: 1-line block ×4, first 2 shown]
	ds_read_b128 v[62:65], v39 offset:80
	s_waitcnt lgkmcnt(2)
	v_mul_u32_u24_sdwa v67, v58, s35 dst_sel:DWORD dst_unused:UNUSED_PAD src0_sel:WORD_0 src1_sel:DWORD
	v_mul_u32_u24_sdwa v58, v58, s35 dst_sel:DWORD dst_unused:UNUSED_PAD src0_sel:WORD_1 src1_sel:DWORD
	s_waitcnt lgkmcnt(1)
	v_pk_fma_f16 v54, v54, v67, v66
	v_pk_fma_f16 v46, v55, v67, v46
	v_pk_fma_f16 v66, v56, v58, v54
	v_pk_fma_f16 v46, v57, v58, v46
	ds_read2_b64 v[54:57], v50 offset0:64 offset1:96
	v_mul_u32_u24_sdwa v58, v59, s35 dst_sel:DWORD dst_unused:UNUSED_PAD src0_sel:WORD_0 src1_sel:DWORD
	v_mul_u32_u24_sdwa v59, v59, s35 dst_sel:DWORD dst_unused:UNUSED_PAD src0_sel:WORD_1 src1_sel:DWORD
	v_mul_u32_u24_sdwa v67, v61, s35 dst_sel:DWORD dst_unused:UNUSED_PAD src0_sel:WORD_0 src1_sel:DWORD
	v_mul_u32_u24_sdwa v68, v61, s35 dst_sel:DWORD dst_unused:UNUSED_PAD src0_sel:WORD_1 src1_sel:DWORD
	s_waitcnt lgkmcnt(0)
	v_pk_fma_f16 v54, v54, v58, v66
	v_pk_fma_f16 v46, v55, v58, v46
	v_pk_fma_f16 v58, v56, v59, v54
	v_pk_fma_f16 v46, v57, v59, v46
	ds_read2_b64 v[54:57], v50 offset0:128 offset1:160
	v_mul_u32_u24_sdwa v59, v60, s35 dst_sel:DWORD dst_unused:UNUSED_PAD src0_sel:WORD_0 src1_sel:DWORD
	v_mul_u32_u24_sdwa v66, v60, s35 dst_sel:DWORD dst_unused:UNUSED_PAD src0_sel:WORD_1 src1_sel:DWORD
	s_waitcnt lgkmcnt(0)
	v_pk_fma_f16 v54, v54, v59, v58
	v_pk_fma_f16 v46, v55, v59, v46
	ds_read2_b64 v[58:61], v50 offset0:192 offset1:224
	v_pk_fma_f16 v69, v56, v66, v54
	v_pk_fma_f16 v46, v57, v66, v46
	ds_read2_b64 v[54:57], v51 offset1:32
	s_waitcnt lgkmcnt(1)
	v_pk_fma_f16 v58, v58, v67, v69
	v_pk_fma_f16 v46, v59, v67, v46
	v_pk_fma_f16 v66, v60, v68, v58
	v_pk_fma_f16 v46, v61, v68, v46
	ds_read2_b64 v[58:61], v51 offset0:64 offset1:96
	v_mul_u32_u24_sdwa v67, v62, s35 dst_sel:DWORD dst_unused:UNUSED_PAD src0_sel:WORD_0 src1_sel:DWORD
	v_mul_u32_u24_sdwa v62, v62, s35 dst_sel:DWORD dst_unused:UNUSED_PAD src0_sel:WORD_1 src1_sel:DWORD
	s_waitcnt lgkmcnt(1)
	v_pk_fma_f16 v54, v54, v67, v66
	v_pk_fma_f16 v46, v55, v67, v46
	v_pk_fma_f16 v66, v56, v62, v54
	v_pk_fma_f16 v46, v57, v62, v46
	ds_read2_b64 v[54:57], v51 offset0:128 offset1:160
	v_mul_u32_u24_sdwa v62, v63, s35 dst_sel:DWORD dst_unused:UNUSED_PAD src0_sel:WORD_0 src1_sel:DWORD
	v_mul_u32_u24_sdwa v63, v63, s35 dst_sel:DWORD dst_unused:UNUSED_PAD src0_sel:WORD_1 src1_sel:DWORD
	;; [unrolled: 8-line block ×3, first 2 shown]
	v_mul_u32_u24_sdwa v67, v65, s35 dst_sel:DWORD dst_unused:UNUSED_PAD src0_sel:WORD_0 src1_sel:DWORD
	v_mul_u32_u24_sdwa v68, v65, s35 dst_sel:DWORD dst_unused:UNUSED_PAD src0_sel:WORD_1 src1_sel:DWORD
	s_waitcnt lgkmcnt(1)
	v_pk_fma_f16 v54, v54, v63, v62
	v_pk_fma_f16 v46, v55, v63, v46
	ds_read_b128 v[62:65], v39 offset:96
	v_pk_fma_f16 v69, v56, v66, v54
	v_pk_fma_f16 v46, v57, v66, v46
	ds_read2_b64 v[54:57], v52 offset1:32
	s_waitcnt lgkmcnt(2)
	v_pk_fma_f16 v58, v58, v67, v69
	v_pk_fma_f16 v46, v59, v67, v46
	;; [unrolled: 1-line block ×4, first 2 shown]
	ds_read_b128 v[58:61], v39 offset:112
	s_waitcnt lgkmcnt(2)
	v_mul_u32_u24_sdwa v67, v62, s35 dst_sel:DWORD dst_unused:UNUSED_PAD src0_sel:WORD_0 src1_sel:DWORD
	v_mul_u32_u24_sdwa v62, v62, s35 dst_sel:DWORD dst_unused:UNUSED_PAD src0_sel:WORD_1 src1_sel:DWORD
	s_waitcnt lgkmcnt(1)
	v_pk_fma_f16 v54, v54, v67, v66
	v_pk_fma_f16 v46, v55, v67, v46
	;; [unrolled: 1-line block ×4, first 2 shown]
	ds_read2_b64 v[54:57], v52 offset0:64 offset1:96
	v_mul_u32_u24_sdwa v62, v63, s35 dst_sel:DWORD dst_unused:UNUSED_PAD src0_sel:WORD_0 src1_sel:DWORD
	v_mul_u32_u24_sdwa v63, v63, s35 dst_sel:DWORD dst_unused:UNUSED_PAD src0_sel:WORD_1 src1_sel:DWORD
	v_mul_u32_u24_sdwa v67, v65, s35 dst_sel:DWORD dst_unused:UNUSED_PAD src0_sel:WORD_0 src1_sel:DWORD
	v_mul_u32_u24_sdwa v68, v65, s35 dst_sel:DWORD dst_unused:UNUSED_PAD src0_sel:WORD_1 src1_sel:DWORD
	s_waitcnt lgkmcnt(0)
	v_pk_fma_f16 v54, v54, v62, v66
	v_pk_fma_f16 v46, v55, v62, v46
	;; [unrolled: 1-line block ×4, first 2 shown]
	ds_read2_b64 v[54:57], v52 offset0:128 offset1:160
	v_mul_u32_u24_sdwa v63, v64, s35 dst_sel:DWORD dst_unused:UNUSED_PAD src0_sel:WORD_0 src1_sel:DWORD
	v_mul_u32_u24_sdwa v66, v64, s35 dst_sel:DWORD dst_unused:UNUSED_PAD src0_sel:WORD_1 src1_sel:DWORD
	s_waitcnt lgkmcnt(0)
	v_pk_fma_f16 v54, v54, v63, v62
	v_pk_fma_f16 v46, v55, v63, v46
	ds_read2_b64 v[62:65], v52 offset0:192 offset1:224
	v_pk_fma_f16 v69, v56, v66, v54
	v_pk_fma_f16 v46, v57, v66, v46
	ds_read2_b64 v[54:57], v53 offset1:32
	s_waitcnt lgkmcnt(1)
	v_pk_fma_f16 v62, v62, v67, v69
	v_pk_fma_f16 v46, v63, v67, v46
	;; [unrolled: 1-line block ×4, first 2 shown]
	ds_read2_b64 v[62:65], v53 offset0:64 offset1:96
	v_mul_u32_u24_sdwa v67, v58, s35 dst_sel:DWORD dst_unused:UNUSED_PAD src0_sel:WORD_0 src1_sel:DWORD
	v_mul_u32_u24_sdwa v58, v58, s35 dst_sel:DWORD dst_unused:UNUSED_PAD src0_sel:WORD_1 src1_sel:DWORD
	s_waitcnt lgkmcnt(1)
	v_pk_fma_f16 v54, v54, v67, v66
	v_pk_fma_f16 v46, v55, v67, v46
	v_pk_fma_f16 v66, v56, v58, v54
	v_pk_fma_f16 v46, v57, v58, v46
	v_mul_u32_u24_sdwa v58, v59, s35 dst_sel:DWORD dst_unused:UNUSED_PAD src0_sel:WORD_0 src1_sel:DWORD
	ds_read2_b64 v[54:57], v53 offset0:128 offset1:160
	v_mul_u32_u24_sdwa v59, v59, s35 dst_sel:DWORD dst_unused:UNUSED_PAD src0_sel:WORD_1 src1_sel:DWORD
	s_waitcnt lgkmcnt(1)
	v_pk_fma_f16 v62, v62, v58, v66
	v_pk_fma_f16 v46, v63, v58, v46
	;; [unrolled: 1-line block ×4, first 2 shown]
	ds_read2_b64 v[62:65], v53 offset0:192 offset1:224
	s_waitcnt lgkmcnt(0)
	s_barrier
	s_load_dword s4, s[6:7], 0x4
	v_mul_u32_u24_sdwa v59, v60, s35 dst_sel:DWORD dst_unused:UNUSED_PAD src0_sel:WORD_0 src1_sel:DWORD
	v_mul_u32_u24_sdwa v60, v60, s35 dst_sel:DWORD dst_unused:UNUSED_PAD src0_sel:WORD_1 src1_sel:DWORD
	v_pk_fma_f16 v54, v54, v59, v58
	v_pk_fma_f16 v46, v55, v59, v46
	v_mul_u32_u24_sdwa v66, v61, s35 dst_sel:DWORD dst_unused:UNUSED_PAD src0_sel:WORD_0 src1_sel:DWORD
	s_waitcnt lgkmcnt(0)
	s_lshl_b32 s4, s4, 6
	v_pk_fma_f16 v54, v56, v60, v54
	v_pk_fma_f16 v46, v57, v60, v46
	v_mul_u32_u24_sdwa v61, v61, s35 dst_sel:DWORD dst_unused:UNUSED_PAD src0_sel:WORD_1 src1_sel:DWORD
	s_add_i32 s2, s4, s2
	v_pk_fma_f16 v54, v62, v66, v54
	v_pk_fma_f16 v46, v63, v66, v46
	s_cmp_ge_i32 s2, s28
	v_pk_fma_f16 v54, v64, v61, v54
	v_pk_fma_f16 v46, v65, v61, v46
	s_cbranch_scc0 .LBB27_9
.LBB27_10:
	v_cmp_lt_i32_e32 vcc, v33, v28
	s_cmp_lg_u64 s[12:13], 0
	s_cselect_b64 s[4:5], -1, 0
	v_cndmask_b32_e32 v0, v13, v33, vcc
	v_lshlrev_b32_e32 v0, 2, v0
	ds_bpermute_b32 v0, v0, v23
	v_cmp_lt_i32_e32 vcc, v32, v28
	s_cmp_eq_u32 s3, 0
	s_cselect_b64 s[6:7], -1, 0
	v_cndmask_b32_e32 v1, v13, v32, vcc
	v_lshlrev_b32_e32 v1, 2, v1
	s_waitcnt lgkmcnt(0)
	v_add_f32_e32 v0, v23, v0
	ds_bpermute_b32 v1, v1, v0
	v_cmp_lt_i32_e32 vcc, v31, v28
	s_and_b64 s[4:5], s[6:7], s[4:5]
	s_waitcnt lgkmcnt(0)
	v_add_f32_e32 v0, v0, v1
	v_cndmask_b32_e32 v4, v13, v31, vcc
	v_lshlrev_b32_e32 v4, 2, v4
	ds_bpermute_b32 v1, v4, v0
	v_cmp_lt_i32_e32 vcc, v30, v28
	s_waitcnt lgkmcnt(0)
	v_add_f32_e32 v0, v0, v1
	v_cndmask_b32_e32 v4, v13, v30, vcc
	v_lshlrev_b32_e32 v4, 2, v4
	ds_bpermute_b32 v1, v4, v0
	v_cmp_lt_i32_e32 vcc, v29, v28
	s_waitcnt lgkmcnt(0)
	v_add_f32_e32 v0, v0, v1
	v_cndmask_b32_e32 v4, v13, v29, vcc
	v_lshlrev_b32_e32 v4, 2, v4
	ds_bpermute_b32 v1, v4, v0
	s_and_b64 vcc, exec, s[4:5]
	s_waitcnt lgkmcnt(0)
	v_add_f32_e32 v23, v0, v1
	s_cbranch_vccz .LBB27_13
; %bb.11:
	v_add_u32_e32 v0, s29, v3
	v_ashrrev_i32_e32 v1, 31, v0
	v_lshl_add_u64 v[0:1], v[0:1], 2, s[12:13]
	global_load_dword v1, v[0:1], off
	v_max_f32_e32 v0, v22, v22
	s_mov_b32 s2, 0x3fb8aa3b
	s_mov_b32 s4, 0xc2ce8ed0
	s_waitcnt vmcnt(0)
	v_max_f32_e32 v4, v1, v1
	v_max_f32_e32 v0, v0, v4
	v_sub_f32_e32 v4, v22, v0
	v_sub_f32_e32 v1, v1, v0
	v_mul_f32_e32 v5, 0x3fb8aa3b, v4
	v_mul_f32_e32 v6, 0x3fb8aa3b, v1
	v_fma_f32 v7, v4, s2, -v5
	v_rndne_f32_e32 v8, v5
	v_fma_f32 v9, v1, s2, -v6
	v_rndne_f32_e32 v10, v6
	v_fmac_f32_e32 v7, 0x32a5705f, v4
	v_sub_f32_e32 v5, v5, v8
	v_fmac_f32_e32 v9, 0x32a5705f, v1
	v_sub_f32_e32 v6, v6, v10
	v_add_f32_e32 v5, v5, v7
	v_cvt_i32_f32_e32 v8, v8
	v_add_f32_e32 v6, v6, v9
	v_exp_f32_e32 v5, v5
	v_cvt_i32_f32_e32 v10, v10
	v_exp_f32_e32 v6, v6
	v_cmp_ngt_f32_e32 vcc, s4, v4
	v_ldexp_f32 v5, v5, v8
	s_mov_b32 s2, 0x42b17218
	v_ldexp_f32 v6, v6, v10
	v_cndmask_b32_e32 v5, 0, v5, vcc
	v_cmp_ngt_f32_e32 vcc, s4, v1
	v_mov_b32_e32 v7, 0x7f800000
	s_nop 0
	v_cndmask_b32_e32 v6, 0, v6, vcc
	v_cmp_nlt_f32_e32 vcc, s2, v4
	s_nop 1
	v_cndmask_b32_e32 v4, v7, v5, vcc
	v_cvt_f16_f32_e32 v5, v4
	v_cmp_nlt_f32_e32 vcc, s2, v1
	s_nop 1
	v_cndmask_b32_e32 v1, v7, v6, vcc
	v_fmac_f32_e32 v1, v23, v4
	v_mul_u32_u24_e32 v4, 0x10001, v5
	v_pk_mul_f16 v54, v54, v4
	v_pk_mul_f16 v46, v46, v4
	v_mov_b64_e32 v[22:23], v[0:1]
	v_cmp_gt_i32_e32 vcc, s22, v24
	s_and_saveexec_b64 s[4:5], vcc
	s_cbranch_execnz .LBB27_14
.LBB27_12:
	s_endpgm
.LBB27_13:
	v_mov_b32_e32 v1, v23
	v_cmp_gt_i32_e32 vcc, s22, v24
	s_and_saveexec_b64 s[4:5], vcc
	s_cbranch_execz .LBB27_12
.LBB27_14:
	s_load_dword s2, s[0:1], 0xd4
	v_div_scale_f32 v0, s[0:1], v1, v1, 1.0
	v_rcp_f32_e32 v6, v0
	s_mul_i32 s33, s33, s22
	s_waitcnt lgkmcnt(0)
	s_cmp_lg_u32 s2, 1
	s_cselect_b64 s[0:1], -1, 0
	v_fma_f32 v7, -v0, v6, 1.0
	v_fmac_f32_e32 v6, v7, v6
	v_div_scale_f32 v7, vcc, 1.0, v1, 1.0
	v_mul_f32_e32 v8, v7, v6
	v_fma_f32 v9, -v0, v8, v7
	v_fmac_f32_e32 v8, v9, v6
	v_fma_f32 v0, -v0, v8, v7
	v_div_fmas_f32 v0, v0, v6, v8
	v_div_fixup_f32 v0, v0, v1, 1.0
	v_cndmask_b32_e64 v6, v0, 1.0, s[0:1]
	v_add_u32_e32 v0, s33, v24
	v_mul_lo_u32 v0, v0, s23
	v_add3_u32 v0, s29, v3, v0
	v_mul_lo_u32 v0, s2, v0
	v_add_u32_e32 v0, s3, v0
	v_mov_b32_e32 v4, s16
	v_mov_b32_e32 v5, s17
	v_lshl_add_u32 v8, v0, 7, v25
	v_mov_b32_e32 v9, 0
	v_lshl_add_u64 v[8:9], v[8:9], 2, v[4:5]
	v_cvt_f32_f16_sdwa v5, v54 dst_sel:DWORD dst_unused:UNUSED_PAD src0_sel:WORD_1
	v_cvt_f32_f16_e32 v4, v54
	v_cvt_f32_f16_sdwa v11, v46 dst_sel:DWORD dst_unused:UNUSED_PAD src0_sel:WORD_1
	v_cvt_f32_f16_e32 v10, v46
	v_cmp_eq_u32_e32 vcc, 0, v2
	s_and_b64 s[0:1], vcc, s[0:1]
	v_pk_mul_f32 v[2:3], v[6:7], v[4:5] op_sel_hi:[0,1]
	v_pk_mul_f32 v[4:5], v[6:7], v[10:11] op_sel_hi:[0,1]
	global_store_dwordx4 v[8:9], v[2:5], off
	s_and_b64 exec, exec, s[0:1]
	s_cbranch_execz .LBB27_12
; %bb.15:
	v_mov_b32_e32 v2, s18
	v_mov_b32_e32 v3, s19
	v_ashrrev_i32_e32 v1, 31, v0
	v_lshl_add_u64 v[0:1], v[0:1], 3, v[2:3]
	global_store_dwordx2 v[0:1], v[22:23], off
	s_endpgm
	.section	.rodata,"a",@progbits
	.p2align	6, 0x0
	.amdhsa_kernel _ZL15flash_attn_tileILi128ELi128ELi2ELi4ELb0EEvPKcS1_S1_S1_S1_PKiPfP15HIP_vector_typeIfLj2EEffffjfiS5_IjLj3EEiiiiiiiiiiiliiliiiiil
		.amdhsa_group_segment_fixed_size 20480
		.amdhsa_private_segment_fixed_size 0
		.amdhsa_kernarg_size 464
		.amdhsa_user_sgpr_count 2
		.amdhsa_user_sgpr_dispatch_ptr 0
		.amdhsa_user_sgpr_queue_ptr 0
		.amdhsa_user_sgpr_kernarg_segment_ptr 1
		.amdhsa_user_sgpr_dispatch_id 0
		.amdhsa_user_sgpr_kernarg_preload_length 0
		.amdhsa_user_sgpr_kernarg_preload_offset 0
		.amdhsa_user_sgpr_private_segment_size 0
		.amdhsa_uses_dynamic_stack 0
		.amdhsa_enable_private_segment 0
		.amdhsa_system_sgpr_workgroup_id_x 1
		.amdhsa_system_sgpr_workgroup_id_y 1
		.amdhsa_system_sgpr_workgroup_id_z 1
		.amdhsa_system_sgpr_workgroup_info 0
		.amdhsa_system_vgpr_workitem_id 1
		.amdhsa_next_free_vgpr 76
		.amdhsa_next_free_sgpr 39
		.amdhsa_accum_offset 76
		.amdhsa_reserve_vcc 1
		.amdhsa_float_round_mode_32 0
		.amdhsa_float_round_mode_16_64 0
		.amdhsa_float_denorm_mode_32 3
		.amdhsa_float_denorm_mode_16_64 3
		.amdhsa_dx10_clamp 1
		.amdhsa_ieee_mode 1
		.amdhsa_fp16_overflow 0
		.amdhsa_tg_split 0
		.amdhsa_exception_fp_ieee_invalid_op 0
		.amdhsa_exception_fp_denorm_src 0
		.amdhsa_exception_fp_ieee_div_zero 0
		.amdhsa_exception_fp_ieee_overflow 0
		.amdhsa_exception_fp_ieee_underflow 0
		.amdhsa_exception_fp_ieee_inexact 0
		.amdhsa_exception_int_div_zero 0
	.end_amdhsa_kernel
	.section	.text._ZL15flash_attn_tileILi128ELi128ELi2ELi4ELb0EEvPKcS1_S1_S1_S1_PKiPfP15HIP_vector_typeIfLj2EEffffjfiS5_IjLj3EEiiiiiiiiiiiliiliiiiil,"axG",@progbits,_ZL15flash_attn_tileILi128ELi128ELi2ELi4ELb0EEvPKcS1_S1_S1_S1_PKiPfP15HIP_vector_typeIfLj2EEffffjfiS5_IjLj3EEiiiiiiiiiiiliiliiiiil,comdat
.Lfunc_end27:
	.size	_ZL15flash_attn_tileILi128ELi128ELi2ELi4ELb0EEvPKcS1_S1_S1_S1_PKiPfP15HIP_vector_typeIfLj2EEffffjfiS5_IjLj3EEiiiiiiiiiiiliiliiiiil, .Lfunc_end27-_ZL15flash_attn_tileILi128ELi128ELi2ELi4ELb0EEvPKcS1_S1_S1_S1_PKiPfP15HIP_vector_typeIfLj2EEffffjfiS5_IjLj3EEiiiiiiiiiiiliiliiiiil
                                        ; -- End function
	.set _ZL15flash_attn_tileILi128ELi128ELi2ELi4ELb0EEvPKcS1_S1_S1_S1_PKiPfP15HIP_vector_typeIfLj2EEffffjfiS5_IjLj3EEiiiiiiiiiiiliiliiiiil.num_vgpr, 76
	.set _ZL15flash_attn_tileILi128ELi128ELi2ELi4ELb0EEvPKcS1_S1_S1_S1_PKiPfP15HIP_vector_typeIfLj2EEffffjfiS5_IjLj3EEiiiiiiiiiiiliiliiiiil.num_agpr, 0
	.set _ZL15flash_attn_tileILi128ELi128ELi2ELi4ELb0EEvPKcS1_S1_S1_S1_PKiPfP15HIP_vector_typeIfLj2EEffffjfiS5_IjLj3EEiiiiiiiiiiiliiliiiiil.numbered_sgpr, 39
	.set _ZL15flash_attn_tileILi128ELi128ELi2ELi4ELb0EEvPKcS1_S1_S1_S1_PKiPfP15HIP_vector_typeIfLj2EEffffjfiS5_IjLj3EEiiiiiiiiiiiliiliiiiil.num_named_barrier, 0
	.set _ZL15flash_attn_tileILi128ELi128ELi2ELi4ELb0EEvPKcS1_S1_S1_S1_PKiPfP15HIP_vector_typeIfLj2EEffffjfiS5_IjLj3EEiiiiiiiiiiiliiliiiiil.private_seg_size, 0
	.set _ZL15flash_attn_tileILi128ELi128ELi2ELi4ELb0EEvPKcS1_S1_S1_S1_PKiPfP15HIP_vector_typeIfLj2EEffffjfiS5_IjLj3EEiiiiiiiiiiiliiliiiiil.uses_vcc, 1
	.set _ZL15flash_attn_tileILi128ELi128ELi2ELi4ELb0EEvPKcS1_S1_S1_S1_PKiPfP15HIP_vector_typeIfLj2EEffffjfiS5_IjLj3EEiiiiiiiiiiiliiliiiiil.uses_flat_scratch, 0
	.set _ZL15flash_attn_tileILi128ELi128ELi2ELi4ELb0EEvPKcS1_S1_S1_S1_PKiPfP15HIP_vector_typeIfLj2EEffffjfiS5_IjLj3EEiiiiiiiiiiiliiliiiiil.has_dyn_sized_stack, 0
	.set _ZL15flash_attn_tileILi128ELi128ELi2ELi4ELb0EEvPKcS1_S1_S1_S1_PKiPfP15HIP_vector_typeIfLj2EEffffjfiS5_IjLj3EEiiiiiiiiiiiliiliiiiil.has_recursion, 0
	.set _ZL15flash_attn_tileILi128ELi128ELi2ELi4ELb0EEvPKcS1_S1_S1_S1_PKiPfP15HIP_vector_typeIfLj2EEffffjfiS5_IjLj3EEiiiiiiiiiiiliiliiiiil.has_indirect_call, 0
	.section	.AMDGPU.csdata,"",@progbits
; Kernel info:
; codeLenInByte = 8176
; TotalNumSgprs: 45
; NumVgprs: 76
; NumAgprs: 0
; TotalNumVgprs: 76
; ScratchSize: 0
; MemoryBound: 0
; FloatMode: 240
; IeeeMode: 1
; LDSByteSize: 20480 bytes/workgroup (compile time only)
; SGPRBlocks: 5
; VGPRBlocks: 9
; NumSGPRsForWavesPerEU: 45
; NumVGPRsForWavesPerEU: 76
; AccumOffset: 76
; Occupancy: 6
; WaveLimiterHint : 1
; COMPUTE_PGM_RSRC2:SCRATCH_EN: 0
; COMPUTE_PGM_RSRC2:USER_SGPR: 2
; COMPUTE_PGM_RSRC2:TRAP_HANDLER: 0
; COMPUTE_PGM_RSRC2:TGID_X_EN: 1
; COMPUTE_PGM_RSRC2:TGID_Y_EN: 1
; COMPUTE_PGM_RSRC2:TGID_Z_EN: 1
; COMPUTE_PGM_RSRC2:TIDIG_COMP_CNT: 1
; COMPUTE_PGM_RSRC3_GFX90A:ACCUM_OFFSET: 18
; COMPUTE_PGM_RSRC3_GFX90A:TG_SPLIT: 0
	.section	.text._ZL33flash_attn_stream_k_fixup_uniformILi128ELi2ELi4EEvPfPK15HIP_vector_typeIfLj2EEiiiiiiS1_IjLj3EES5_S5_,"axG",@progbits,_ZL33flash_attn_stream_k_fixup_uniformILi128ELi2ELi4EEvPfPK15HIP_vector_typeIfLj2EEiiiiiiS1_IjLj3EES5_S5_,comdat
	.globl	_ZL33flash_attn_stream_k_fixup_uniformILi128ELi2ELi4EEvPfPK15HIP_vector_typeIfLj2EEiiiiiiS1_IjLj3EES5_S5_ ; -- Begin function _ZL33flash_attn_stream_k_fixup_uniformILi128ELi2ELi4EEvPfPK15HIP_vector_typeIfLj2EEiiiiiiS1_IjLj3EES5_S5_
	.p2align	8
	.type	_ZL33flash_attn_stream_k_fixup_uniformILi128ELi2ELi4EEvPfPK15HIP_vector_typeIfLj2EEiiiiiiS1_IjLj3EES5_S5_,@function
_ZL33flash_attn_stream_k_fixup_uniformILi128ELi2ELi4EEvPfPK15HIP_vector_typeIfLj2EEiiiiiiS1_IjLj3EES5_S5_: ; @_ZL33flash_attn_stream_k_fixup_uniformILi128ELi2ELi4EEvPfPK15HIP_vector_typeIfLj2EEiiiiiiS1_IjLj3EES5_S5_
; %bb.0:
	s_load_dwordx8 s[8:15], s[0:1], 0x1c
	s_load_dwordx2 s[6:7], s[0:1], 0x10
	s_load_dwordx4 s[20:23], s[0:1], 0x3c
	s_waitcnt lgkmcnt(0)
	s_mul_hi_u32 s5, s11, s2
	s_add_i32 s5, s2, s5
	s_lshr_b32 s5, s5, s12
	s_mul_i32 s11, s5, s13
	s_sub_i32 s11, s2, s11
	s_mul_hi_u32 s12, s11, s14
	s_add_i32 s12, s11, s12
	s_lshr_b32 s16, s12, s15
	s_mul_i32 s12, s16, s20
	s_sub_i32 s11, s11, s12
	;; [unrolled: 5-line block ×3, first 2 shown]
	s_lshl_b32 s11, s12, 2
	s_lshl_b32 s12, s17, 1
	s_add_i32 s12, s12, s3
	s_cmp_lt_i32 s12, s6
	s_cselect_b64 s[12:13], -1, 0
	s_add_i32 s14, s11, s4
	s_cmp_lt_i32 s14, s9
	s_cselect_b64 s[14:15], -1, 0
	s_and_b64 s[12:13], s[12:13], s[14:15]
	s_andn2_b64 vcc, exec, s[12:13]
	s_cbranch_vccnz .LBB28_6
; %bb.1:
	s_load_dwordx4 s[12:15], s[0:1], 0x0
	s_mul_i32 s0, s5, s6
	s_add_i32 s0, s0, s3
	s_mul_i32 s0, s0, s7
	s_mul_i32 s16, s16, s9
	s_add_i32 s0, s0, s4
	s_add_i32 s0, s0, s16
	s_mul_i32 s1, s7, s17
	s_add_i32 s0, s0, s11
	s_lshl_b32 s1, s1, 8
	s_lshl_b32 s0, s0, 7
	s_add_i32 s1, s1, s0
	v_or_b32_e32 v4, s1, v0
	s_waitcnt lgkmcnt(0)
	v_mov_b32_e32 v2, s12
	v_mov_b32_e32 v3, s13
	v_ashrrev_i32_e32 v5, 31, v4
	v_lshl_add_u64 v[2:3], v[4:5], 2, v[2:3]
	global_load_dword v5, v[2:3], off
	s_mul_i32 s5, s10, s2
	s_lshl_b32 s11, s3, 2
	s_add_i32 s9, s5, s10
	s_add_i32 s0, s11, s4
	s_lshl_b32 s1, s9, 3
	s_add_i32 s0, s0, s1
	s_add_i32 s0, s0, -8
	s_ashr_i32 s1, s0, 31
	s_lshl_b64 s[0:1], s[0:1], 3
	s_add_u32 s0, s14, s0
	s_addc_u32 s1, s15, s1
	s_load_dword s12, s[0:1], 0x4
	s_add_i32 s6, s9, -2
	s_cmp_lt_i32 s6, s5
	s_cbranch_scc1 .LBB28_4
; %bb.2:
	s_lshl_b32 s6, s8, 5
	s_ashr_i32 s7, s6, 31
	s_lshl_b64 s[6:7], s[6:7], 2
	s_add_u32 s6, s14, s6
	s_addc_u32 s7, s15, s7
	s_add_i32 s2, s2, 1
	s_load_dword s0, s[0:1], 0x0
	s_mul_i32 s1, s10, s2
	s_lshl_b32 s3, s3, 9
	s_lshl_b32 s10, s4, 7
	;; [unrolled: 1-line block ×3, first 2 shown]
	s_add_i32 s3, s10, s3
	s_lshl_b32 s1, s1, 3
	s_add_i32 s3, s3, s2
	s_add_i32 s1, s4, s1
	s_lshl_b32 s2, s8, 3
	s_add_i32 s1, s1, s2
	v_or_b32_e32 v0, s3, v0
	s_add_i32 s1, s1, s11
	s_add_i32 s9, s9, -1
	v_add_u32_e32 v0, 0xfffff800, v0
	s_add_i32 s2, s1, -16
	s_waitcnt lgkmcnt(0)
	v_mov_b32_e32 v7, s0
	v_mov_b32_e32 v4, s12
	s_mov_b32 s4, 0x3fb8aa3b
	s_mov_b32 s8, 0xc2ce8ed0
	;; [unrolled: 1-line block ×3, first 2 shown]
	v_mov_b32_e32 v6, 0x7f800000
	s_mov_b32 s11, 0xc1a00000
.LBB28_3:                               ; =>This Inner Loop Header: Depth=1
	v_ashrrev_i32_e32 v1, 31, v0
	v_lshl_add_u64 v[8:9], v[0:1], 2, s[6:7]
	global_load_dword v9, v[8:9], off
	s_ashr_i32 s3, s2, 31
	s_lshl_b64 s[0:1], s[2:3], 3
	s_add_u32 s0, s14, s0
	s_addc_u32 s1, s15, s1
	s_load_dwordx2 s[0:1], s[0:1], 0x0
	v_max_f32_e32 v1, v7, v7
	s_add_i32 s9, s9, -1
	s_add_i32 s2, s2, -8
	v_add_u32_e32 v0, 0xfffffc00, v0
	s_waitcnt lgkmcnt(0)
	v_max_f32_e64 v10, s0, s0
	v_max_f32_e32 v1, v1, v10
	v_sub_f32_e32 v11, s0, v1
	v_sub_f32_e32 v10, v7, v1
	v_mul_f32_e32 v12, 0x3fb8aa3b, v11
	v_mov_b32_e32 v7, v1
	v_mul_f32_e32 v1, 0x3fb8aa3b, v10
	v_fma_f32 v15, v11, s4, -v12
	v_rndne_f32_e32 v16, v12
	v_fma_f32 v13, v10, s4, -v1
	v_rndne_f32_e32 v14, v1
	v_fmac_f32_e32 v15, 0x32a5705f, v11
	v_sub_f32_e32 v12, v12, v16
	v_fmac_f32_e32 v13, 0x32a5705f, v10
	v_sub_f32_e32 v1, v1, v14
	v_add_f32_e32 v12, v12, v15
	v_cvt_i32_f32_e32 v16, v16
	v_add_f32_e32 v1, v1, v13
	v_exp_f32_e32 v12, v12
	v_cvt_i32_f32_e32 v14, v14
	v_exp_f32_e32 v1, v1
	v_cmp_ngt_f32_e32 vcc, s8, v11
	v_ldexp_f32 v12, v12, v16
	v_mov_b32_e32 v8, s1
	v_ldexp_f32 v1, v1, v14
	v_cmp_ngt_f32_e64 s[0:1], s8, v10
	v_cndmask_b32_e32 v12, 0, v12, vcc
	v_cmp_nlt_f32_e32 vcc, s10, v11
	v_cndmask_b32_e64 v1, 0, v1, s[0:1]
	v_cmp_nlt_f32_e64 s[0:1], s10, v10
	v_cndmask_b32_e32 v12, v6, v12, vcc
	v_cmp_le_f32_e32 vcc, s11, v11
	v_cndmask_b32_e64 v1, v6, v1, s[0:1]
	v_cmp_le_f32_e64 s[0:1], s11, v10
	v_cndmask_b32_e32 v12, 0, v12, vcc
	s_cmp_le_i32 s9, s5
	v_cndmask_b32_e64 v10, 0, v1, s[0:1]
	s_waitcnt vmcnt(0)
	v_pk_mul_f32 v[8:9], v[8:9], v[12:13] op_sel_hi:[1,0]
	s_nop 0
	v_pk_fma_f32 v[4:5], v[4:5], v[10:11], v[8:9] op_sel_hi:[1,0,1]
	s_cbranch_scc0 .LBB28_3
	s_branch .LBB28_5
.LBB28_4:
	s_waitcnt lgkmcnt(0)
	v_mov_b32_e32 v4, s12
.LBB28_5:
	s_waitcnt vmcnt(0)
	v_div_scale_f32 v0, s[0:1], v4, v4, v5
	v_rcp_f32_e32 v1, v0
	v_div_scale_f32 v6, vcc, v5, v4, v5
	v_fma_f32 v7, -v0, v1, 1.0
	v_fmac_f32_e32 v1, v7, v1
	v_mul_f32_e32 v7, v6, v1
	v_fma_f32 v8, -v0, v7, v6
	v_fmac_f32_e32 v7, v8, v1
	v_fma_f32 v0, -v0, v7, v6
	v_div_fmas_f32 v0, v0, v1, v7
	v_div_fixup_f32 v0, v0, v4, v5
	global_store_dword v[2:3], v0, off
.LBB28_6:
	s_endpgm
	.section	.rodata,"a",@progbits
	.p2align	6, 0x0
	.amdhsa_kernel _ZL33flash_attn_stream_k_fixup_uniformILi128ELi2ELi4EEvPfPK15HIP_vector_typeIfLj2EEiiiiiiS1_IjLj3EES5_S5_
		.amdhsa_group_segment_fixed_size 0
		.amdhsa_private_segment_fixed_size 0
		.amdhsa_kernarg_size 76
		.amdhsa_user_sgpr_count 2
		.amdhsa_user_sgpr_dispatch_ptr 0
		.amdhsa_user_sgpr_queue_ptr 0
		.amdhsa_user_sgpr_kernarg_segment_ptr 1
		.amdhsa_user_sgpr_dispatch_id 0
		.amdhsa_user_sgpr_kernarg_preload_length 0
		.amdhsa_user_sgpr_kernarg_preload_offset 0
		.amdhsa_user_sgpr_private_segment_size 0
		.amdhsa_uses_dynamic_stack 0
		.amdhsa_enable_private_segment 0
		.amdhsa_system_sgpr_workgroup_id_x 1
		.amdhsa_system_sgpr_workgroup_id_y 1
		.amdhsa_system_sgpr_workgroup_id_z 1
		.amdhsa_system_sgpr_workgroup_info 0
		.amdhsa_system_vgpr_workitem_id 0
		.amdhsa_next_free_vgpr 17
		.amdhsa_next_free_sgpr 24
		.amdhsa_accum_offset 20
		.amdhsa_reserve_vcc 1
		.amdhsa_float_round_mode_32 0
		.amdhsa_float_round_mode_16_64 0
		.amdhsa_float_denorm_mode_32 3
		.amdhsa_float_denorm_mode_16_64 3
		.amdhsa_dx10_clamp 1
		.amdhsa_ieee_mode 1
		.amdhsa_fp16_overflow 0
		.amdhsa_tg_split 0
		.amdhsa_exception_fp_ieee_invalid_op 0
		.amdhsa_exception_fp_denorm_src 0
		.amdhsa_exception_fp_ieee_div_zero 0
		.amdhsa_exception_fp_ieee_overflow 0
		.amdhsa_exception_fp_ieee_underflow 0
		.amdhsa_exception_fp_ieee_inexact 0
		.amdhsa_exception_int_div_zero 0
	.end_amdhsa_kernel
	.section	.text._ZL33flash_attn_stream_k_fixup_uniformILi128ELi2ELi4EEvPfPK15HIP_vector_typeIfLj2EEiiiiiiS1_IjLj3EES5_S5_,"axG",@progbits,_ZL33flash_attn_stream_k_fixup_uniformILi128ELi2ELi4EEvPfPK15HIP_vector_typeIfLj2EEiiiiiiS1_IjLj3EES5_S5_,comdat
.Lfunc_end28:
	.size	_ZL33flash_attn_stream_k_fixup_uniformILi128ELi2ELi4EEvPfPK15HIP_vector_typeIfLj2EEiiiiiiS1_IjLj3EES5_S5_, .Lfunc_end28-_ZL33flash_attn_stream_k_fixup_uniformILi128ELi2ELi4EEvPfPK15HIP_vector_typeIfLj2EEiiiiiiS1_IjLj3EES5_S5_
                                        ; -- End function
	.set _ZL33flash_attn_stream_k_fixup_uniformILi128ELi2ELi4EEvPfPK15HIP_vector_typeIfLj2EEiiiiiiS1_IjLj3EES5_S5_.num_vgpr, 17
	.set _ZL33flash_attn_stream_k_fixup_uniformILi128ELi2ELi4EEvPfPK15HIP_vector_typeIfLj2EEiiiiiiS1_IjLj3EES5_S5_.num_agpr, 0
	.set _ZL33flash_attn_stream_k_fixup_uniformILi128ELi2ELi4EEvPfPK15HIP_vector_typeIfLj2EEiiiiiiS1_IjLj3EES5_S5_.numbered_sgpr, 24
	.set _ZL33flash_attn_stream_k_fixup_uniformILi128ELi2ELi4EEvPfPK15HIP_vector_typeIfLj2EEiiiiiiS1_IjLj3EES5_S5_.num_named_barrier, 0
	.set _ZL33flash_attn_stream_k_fixup_uniformILi128ELi2ELi4EEvPfPK15HIP_vector_typeIfLj2EEiiiiiiS1_IjLj3EES5_S5_.private_seg_size, 0
	.set _ZL33flash_attn_stream_k_fixup_uniformILi128ELi2ELi4EEvPfPK15HIP_vector_typeIfLj2EEiiiiiiS1_IjLj3EES5_S5_.uses_vcc, 1
	.set _ZL33flash_attn_stream_k_fixup_uniformILi128ELi2ELi4EEvPfPK15HIP_vector_typeIfLj2EEiiiiiiS1_IjLj3EES5_S5_.uses_flat_scratch, 0
	.set _ZL33flash_attn_stream_k_fixup_uniformILi128ELi2ELi4EEvPfPK15HIP_vector_typeIfLj2EEiiiiiiS1_IjLj3EES5_S5_.has_dyn_sized_stack, 0
	.set _ZL33flash_attn_stream_k_fixup_uniformILi128ELi2ELi4EEvPfPK15HIP_vector_typeIfLj2EEiiiiiiS1_IjLj3EES5_S5_.has_recursion, 0
	.set _ZL33flash_attn_stream_k_fixup_uniformILi128ELi2ELi4EEvPfPK15HIP_vector_typeIfLj2EEiiiiiiS1_IjLj3EES5_S5_.has_indirect_call, 0
	.section	.AMDGPU.csdata,"",@progbits
; Kernel info:
; codeLenInByte = 836
; TotalNumSgprs: 30
; NumVgprs: 17
; NumAgprs: 0
; TotalNumVgprs: 17
; ScratchSize: 0
; MemoryBound: 0
; FloatMode: 240
; IeeeMode: 1
; LDSByteSize: 0 bytes/workgroup (compile time only)
; SGPRBlocks: 3
; VGPRBlocks: 2
; NumSGPRsForWavesPerEU: 30
; NumVGPRsForWavesPerEU: 17
; AccumOffset: 20
; Occupancy: 8
; WaveLimiterHint : 0
; COMPUTE_PGM_RSRC2:SCRATCH_EN: 0
; COMPUTE_PGM_RSRC2:USER_SGPR: 2
; COMPUTE_PGM_RSRC2:TRAP_HANDLER: 0
; COMPUTE_PGM_RSRC2:TGID_X_EN: 1
; COMPUTE_PGM_RSRC2:TGID_Y_EN: 1
; COMPUTE_PGM_RSRC2:TGID_Z_EN: 1
; COMPUTE_PGM_RSRC2:TIDIG_COMP_CNT: 0
; COMPUTE_PGM_RSRC3_GFX90A:ACCUM_OFFSET: 4
; COMPUTE_PGM_RSRC3_GFX90A:TG_SPLIT: 0
	.section	.text._ZL33flash_attn_stream_k_fixup_generalILi128ELi2ELi4EEvPfPK15HIP_vector_typeIfLj2EEiiiiS1_IjLj3EES5_S5_S5_,"axG",@progbits,_ZL33flash_attn_stream_k_fixup_generalILi128ELi2ELi4EEvPfPK15HIP_vector_typeIfLj2EEiiiiS1_IjLj3EES5_S5_S5_,comdat
	.globl	_ZL33flash_attn_stream_k_fixup_generalILi128ELi2ELi4EEvPfPK15HIP_vector_typeIfLj2EEiiiiS1_IjLj3EES5_S5_S5_ ; -- Begin function _ZL33flash_attn_stream_k_fixup_generalILi128ELi2ELi4EEvPfPK15HIP_vector_typeIfLj2EEiiiiS1_IjLj3EES5_S5_S5_
	.p2align	8
	.type	_ZL33flash_attn_stream_k_fixup_generalILi128ELi2ELi4EEvPfPK15HIP_vector_typeIfLj2EEiiiiS1_IjLj3EES5_S5_S5_,@function
_ZL33flash_attn_stream_k_fixup_generalILi128ELi2ELi4EEvPfPK15HIP_vector_typeIfLj2EEiiiiS1_IjLj3EES5_S5_S5_: ; @_ZL33flash_attn_stream_k_fixup_generalILi128ELi2ELi4EEvPfPK15HIP_vector_typeIfLj2EEiiiiS1_IjLj3EES5_S5_S5_
; %bb.0:
	s_load_dwordx4 s[8:11], s[0:1], 0x10
	s_load_dword s22, s[0:1], 0x50
	s_mov_b32 s12, 0
	s_waitcnt lgkmcnt(0)
	s_mul_hi_i32 s13, s11, s2
	s_cmp_lg_u64 s[12:13], 0
	s_mul_i32 s5, s11, s2
	s_cbranch_scc0 .LBB29_20
; %bb.1:
	s_add_u32 s6, s22, 0
	s_addc_u32 s7, 0, 0
	s_xor_b64 s[6:7], s[6:7], 0
	v_cvt_f32_u32_e32 v1, s6
	v_cvt_f32_u32_e32 v2, s7
	s_sub_u32 s12, 0, s6
	s_subb_u32 s18, 0, s7
	v_fmamk_f32 v1, v2, 0x4f800000, v1
	v_rcp_f32_e32 v1, v1
	s_nop 0
	v_mul_f32_e32 v1, 0x5f7ffffc, v1
	v_mul_f32_e32 v2, 0x2f800000, v1
	v_trunc_f32_e32 v2, v2
	v_fmamk_f32 v1, v2, 0xcf800000, v1
	v_cvt_u32_f32_e32 v2, v2
	v_cvt_u32_f32_e32 v1, v1
	v_readfirstlane_b32 s19, v2
	v_readfirstlane_b32 s14, v1
	s_mul_i32 s15, s12, s19
	s_mul_hi_u32 s21, s12, s14
	s_mul_i32 s20, s18, s14
	s_add_i32 s15, s21, s15
	s_add_i32 s15, s15, s20
	s_mul_i32 s23, s12, s14
	s_mul_i32 s21, s14, s15
	s_mul_hi_u32 s24, s14, s23
	s_mul_hi_u32 s20, s14, s15
	s_add_u32 s21, s24, s21
	s_addc_u32 s20, 0, s20
	s_mul_hi_u32 s25, s19, s23
	s_mul_i32 s23, s19, s23
	s_add_u32 s21, s21, s23
	s_mul_hi_u32 s24, s19, s15
	s_addc_u32 s20, s20, s25
	s_addc_u32 s21, s24, 0
	s_mul_i32 s15, s19, s15
	s_add_u32 s15, s20, s15
	s_addc_u32 s20, 0, s21
	s_add_u32 s21, s14, s15
	s_cselect_b64 s[14:15], -1, 0
	s_cmp_lg_u64 s[14:15], 0
	s_addc_u32 s19, s19, s20
	s_mul_i32 s14, s12, s19
	s_mul_hi_u32 s15, s12, s21
	s_add_i32 s14, s15, s14
	s_mul_i32 s18, s18, s21
	s_add_i32 s14, s14, s18
	s_mul_i32 s12, s12, s21
	s_mul_hi_u32 s18, s19, s12
	s_mul_i32 s20, s19, s12
	s_mul_i32 s24, s21, s14
	s_mul_hi_u32 s12, s21, s12
	s_mul_hi_u32 s23, s21, s14
	s_add_u32 s12, s12, s24
	s_addc_u32 s23, 0, s23
	s_add_u32 s12, s12, s20
	s_mul_hi_u32 s15, s19, s14
	s_addc_u32 s12, s23, s18
	s_addc_u32 s15, s15, 0
	s_mul_i32 s14, s19, s14
	s_add_u32 s12, s12, s14
	s_addc_u32 s18, 0, s15
	s_add_u32 s20, s21, s12
	s_cselect_b64 s[14:15], -1, 0
	s_cmp_lg_u64 s[14:15], 0
	s_addc_u32 s18, s19, s18
	s_ashr_i32 s14, s13, 31
	s_add_u32 s12, s5, s14
	s_mov_b32 s15, s14
	s_addc_u32 s13, s13, s14
	s_xor_b64 s[12:13], s[12:13], s[14:15]
	s_mul_i32 s21, s12, s18
	s_mul_hi_u32 s23, s12, s20
	s_mul_hi_u32 s19, s12, s18
	s_add_u32 s21, s23, s21
	s_addc_u32 s19, 0, s19
	s_mul_hi_u32 s24, s13, s20
	s_mul_i32 s20, s13, s20
	s_add_u32 s20, s21, s20
	s_mul_hi_u32 s23, s13, s18
	s_addc_u32 s19, s19, s24
	s_addc_u32 s20, s23, 0
	s_mul_i32 s18, s13, s18
	s_add_u32 s23, s19, s18
	s_addc_u32 s24, 0, s20
	s_mul_i32 s18, s6, s24
	s_mul_hi_u32 s19, s6, s23
	s_add_i32 s18, s19, s18
	s_mul_i32 s19, s7, s23
	s_add_i32 s25, s18, s19
	s_sub_i32 s20, s13, s25
	s_mul_i32 s18, s6, s23
	s_sub_u32 s12, s12, s18
	s_cselect_b64 s[18:19], -1, 0
	s_cmp_lg_u64 s[18:19], 0
	s_subb_u32 s26, s20, s7
	s_sub_u32 s27, s12, s6
	s_cselect_b64 s[20:21], -1, 0
	s_cmp_lg_u64 s[20:21], 0
	s_subb_u32 s20, s26, 0
	s_cmp_ge_u32 s20, s7
	s_cselect_b32 s21, -1, 0
	s_cmp_ge_u32 s27, s6
	s_cselect_b32 s26, -1, 0
	s_cmp_eq_u32 s20, s7
	s_cselect_b32 s20, s26, s21
	s_add_u32 s21, s23, 1
	s_addc_u32 s26, s24, 0
	s_add_u32 s27, s23, 2
	s_addc_u32 s28, s24, 0
	s_cmp_lg_u32 s20, 0
	s_cselect_b32 s20, s27, s21
	s_cselect_b32 s21, s28, s26
	s_cmp_lg_u64 s[18:19], 0
	s_subb_u32 s13, s13, s25
	s_cmp_ge_u32 s13, s7
	s_cselect_b32 s18, -1, 0
	s_cmp_ge_u32 s12, s6
	s_cselect_b32 s6, -1, 0
	s_cmp_eq_u32 s13, s7
	s_cselect_b32 s6, s6, s18
	s_cmp_lg_u32 s6, 0
	s_cselect_b32 s7, s21, s24
	s_cselect_b32 s6, s20, s23
	s_xor_b64 s[12:13], s[14:15], 0
	s_xor_b64 s[6:7], s[6:7], s[12:13]
	s_sub_u32 s6, s6, s12
	s_load_dwordx4 s[12:15], s[0:1], 0x44
	s_cbranch_execnz .LBB29_3
.LBB29_2:
	v_cvt_f32_u32_e32 v1, s22
	s_sub_i32 s6, 0, s22
	v_rcp_iflag_f32_e32 v1, v1
	s_nop 0
	v_mul_f32_e32 v1, 0x4f7ffffe, v1
	v_cvt_u32_f32_e32 v1, v1
	s_nop 0
	v_readfirstlane_b32 s7, v1
	s_mul_i32 s6, s6, s7
	s_mul_hi_u32 s6, s7, s6
	s_add_i32 s7, s7, s6
	s_mul_hi_u32 s6, s5, s7
	s_waitcnt lgkmcnt(0)
	s_mul_i32 s15, s6, s22
	s_sub_i32 s5, s5, s15
	s_add_i32 s7, s6, 1
	s_sub_i32 s15, s5, s22
	s_cmp_ge_u32 s5, s22
	s_cselect_b32 s6, s7, s6
	s_cselect_b32 s5, s15, s5
	s_add_i32 s7, s6, 1
	s_cmp_ge_u32 s5, s22
	s_cselect_b32 s6, s7, s6
.LBB29_3:
	s_add_i32 s5, s2, 1
	s_mul_hi_i32 s21, s11, s5
	s_mov_b32 s20, 0
	s_cmp_lg_u64 s[20:21], 0
	s_mul_i32 s5, s11, s5
	s_cbranch_scc0 .LBB29_21
; %bb.4:
	s_add_u32 s16, s22, 0
	s_addc_u32 s17, 0, 0
	s_xor_b64 s[18:19], s[16:17], 0
	v_cvt_f32_u32_e32 v1, s18
	v_cvt_f32_u32_e32 v2, s19
	s_sub_u32 s7, 0, s18
	s_waitcnt lgkmcnt(0)
	s_subb_u32 s15, 0, s19
	v_fmamk_f32 v1, v2, 0x4f800000, v1
	v_rcp_f32_e32 v1, v1
	s_nop 0
	v_mul_f32_e32 v1, 0x5f7ffffc, v1
	v_mul_f32_e32 v2, 0x2f800000, v1
	v_trunc_f32_e32 v2, v2
	v_fmamk_f32 v1, v2, 0xcf800000, v1
	v_cvt_u32_f32_e32 v2, v2
	v_cvt_u32_f32_e32 v1, v1
	v_readfirstlane_b32 s20, v2
	v_readfirstlane_b32 s23, v1
	s_mul_i32 s24, s7, s20
	s_mul_hi_u32 s26, s7, s23
	s_mul_i32 s25, s15, s23
	s_add_i32 s24, s26, s24
	s_add_i32 s24, s24, s25
	s_mul_i32 s27, s7, s23
	s_mul_i32 s26, s23, s24
	s_mul_hi_u32 s28, s23, s27
	s_mul_hi_u32 s25, s23, s24
	s_add_u32 s26, s28, s26
	s_addc_u32 s25, 0, s25
	s_mul_hi_u32 s29, s20, s27
	s_mul_i32 s27, s20, s27
	s_add_u32 s26, s26, s27
	s_mul_hi_u32 s28, s20, s24
	s_addc_u32 s25, s25, s29
	s_addc_u32 s26, s28, 0
	s_mul_i32 s24, s20, s24
	s_add_u32 s24, s25, s24
	s_addc_u32 s26, 0, s26
	s_add_u32 s23, s23, s24
	s_cselect_b64 s[24:25], -1, 0
	s_cmp_lg_u64 s[24:25], 0
	s_addc_u32 s20, s20, s26
	s_mul_i32 s24, s7, s20
	s_mul_hi_u32 s25, s7, s23
	s_add_i32 s24, s25, s24
	s_mul_i32 s15, s15, s23
	s_add_i32 s24, s24, s15
	s_mul_i32 s7, s7, s23
	s_mul_hi_u32 s25, s20, s7
	s_mul_i32 s26, s20, s7
	s_mul_i32 s28, s23, s24
	s_mul_hi_u32 s7, s23, s7
	s_mul_hi_u32 s27, s23, s24
	s_add_u32 s7, s7, s28
	s_addc_u32 s27, 0, s27
	s_add_u32 s7, s7, s26
	s_mul_hi_u32 s15, s20, s24
	s_addc_u32 s7, s27, s25
	s_addc_u32 s15, s15, 0
	s_mul_i32 s24, s20, s24
	s_add_u32 s7, s7, s24
	s_addc_u32 s15, 0, s15
	s_add_u32 s7, s23, s7
	s_cselect_b64 s[24:25], -1, 0
	s_cmp_lg_u64 s[24:25], 0
	s_addc_u32 s15, s20, s15
	s_ashr_i32 s24, s21, 31
	s_add_u32 s20, s5, s24
	s_mov_b32 s25, s24
	s_addc_u32 s21, s21, s24
	s_xor_b64 s[20:21], s[20:21], s[24:25]
	s_mul_i32 s26, s20, s15
	s_mul_hi_u32 s27, s20, s7
	s_mul_hi_u32 s23, s20, s15
	s_add_u32 s26, s27, s26
	s_addc_u32 s23, 0, s23
	s_mul_hi_u32 s28, s21, s7
	s_mul_i32 s7, s21, s7
	s_add_u32 s7, s26, s7
	s_mul_hi_u32 s27, s21, s15
	s_addc_u32 s7, s23, s28
	s_addc_u32 s23, s27, 0
	s_mul_i32 s15, s21, s15
	s_add_u32 s7, s7, s15
	s_addc_u32 s15, 0, s23
	s_mul_i32 s23, s18, s15
	s_mul_hi_u32 s26, s18, s7
	s_add_i32 s23, s26, s23
	s_mul_i32 s26, s19, s7
	s_add_i32 s23, s23, s26
	s_sub_i32 s28, s21, s23
	s_mul_i32 s26, s18, s7
	s_sub_u32 s20, s20, s26
	s_cselect_b64 s[26:27], -1, 0
	s_cmp_lg_u64 s[26:27], 0
	s_subb_u32 s30, s28, s19
	s_sub_u32 s31, s20, s18
	s_cselect_b64 s[28:29], -1, 0
	s_cmp_lg_u64 s[28:29], 0
	s_subb_u32 s28, s30, 0
	s_cmp_ge_u32 s28, s19
	s_cselect_b32 s29, -1, 0
	s_cmp_ge_u32 s31, s18
	s_cselect_b32 s30, -1, 0
	s_cmp_eq_u32 s28, s19
	s_cselect_b32 s28, s30, s29
	s_add_u32 s29, s7, 1
	s_addc_u32 s30, s15, 0
	s_add_u32 s31, s7, 2
	s_addc_u32 s33, s15, 0
	s_cmp_lg_u32 s28, 0
	s_cselect_b32 s28, s31, s29
	s_cselect_b32 s29, s33, s30
	s_cmp_lg_u64 s[26:27], 0
	s_subb_u32 s21, s21, s23
	s_cmp_ge_u32 s21, s19
	s_cselect_b32 s23, -1, 0
	s_cmp_ge_u32 s20, s18
	s_cselect_b32 s18, -1, 0
	s_cmp_eq_u32 s21, s19
	s_cselect_b32 s18, s18, s23
	s_cmp_lg_u32 s18, 0
	s_cselect_b32 s19, s29, s15
	s_cselect_b32 s18, s28, s7
	s_xor_b64 s[20:21], s[24:25], 0
	s_xor_b64 s[18:19], s[18:19], s[20:21]
	s_sub_u32 s18, s18, s20
	s_cbranch_execnz .LBB29_6
.LBB29_5:
	v_cvt_f32_u32_e32 v1, s22
	s_sub_i32 s7, 0, s22
	v_rcp_iflag_f32_e32 v1, v1
	s_nop 0
	v_mul_f32_e32 v1, 0x4f7ffffe, v1
	v_cvt_u32_f32_e32 v1, v1
	s_waitcnt lgkmcnt(0)
	v_readfirstlane_b32 s15, v1
	s_mul_i32 s7, s7, s15
	s_mul_hi_u32 s7, s15, s7
	s_add_i32 s15, s15, s7
	s_mul_hi_u32 s7, s5, s15
	s_mul_i32 s16, s7, s22
	s_sub_i32 s5, s5, s16
	s_add_i32 s15, s7, 1
	s_sub_i32 s16, s5, s22
	s_cmp_ge_u32 s5, s22
	s_cselect_b32 s7, s15, s7
	s_cselect_b32 s5, s16, s5
	s_add_i32 s15, s7, 1
	s_cmp_ge_u32 s5, s22
	s_cselect_b32 s18, s15, s7
.LBB29_6:
	s_cmp_eq_u32 s6, s18
	s_waitcnt lgkmcnt(0)
	s_mul_hi_u32 s5, s6, s12
	s_cselect_b64 s[16:17], -1, 0
	s_add_i32 s5, s5, s6
	s_lshr_b32 s7, s5, s13
	s_mul_i32 s5, s7, s14
	s_cmp_eq_u32 s5, s6
	s_mul_hi_u32 s5, s18, s12
	s_cselect_b64 s[20:21], -1, 0
	s_add_i32 s5, s5, s18
	s_lshr_b32 s5, s5, s13
	s_cmp_eq_u32 s7, s5
	s_mul_i32 s5, s5, s14
	s_cselect_b64 s[24:25], -1, 0
	s_cmp_lg_u32 s5, s18
	s_cselect_b64 s[18:19], -1, 0
	s_and_b64 s[18:19], s[24:25], s[18:19]
	s_or_b64 s[16:17], s[16:17], s[20:21]
	s_or_b64 s[16:17], s[16:17], s[18:19]
	s_and_b64 vcc, exec, s[16:17]
	s_cbranch_vccnz .LBB29_23
; %bb.7:
	s_load_dwordx8 s[24:31], s[0:1], 0x20
	s_load_dword s15, s[0:1], 0x40
	s_waitcnt lgkmcnt(0)
	s_mul_hi_u32 s5, s6, s24
	s_add_i32 s5, s5, s6
	s_lshr_b32 s5, s5, s25
	s_mul_i32 s16, s5, s26
	s_sub_i32 s16, s6, s16
	s_mul_hi_u32 s17, s16, s27
	s_add_i32 s17, s16, s17
	s_lshr_b32 s20, s17, s28
	s_mul_i32 s17, s20, s29
	s_sub_i32 s16, s16, s17
	;; [unrolled: 5-line block ×3, first 2 shown]
	s_mul_hi_u32 s16, s15, s12
	s_add_i32 s15, s15, s16
	s_lshr_b32 s23, s15, s13
	s_lshl_b32 s15, s23, 1
	s_lshl_b32 s21, s17, 2
	s_add_i32 s15, s15, s3
	s_cmp_lt_i32 s15, s8
	s_cselect_b64 s[16:17], -1, 0
	s_add_i32 s15, s21, s4
	s_cmp_lt_i32 s15, s10
	s_cselect_b64 s[18:19], -1, 0
	s_and_b64 s[16:17], s[16:17], s[18:19]
	s_andn2_b64 vcc, exec, s[16:17]
	s_cbranch_vccnz .LBB29_23
; %bb.8:
	s_load_dwordx4 s[16:19], s[0:1], 0x0
	s_mov_b32 s0, 0
	s_lshl_b32 s15, s3, 2
	s_lshl_b32 s24, s22, 5
	s_mov_b32 s25, s0
	s_add_i32 s15, s15, s4
	s_waitcnt lgkmcnt(0)
	v_mov_b32_e32 v2, s16
	v_mov_b32_e32 v3, s17
	s_lshl_b64 s[16:17], s[24:25], 2
	s_add_u32 s16, s18, s16
	s_mul_i32 s1, s5, s8
	s_addc_u32 s17, s19, s17
	s_add_i32 s1, s1, s3
	s_mul_i32 s1, s1, s9
	s_mul_i32 s20, s20, s10
	s_add_i32 s1, s1, s4
	s_add_i32 s1, s1, s20
	s_mul_i32 s5, s9, s23
	s_add_i32 s1, s1, s21
	s_lshl_b32 s5, s5, 8
	s_lshl_b32 s1, s1, 7
	s_add_i32 s5, s5, s1
	v_or_b32_e32 v4, s5, v0
	v_ashrrev_i32_e32 v5, 31, v4
	v_lshl_add_u64 v[2:3], v[4:5], 2, v[2:3]
	global_load_dword v1, v[2:3], off
	v_cvt_f32_u32_e32 v4, s22
	s_lshl_b32 s1, s2, 3
	s_add_i32 s4, s15, s1
	s_ashr_i32 s5, s4, 31
	s_lshl_b64 s[4:5], s[4:5], 3
	v_rcp_iflag_f32_e32 v4, v4
	s_add_u32 s4, s18, s4
	s_addc_u32 s5, s19, s5
	s_load_dwordx2 s[4:5], s[4:5], 0x0
	v_mul_f32_e32 v4, 0x4f7ffffe, v4
	v_cvt_u32_f32_e32 v7, v4
	s_add_i32 s24, s2, -1
	v_lshl_or_b32 v6, s15, 7, v0
	s_waitcnt lgkmcnt(0)
	v_mov_b32_e32 v0, s5
	v_mov_b32_e32 v9, s4
	s_mov_b32 s10, 0x3fb8aa3b
	s_mov_b32 s20, 0xc2ce8ed0
	;; [unrolled: 1-line block ×4, first 2 shown]
	v_mov_b32_e32 v8, 0x7f800000
	s_mul_hi_i32 s1, s24, s11
	s_cmp_lg_u64 s[0:1], 0
	s_mul_i32 s8, s24, s11
	s_cbranch_scc0 .LBB29_19
.LBB29_9:
	s_add_u32 s2, s22, 0
	s_addc_u32 s3, 0, 0
	s_xor_b64 s[2:3], s[2:3], 0
	v_cvt_f32_u32_e32 v4, s2
	v_cvt_f32_u32_e32 v5, s3
	s_sub_u32 s9, 0, s2
	s_subb_u32 s25, 0, s3
	v_fmac_f32_e32 v4, 0x4f800000, v5
	v_rcp_f32_e32 v4, v4
	s_nop 0
	v_mul_f32_e32 v4, 0x5f7ffffc, v4
	v_mul_f32_e32 v5, 0x2f800000, v4
	v_trunc_f32_e32 v5, v5
	v_fmac_f32_e32 v4, 0xcf800000, v5
	v_cvt_u32_f32_e32 v5, v5
	v_cvt_u32_f32_e32 v4, v4
	v_readfirstlane_b32 s26, v5
	v_readfirstlane_b32 s4, v4
	s_mul_i32 s5, s9, s26
	s_mul_hi_u32 s28, s9, s4
	s_mul_i32 s27, s25, s4
	s_add_i32 s5, s28, s5
	s_mul_i32 s29, s9, s4
	s_add_i32 s5, s5, s27
	s_mul_i32 s28, s4, s5
	s_mul_hi_u32 s30, s4, s29
	s_mul_hi_u32 s27, s4, s5
	s_add_u32 s28, s30, s28
	s_addc_u32 s27, 0, s27
	s_mul_hi_u32 s31, s26, s29
	s_mul_i32 s29, s26, s29
	s_add_u32 s28, s28, s29
	s_mul_hi_u32 s30, s26, s5
	s_addc_u32 s27, s27, s31
	s_addc_u32 s28, s30, 0
	s_mul_i32 s5, s26, s5
	s_add_u32 s5, s27, s5
	s_addc_u32 s27, 0, s28
	s_add_u32 s28, s4, s5
	s_cselect_b64 s[4:5], -1, 0
	s_cmp_lg_u64 s[4:5], 0
	s_addc_u32 s26, s26, s27
	s_mul_i32 s4, s9, s26
	s_mul_hi_u32 s5, s9, s28
	s_add_i32 s4, s5, s4
	s_mul_i32 s25, s25, s28
	s_add_i32 s4, s4, s25
	s_mul_i32 s9, s9, s28
	s_mul_hi_u32 s25, s26, s9
	s_mul_i32 s27, s26, s9
	s_mul_i32 s30, s28, s4
	s_mul_hi_u32 s9, s28, s9
	s_mul_hi_u32 s29, s28, s4
	s_add_u32 s9, s9, s30
	s_addc_u32 s29, 0, s29
	s_add_u32 s9, s9, s27
	s_mul_hi_u32 s5, s26, s4
	s_addc_u32 s9, s29, s25
	s_addc_u32 s5, s5, 0
	s_mul_i32 s4, s26, s4
	s_add_u32 s4, s9, s4
	s_addc_u32 s9, 0, s5
	s_add_u32 s25, s28, s4
	s_cselect_b64 s[4:5], -1, 0
	s_cmp_lg_u64 s[4:5], 0
	s_addc_u32 s9, s26, s9
	s_ashr_i32 s4, s1, 31
	s_add_u32 s26, s8, s4
	s_mov_b32 s5, s4
	s_addc_u32 s27, s1, s4
	s_xor_b64 s[26:27], s[26:27], s[4:5]
	s_mul_i32 s28, s26, s9
	s_mul_hi_u32 s29, s26, s25
	s_mul_hi_u32 s1, s26, s9
	s_add_u32 s28, s29, s28
	s_addc_u32 s1, 0, s1
	s_mul_hi_u32 s30, s27, s25
	s_mul_i32 s25, s27, s25
	s_add_u32 s25, s28, s25
	s_mul_hi_u32 s29, s27, s9
	s_addc_u32 s1, s1, s30
	s_addc_u32 s25, s29, 0
	s_mul_i32 s9, s27, s9
	s_add_u32 s1, s1, s9
	s_addc_u32 s9, 0, s25
	s_mul_i32 s25, s2, s9
	s_mul_hi_u32 s28, s2, s1
	s_add_i32 s25, s28, s25
	s_mul_i32 s28, s3, s1
	s_add_i32 s25, s25, s28
	s_sub_i32 s30, s27, s25
	s_mul_i32 s28, s2, s1
	s_sub_u32 s26, s26, s28
	s_cselect_b64 s[28:29], -1, 0
	s_cmp_lg_u64 s[28:29], 0
	s_subb_u32 s33, s30, s3
	s_sub_u32 s34, s26, s2
	s_cselect_b64 s[30:31], -1, 0
	s_cmp_lg_u64 s[30:31], 0
	s_subb_u32 s30, s33, 0
	s_cmp_ge_u32 s30, s3
	s_cselect_b32 s31, -1, 0
	s_cmp_ge_u32 s34, s2
	s_cselect_b32 s33, -1, 0
	s_cmp_eq_u32 s30, s3
	s_cselect_b32 s30, s33, s31
	s_add_u32 s31, s1, 1
	s_addc_u32 s33, s9, 0
	s_add_u32 s34, s1, 2
	s_addc_u32 s35, s9, 0
	s_cmp_lg_u32 s30, 0
	s_cselect_b32 s30, s34, s31
	s_cselect_b32 s31, s35, s33
	s_cmp_lg_u64 s[28:29], 0
	s_subb_u32 s25, s27, s25
	s_cmp_ge_u32 s25, s3
	s_cselect_b32 s27, -1, 0
	s_cmp_ge_u32 s26, s2
	s_cselect_b32 s2, -1, 0
	s_cmp_eq_u32 s25, s3
	s_cselect_b32 s2, s2, s27
	s_cmp_lg_u32 s2, 0
	s_cselect_b32 s3, s31, s9
	s_cselect_b32 s2, s30, s1
	s_xor_b64 s[4:5], s[4:5], 0
	s_xor_b64 s[2:3], s[2:3], s[4:5]
	s_sub_u32 s4, s2, s4
	s_cbranch_execnz .LBB29_11
.LBB29_10:
	s_sub_i32 s1, 0, s22
	v_readfirstlane_b32 s2, v7
	s_mul_i32 s1, s1, s2
	s_mul_hi_u32 s1, s2, s1
	s_add_i32 s2, s2, s1
	s_mul_hi_u32 s1, s8, s2
	s_mul_i32 s3, s1, s22
	s_sub_i32 s3, s8, s3
	s_add_i32 s2, s1, 1
	s_sub_i32 s4, s3, s22
	s_cmp_ge_u32 s3, s22
	s_cselect_b32 s1, s2, s1
	s_cselect_b32 s3, s4, s3
	s_add_i32 s2, s1, 1
	s_cmp_ge_u32 s3, s22
	s_cselect_b32 s4, s2, s1
.LBB29_11:
	s_cmp_lg_u32 s6, s4
	s_cbranch_scc0 .LBB29_15
; %bb.12:
	s_add_i32 s1, s24, s22
	s_lshl_b32 s1, s1, 3
	s_add_i32 s2, s1, s15
	s_mov_b32 s3, s0
	s_lshl_b64 s[2:3], s[2:3], 3
	s_add_u32 s8, s18, s2
	s_mul_hi_u32 s1, s4, s12
	s_addc_u32 s9, s19, s3
	s_add_i32 s1, s1, s4
	s_lshr_b32 s1, s1, s13
	s_mul_i32 s2, s1, s14
	s_cmp_eq_u32 s2, s4
	s_cselect_b64 s[2:3], -1, 0
	s_cmp_lt_u32 s1, s7
	s_cselect_b64 s[26:27], -1, 0
	s_or_b64 s[26:27], s[26:27], s[2:3]
	s_mov_b64 s[2:3], -1
	s_and_b64 vcc, exec, s[26:27]
	s_mov_b32 s1, s24
	s_mov_b32 s25, s6
	s_cbranch_vccnz .LBB29_14
; %bb.13:
	s_add_i32 s1, s24, -1
	s_mov_b64 s[2:3], 0
	s_mov_b32 s25, s4
.LBB29_14:
	v_lshl_add_u32 v4, s24, 10, v6
	v_ashrrev_i32_e32 v5, 31, v4
	v_lshl_add_u64 v[4:5], v[4:5], 2, s[16:17]
	global_load_dword v5, v[4:5], off
	s_load_dwordx2 s[4:5], s[8:9], 0x0
	v_max_f32_e32 v4, v9, v9
	s_waitcnt lgkmcnt(0)
	v_max_f32_e64 v10, s4, s4
	v_max_f32_e32 v10, v4, v10
	v_sub_f32_e32 v11, v9, v10
	v_sub_f32_e32 v13, s4, v10
	v_mul_f32_e32 v4, 0x3fb8aa3b, v11
	v_mul_f32_e32 v12, 0x3fb8aa3b, v13
	v_fma_f32 v14, v11, s10, -v4
	v_rndne_f32_e32 v15, v4
	v_fma_f32 v16, v13, s10, -v12
	v_rndne_f32_e32 v17, v12
	v_fmac_f32_e32 v14, 0x32a5705f, v11
	v_sub_f32_e32 v4, v4, v15
	v_fmac_f32_e32 v16, 0x32a5705f, v13
	v_sub_f32_e32 v12, v12, v17
	v_add_f32_e32 v4, v4, v14
	v_cvt_i32_f32_e32 v15, v15
	v_add_f32_e32 v12, v12, v16
	v_exp_f32_e32 v14, v4
	v_cvt_i32_f32_e32 v17, v17
	v_exp_f32_e32 v12, v12
	v_cmp_ngt_f32_e32 vcc, s20, v11
	v_ldexp_f32 v14, v14, v15
	v_mov_b32_e32 v4, s5
	v_ldexp_f32 v12, v12, v17
	v_cndmask_b32_e32 v14, 0, v14, vcc
	v_cmp_ngt_f32_e32 vcc, s20, v13
	s_nop 1
	v_cndmask_b32_e32 v12, 0, v12, vcc
	v_cmp_nlt_f32_e32 vcc, s21, v11
	s_nop 1
	v_cndmask_b32_e32 v14, v8, v14, vcc
	v_cmp_nlt_f32_e32 vcc, s21, v13
	s_nop 1
	v_cndmask_b32_e32 v15, v8, v12, vcc
	v_cmp_le_f32_e32 vcc, s23, v11
	s_nop 1
	v_cndmask_b32_e32 v12, 0, v14, vcc
	v_cmp_le_f32_e32 vcc, s23, v13
	s_nop 1
	v_cndmask_b32_e32 v14, 0, v15, vcc
	s_waitcnt vmcnt(0)
	v_pk_mul_f32 v[4:5], v[4:5], v[14:15] op_sel_hi:[1,0]
	s_nop 0
	v_pk_fma_f32 v[4:5], v[0:1], v[12:13], v[4:5] op_sel_hi:[1,0,1]
	s_cbranch_execz .LBB29_16
	s_branch .LBB29_17
.LBB29_15:
                                        ; implicit-def: $vgpr4_vgpr5
                                        ; implicit-def: $sgpr2_sgpr3
                                        ; implicit-def: $vgpr10
                                        ; implicit-def: $sgpr1
                                        ; implicit-def: $sgpr25
.LBB29_16:
	s_add_i32 s1, s24, -1
	s_mov_b64 s[2:3], 0
	s_mov_b32 s25, s6
	v_mov_b32_e32 v10, v9
	s_waitcnt vmcnt(0)
	v_mov_b64_e32 v[4:5], v[0:1]
.LBB29_17:
	s_andn2_b64 vcc, exec, s[2:3]
	s_cbranch_vccz .LBB29_22
; %bb.18:
	s_mov_b32 s6, s25
	s_mov_b32 s24, s1
	v_mov_b32_e32 v9, v10
	s_waitcnt vmcnt(0)
	v_mov_b64_e32 v[0:1], v[4:5]
	s_mul_hi_i32 s1, s24, s11
	s_cmp_lg_u64 s[0:1], 0
	s_mul_i32 s8, s24, s11
	s_cbranch_scc1 .LBB29_9
.LBB29_19:
                                        ; implicit-def: $sgpr4_sgpr5
	s_branch .LBB29_10
.LBB29_20:
                                        ; implicit-def: $sgpr6_sgpr7
	s_load_dwordx4 s[12:15], s[0:1], 0x44
	s_branch .LBB29_2
.LBB29_21:
                                        ; implicit-def: $sgpr18_sgpr19
	s_branch .LBB29_5
.LBB29_22:
	v_div_scale_f32 v0, s[0:1], v4, v4, v5
	s_waitcnt vmcnt(0)
	v_rcp_f32_e32 v1, v0
	v_div_scale_f32 v6, vcc, v5, v4, v5
	v_fma_f32 v7, -v0, v1, 1.0
	v_fmac_f32_e32 v1, v7, v1
	v_mul_f32_e32 v7, v6, v1
	v_fma_f32 v8, -v0, v7, v6
	v_fmac_f32_e32 v7, v8, v1
	v_fma_f32 v0, -v0, v7, v6
	v_div_fmas_f32 v0, v0, v1, v7
	v_div_fixup_f32 v0, v0, v4, v5
	global_store_dword v[2:3], v0, off
.LBB29_23:
	s_endpgm
	.section	.rodata,"a",@progbits
	.p2align	6, 0x0
	.amdhsa_kernel _ZL33flash_attn_stream_k_fixup_generalILi128ELi2ELi4EEvPfPK15HIP_vector_typeIfLj2EEiiiiS1_IjLj3EES5_S5_S5_
		.amdhsa_group_segment_fixed_size 0
		.amdhsa_private_segment_fixed_size 0
		.amdhsa_kernarg_size 336
		.amdhsa_user_sgpr_count 2
		.amdhsa_user_sgpr_dispatch_ptr 0
		.amdhsa_user_sgpr_queue_ptr 0
		.amdhsa_user_sgpr_kernarg_segment_ptr 1
		.amdhsa_user_sgpr_dispatch_id 0
		.amdhsa_user_sgpr_kernarg_preload_length 0
		.amdhsa_user_sgpr_kernarg_preload_offset 0
		.amdhsa_user_sgpr_private_segment_size 0
		.amdhsa_uses_dynamic_stack 0
		.amdhsa_enable_private_segment 0
		.amdhsa_system_sgpr_workgroup_id_x 1
		.amdhsa_system_sgpr_workgroup_id_y 1
		.amdhsa_system_sgpr_workgroup_id_z 1
		.amdhsa_system_sgpr_workgroup_info 0
		.amdhsa_system_vgpr_workitem_id 0
		.amdhsa_next_free_vgpr 18
		.amdhsa_next_free_sgpr 36
		.amdhsa_accum_offset 20
		.amdhsa_reserve_vcc 1
		.amdhsa_float_round_mode_32 0
		.amdhsa_float_round_mode_16_64 0
		.amdhsa_float_denorm_mode_32 3
		.amdhsa_float_denorm_mode_16_64 3
		.amdhsa_dx10_clamp 1
		.amdhsa_ieee_mode 1
		.amdhsa_fp16_overflow 0
		.amdhsa_tg_split 0
		.amdhsa_exception_fp_ieee_invalid_op 0
		.amdhsa_exception_fp_denorm_src 0
		.amdhsa_exception_fp_ieee_div_zero 0
		.amdhsa_exception_fp_ieee_overflow 0
		.amdhsa_exception_fp_ieee_underflow 0
		.amdhsa_exception_fp_ieee_inexact 0
		.amdhsa_exception_int_div_zero 0
	.end_amdhsa_kernel
	.section	.text._ZL33flash_attn_stream_k_fixup_generalILi128ELi2ELi4EEvPfPK15HIP_vector_typeIfLj2EEiiiiS1_IjLj3EES5_S5_S5_,"axG",@progbits,_ZL33flash_attn_stream_k_fixup_generalILi128ELi2ELi4EEvPfPK15HIP_vector_typeIfLj2EEiiiiS1_IjLj3EES5_S5_S5_,comdat
.Lfunc_end29:
	.size	_ZL33flash_attn_stream_k_fixup_generalILi128ELi2ELi4EEvPfPK15HIP_vector_typeIfLj2EEiiiiS1_IjLj3EES5_S5_S5_, .Lfunc_end29-_ZL33flash_attn_stream_k_fixup_generalILi128ELi2ELi4EEvPfPK15HIP_vector_typeIfLj2EEiiiiS1_IjLj3EES5_S5_S5_
                                        ; -- End function
	.set _ZL33flash_attn_stream_k_fixup_generalILi128ELi2ELi4EEvPfPK15HIP_vector_typeIfLj2EEiiiiS1_IjLj3EES5_S5_S5_.num_vgpr, 18
	.set _ZL33flash_attn_stream_k_fixup_generalILi128ELi2ELi4EEvPfPK15HIP_vector_typeIfLj2EEiiiiS1_IjLj3EES5_S5_S5_.num_agpr, 0
	.set _ZL33flash_attn_stream_k_fixup_generalILi128ELi2ELi4EEvPfPK15HIP_vector_typeIfLj2EEiiiiS1_IjLj3EES5_S5_S5_.numbered_sgpr, 36
	.set _ZL33flash_attn_stream_k_fixup_generalILi128ELi2ELi4EEvPfPK15HIP_vector_typeIfLj2EEiiiiS1_IjLj3EES5_S5_S5_.num_named_barrier, 0
	.set _ZL33flash_attn_stream_k_fixup_generalILi128ELi2ELi4EEvPfPK15HIP_vector_typeIfLj2EEiiiiS1_IjLj3EES5_S5_S5_.private_seg_size, 0
	.set _ZL33flash_attn_stream_k_fixup_generalILi128ELi2ELi4EEvPfPK15HIP_vector_typeIfLj2EEiiiiS1_IjLj3EES5_S5_S5_.uses_vcc, 1
	.set _ZL33flash_attn_stream_k_fixup_generalILi128ELi2ELi4EEvPfPK15HIP_vector_typeIfLj2EEiiiiS1_IjLj3EES5_S5_S5_.uses_flat_scratch, 0
	.set _ZL33flash_attn_stream_k_fixup_generalILi128ELi2ELi4EEvPfPK15HIP_vector_typeIfLj2EEiiiiS1_IjLj3EES5_S5_S5_.has_dyn_sized_stack, 0
	.set _ZL33flash_attn_stream_k_fixup_generalILi128ELi2ELi4EEvPfPK15HIP_vector_typeIfLj2EEiiiiS1_IjLj3EES5_S5_S5_.has_recursion, 0
	.set _ZL33flash_attn_stream_k_fixup_generalILi128ELi2ELi4EEvPfPK15HIP_vector_typeIfLj2EEiiiiS1_IjLj3EES5_S5_S5_.has_indirect_call, 0
	.section	.AMDGPU.csdata,"",@progbits
; Kernel info:
; codeLenInByte = 2940
; TotalNumSgprs: 42
; NumVgprs: 18
; NumAgprs: 0
; TotalNumVgprs: 18
; ScratchSize: 0
; MemoryBound: 0
; FloatMode: 240
; IeeeMode: 1
; LDSByteSize: 0 bytes/workgroup (compile time only)
; SGPRBlocks: 5
; VGPRBlocks: 2
; NumSGPRsForWavesPerEU: 42
; NumVGPRsForWavesPerEU: 18
; AccumOffset: 20
; Occupancy: 8
; WaveLimiterHint : 0
; COMPUTE_PGM_RSRC2:SCRATCH_EN: 0
; COMPUTE_PGM_RSRC2:USER_SGPR: 2
; COMPUTE_PGM_RSRC2:TRAP_HANDLER: 0
; COMPUTE_PGM_RSRC2:TGID_X_EN: 1
; COMPUTE_PGM_RSRC2:TGID_Y_EN: 1
; COMPUTE_PGM_RSRC2:TGID_Z_EN: 1
; COMPUTE_PGM_RSRC2:TIDIG_COMP_CNT: 0
; COMPUTE_PGM_RSRC3_GFX90A:ACCUM_OFFSET: 4
; COMPUTE_PGM_RSRC3_GFX90A:TG_SPLIT: 0
	.section	.text._ZL15flash_attn_tileILi128ELi128ELi1ELi4ELb0EEvPKcS1_S1_S1_S1_PKiPfP15HIP_vector_typeIfLj2EEffffjfiS5_IjLj3EEiiiiiiiiiiiliiliiiiil,"axG",@progbits,_ZL15flash_attn_tileILi128ELi128ELi1ELi4ELb0EEvPKcS1_S1_S1_S1_PKiPfP15HIP_vector_typeIfLj2EEffffjfiS5_IjLj3EEiiiiiiiiiiiliiliiiiil,comdat
	.globl	_ZL15flash_attn_tileILi128ELi128ELi1ELi4ELb0EEvPKcS1_S1_S1_S1_PKiPfP15HIP_vector_typeIfLj2EEffffjfiS5_IjLj3EEiiiiiiiiiiiliiliiiiil ; -- Begin function _ZL15flash_attn_tileILi128ELi128ELi1ELi4ELb0EEvPKcS1_S1_S1_S1_PKiPfP15HIP_vector_typeIfLj2EEffffjfiS5_IjLj3EEiiiiiiiiiiiliiliiiiil
	.p2align	8
	.type	_ZL15flash_attn_tileILi128ELi128ELi1ELi4ELb0EEvPKcS1_S1_S1_S1_PKiPfP15HIP_vector_typeIfLj2EEffffjfiS5_IjLj3EEiiiiiiiiiiiliiliiiiil,@function
_ZL15flash_attn_tileILi128ELi128ELi1ELi4ELb0EEvPKcS1_S1_S1_S1_PKiPfP15HIP_vector_typeIfLj2EEffffjfiS5_IjLj3EEiiiiiiiiiiiliiliiiiil: ; @_ZL15flash_attn_tileILi128ELi128ELi1ELi4ELb0EEvPKcS1_S1_S1_S1_PKiPfP15HIP_vector_typeIfLj2EEffffjfiS5_IjLj3EEiiiiiiiiiiiliiliiiiil
; %bb.0:
	s_load_dwordx4 s[20:23], s[0:1], 0x5c
	s_load_dwordx2 s[28:29], s[0:1], 0x80
	s_load_dwordx2 s[34:35], s[0:1], 0xb8
	s_mov_b64 s[30:31], 0
	s_waitcnt lgkmcnt(0)
	s_ashr_i32 s5, s23, 31
	s_lshr_b32 s5, s5, 30
	s_add_i32 s5, s23, s5
	s_ashr_i32 s5, s5, 2
	v_cvt_f32_u32_e32 v1, s5
	s_sub_i32 s6, 0, s5
	v_rcp_iflag_f32_e32 v1, v1
	s_nop 0
	v_mul_f32_e32 v1, 0x4f7ffffe, v1
	v_cvt_u32_f32_e32 v1, v1
	s_nop 0
	v_readfirstlane_b32 s7, v1
	s_mul_i32 s6, s6, s7
	s_mul_hi_u32 s6, s7, s6
	s_add_i32 s7, s7, s6
	s_mul_hi_u32 s6, s4, s7
	s_mul_i32 s7, s6, s5
	s_sub_i32 s7, s4, s7
	s_add_i32 s8, s6, 1
	s_sub_i32 s9, s7, s5
	s_cmp_ge_u32 s7, s5
	s_cselect_b32 s6, s8, s6
	s_cselect_b32 s7, s9, s7
	s_add_i32 s8, s6, 1
	s_cmp_ge_u32 s7, s5
	s_cselect_b32 s33, s8, s6
	s_abs_i32 s5, s29
	v_cvt_f32_u32_e32 v1, s5
	s_lshl_b32 s4, s4, 2
	s_mul_i32 s8, s33, s23
	s_xor_b32 s6, s23, s29
	v_rcp_iflag_f32_e32 v1, v1
	s_sub_i32 s9, 0, s5
	s_sub_i32 s29, s4, s8
	s_abs_i32 s7, s23
	v_mul_f32_e32 v1, 0x4f7ffffe, v1
	v_cvt_u32_f32_e32 v1, v1
	s_ashr_i32 s6, s6, 31
	v_readfirstlane_b32 s4, v1
	s_mul_i32 s9, s9, s4
	s_mul_hi_u32 s8, s4, s9
	s_add_i32 s4, s4, s8
	s_mul_hi_u32 s4, s7, s4
	s_mul_i32 s8, s4, s5
	s_sub_i32 s7, s7, s8
	s_add_i32 s9, s4, 1
	s_sub_i32 s8, s7, s5
	s_cmp_ge_u32 s7, s5
	s_cselect_b32 s4, s9, s4
	s_cselect_b32 s7, s8, s7
	s_add_i32 s8, s4, 1
	s_cmp_ge_u32 s7, s5
	s_cselect_b32 s4, s8, s4
	s_xor_b32 s4, s4, s6
	s_sub_i32 s37, s4, s6
	s_abs_i32 s36, s37
	v_cvt_f32_u32_e32 v1, s36
	s_load_dwordx16 s[4:19], s[0:1], 0x0
	v_rcp_iflag_f32_e32 v1, v1
	s_waitcnt lgkmcnt(0)
	s_cmp_eq_u64 s[10:11], 0
	v_mul_f32_e32 v1, 0x4f7ffffe, v1
	v_cvt_u32_f32_e32 v1, v1
	s_nop 0
	v_readfirstlane_b32 s38, v1
	s_cbranch_scc1 .LBB30_2
; %bb.1:
	s_abs_i32 s26, s34
	v_cvt_f32_u32_e32 v1, s26
	s_sub_i32 s31, 0, s26
	s_abs_i32 s30, s33
	s_ashr_i32 s27, s33, 31
	v_rcp_iflag_f32_e32 v1, v1
	s_load_dwordx2 s[24:25], s[0:1], 0xc8
	v_mul_f32_e32 v1, 0x4f7ffffe, v1
	v_cvt_u32_f32_e32 v1, v1
	s_nop 0
	v_readfirstlane_b32 s34, v1
	s_mul_i32 s31, s31, s34
	s_mul_hi_u32 s31, s34, s31
	s_add_i32 s34, s34, s31
	s_mul_hi_u32 s31, s30, s34
	s_mul_i32 s31, s31, s26
	s_sub_i32 s30, s30, s31
	s_sub_i32 s31, s30, s26
	s_cmp_ge_u32 s30, s26
	s_cselect_b32 s30, s31, s30
	s_sub_i32 s31, s30, s26
	s_cmp_ge_u32 s30, s26
	s_cselect_b32 s26, s31, s30
	s_xor_b32 s26, s26, s27
	s_sub_i32 s26, s26, s27
	s_ashr_i32 s27, s26, 31
	s_waitcnt lgkmcnt(0)
	s_mul_hi_u32 s30, s24, s26
	s_mul_i32 s27, s24, s27
	s_mul_i32 s25, s25, s26
	s_add_i32 s27, s30, s27
	s_add_i32 s27, s27, s25
	s_mul_i32 s24, s24, s26
	s_add_u32 s30, s10, s24
	s_addc_u32 s31, s11, s27
.LBB30_2:
	s_load_dwordx4 s[24:27], s[0:1], 0x70
	v_bfe_u32 v43, v0, 10, 2
	v_lshrrev_b32_e32 v1, 10, v0
	v_bfe_u32 v1, v1, 2, 8
	s_waitcnt lgkmcnt(0)
	s_mul_i32 s10, s33, s26
	s_ashr_i32 s26, s10, 31
	s_mul_i32 s11, s29, s25
	s_add_u32 s4, s4, s10
	s_addc_u32 s5, s5, s26
	s_ashr_i32 s10, s11, 31
	s_add_u32 s4, s4, s11
	s_addc_u32 s5, s5, s10
	s_ashr_i32 s11, s25, 31
	s_mov_b32 s10, s25
	s_lshr_b64 s[26:27], s[10:11], 2
	s_lshr_b32 s25, s11, 2
	v_mad_u64_u32 v[2:3], s[10:11], s26, v43, 0
	v_mov_b32_e32 v4, v3
	v_mad_u64_u32 v[4:5], s[10:11], s25, v43, v[4:5]
	v_add_u32_e32 v5, s2, v1
	v_mul_hi_u32 v1, s20, v5
	v_add_u32_e32 v1, v5, v1
	v_lshrrev_b32_e32 v1, s21, v1
	v_mul_lo_u32 v1, v1, s22
	s_ashr_i32 s25, s24, 31
	v_sub_u32_e32 v1, v5, v1
	s_lshr_b64 s[10:11], s[24:25], 2
	v_mad_u64_u32 v[6:7], s[10:11], s10, v1, 0
	v_mov_b32_e32 v3, v4
	v_mov_b32_e32 v4, v7
	s_lshr_b32 s10, s25, 2
	v_mad_u64_u32 v[8:9], s[10:11], s10, v1, v[4:5]
	v_mov_b32_e32 v7, v8
	v_and_b32_e32 v4, 0x3ff, v0
	v_lshl_add_u64 v[2:3], v[2:3], 2, s[4:5]
	v_lshl_add_u64 v[2:3], v[6:7], 2, v[2:3]
	v_lshlrev_b32_e32 v6, 4, v4
	v_mov_b32_e32 v7, 0
	v_lshl_add_u64 v[2:3], v[2:3], 0, v[6:7]
	global_load_dwordx4 v[6:9], v[2:3], off
	s_load_dword s4, s[0:1], 0x40
	v_bfe_u32 v0, v0, 10, 10
	v_mov_b32_e32 v2, 0x4400
	v_lshl_add_u32 v46, v0, 8, v2
	v_lshlrev_b32_e32 v45, 3, v4
	v_add_u32_e32 v10, v46, v45
	s_cmp_eq_u64 s[14:15], 0
	s_waitcnt vmcnt(0) lgkmcnt(0)
	v_fma_mixlo_f16 v2, s4, v6, 0
	v_fma_mixlo_f16 v3, s4, v8, 0
	v_mov_b32_e32 v6, v9
	v_and_b32_e32 v8, 0xffff, v2
	v_and_b32_e32 v9, 0xffff, v3
	v_pk_mul_f32 v[2:3], s[4:5], v[6:7] op_sel_hi:[0,1]
	v_cvt_pk_f16_f32 v2, v2, v3
	v_lshlrev_b32_e32 v3, 16, v2
	v_and_b32_e32 v2, 0xffff0000, v2
	v_or_b32_e32 v2, v2, v8
	v_or3_b32 v3, v3, v9, 0
	v_or3_b32 v2, 0, 0, v2
	ds_write_b64 v10, v[2:3]
	s_waitcnt lgkmcnt(0)
	s_barrier
	s_cbranch_scc1 .LBB30_4
; %bb.3:
	s_load_dword s4, s[0:1], 0xd0
	s_mov_b32 s5, 0
	s_waitcnt lgkmcnt(0)
	s_mul_i32 s4, s4, s33
	s_add_i32 s4, s4, s2
	s_lshl_b64 s[4:5], s[4:5], 2
	s_add_u32 s4, s14, s4
	s_addc_u32 s5, s15, s5
	s_load_dword s28, s[4:5], 0x0
.LBB30_4:
	s_lshl_b32 s2, s3, 6
	s_waitcnt lgkmcnt(0)
	s_cmp_lt_i32 s2, s28
	v_mbcnt_lo_u32_b32 v2, -1, 0
	s_cbranch_scc1 .LBB30_7
; %bb.5:
	v_mbcnt_hi_u32_b32 v25, -1, v2
	v_and_b32_e32 v3, 0x60, v25
	v_add_u32_e32 v47, 32, v3
	v_xor_b32_e32 v56, 16, v25
	v_xor_b32_e32 v53, 8, v25
	;; [unrolled: 1-line block ×5, first 2 shown]
	v_lshlrev_b32_e32 v44, 2, v4
	s_cbranch_execz .LBB30_8
; %bb.6:
	v_mov_b32_e32 v80, 0
	v_mov_b32_e32 v82, 0
	;; [unrolled: 1-line block ×4, first 2 shown]
	s_branch .LBB30_10
.LBB30_7:
                                        ; implicit-def: $vgpr25
                                        ; implicit-def: $vgpr47
                                        ; implicit-def: $vgpr56
                                        ; implicit-def: $vgpr53
                                        ; implicit-def: $vgpr51
                                        ; implicit-def: $vgpr49
                                        ; implicit-def: $vgpr50
	v_lshlrev_b32_e32 v44, 2, v4
.LBB30_8:
	s_sub_i32 s4, 0, s36
	s_mul_i32 s4, s4, s38
	s_mul_hi_u32 s4, s38, s4
	s_add_i32 s38, s38, s4
	s_load_dwordx2 s[4:5], s[0:1], 0x8c
	s_load_dwordx4 s[24:27], s[0:1], 0x98
	s_abs_i32 s14, s29
	s_mul_hi_u32 s15, s14, s38
	s_ashr_i32 s34, s29, 31
	s_waitcnt lgkmcnt(0)
	s_ashr_i32 s11, s4, 2
	s_ashr_i32 s4, s33, 31
	;; [unrolled: 1-line block ×4, first 2 shown]
	s_mul_hi_u32 s35, s24, s33
	s_mul_i32 s38, s24, s4
	s_add_i32 s35, s35, s38
	s_mul_i32 s25, s25, s33
	s_ashr_i32 s37, s37, 31
	s_add_i32 s35, s35, s25
	s_mul_i32 s24, s24, s33
	s_add_u32 s6, s6, s24
	s_mul_i32 s25, s15, s36
	s_addc_u32 s7, s7, s35
	s_sub_i32 s14, s14, s25
	s_xor_b32 s24, s34, s37
	s_add_i32 s25, s15, 1
	s_sub_i32 s34, s14, s36
	s_cmp_ge_u32 s14, s36
	s_cselect_b32 s15, s25, s15
	s_cselect_b32 s14, s34, s14
	s_add_i32 s25, s15, 1
	s_cmp_ge_u32 s14, s36
	s_load_dwordx2 s[20:21], s[0:1], 0xa8
	s_cselect_b32 s14, s25, s15
	s_xor_b32 s14, s14, s24
	s_sub_i32 s24, s14, s24
	s_mul_i32 s5, s24, s5
	s_ashr_i32 s15, s5, 31
	s_add_u32 s14, s6, s5
	s_waitcnt lgkmcnt(0)
	s_mul_hi_u32 s5, s20, s33
	s_mul_i32 s4, s20, s4
	s_addc_u32 s15, s7, s15
	s_add_i32 s4, s5, s4
	s_mul_i32 s5, s21, s33
	s_add_i32 s4, s4, s5
	s_mul_i32 s5, s20, s33
	s_add_u32 s5, s8, s5
	s_mul_i32 s24, s24, s27
	s_addc_u32 s4, s9, s4
	s_ashr_i32 s6, s24, 31
	s_add_u32 s20, s5, s24
	v_lshrrev_b32_e32 v3, 4, v4
	v_and_b32_e32 v6, 60, v44
	s_addc_u32 s21, s4, s6
	v_lshl_add_u32 v3, v0, 1, v3
	v_lshlrev_b32_e32 v26, 2, v6
	s_movk_i32 s4, 0x110
	v_mad_u32_u24 v48, v3, s4, v26
	v_mul_lo_u32 v8, s11, v3
	s_lshl_b32 s4, s11, 3
	v_add_u32_e32 v10, s4, v8
	v_add_u32_e32 v12, s4, v10
	v_add_u32_e32 v14, s4, v12
	v_add_u32_e32 v16, s4, v14
	v_add_u32_e32 v18, s4, v16
	v_add_u32_e32 v20, s4, v18
	v_add_u32_e32 v22, s4, v20
	v_mad_u64_u32 v[24:25], s[4:5], v1, s26, v[4:5]
	v_lshl_or_b32 v64, v3, 8, v26
	v_mul_lo_u32 v26, s10, v3
	s_lshl_b32 s4, s10, 3
	v_add_u32_e32 v28, s4, v26
	v_add_u32_e32 v30, s4, v28
	;; [unrolled: 1-line block ×5, first 2 shown]
	v_mov_b32_e32 v1, 0x4800
	v_add_u32_e32 v38, s4, v36
	v_mbcnt_hi_u32_b32 v25, -1, v2
	v_mov_b32_e32 v7, 0
	v_lshl_add_u32 v62, v0, 7, v1
	v_add_u32_e32 v40, s4, v38
	s_add_u32 s8, s0, 0xd0
	v_and_b32_e32 v0, 0x60, v25
	v_ashrrev_i32_e32 v9, 31, v8
	v_add_u32_e32 v52, 0x880, v48
	v_ashrrev_i32_e32 v11, 31, v10
	v_add_u32_e32 v54, 0x1100, v48
	;; [unrolled: 2-line block ×7, first 2 shown]
	v_ashrrev_i32_e32 v23, 31, v22
	v_mul_u32_u24_e32 v61, 0x110, v4
	v_lshl_add_u32 v63, v4, 1, v62
	v_ashrrev_i32_e32 v27, 31, v26
	v_add_u32_e32 v65, 0x800, v64
	v_ashrrev_i32_e32 v29, 31, v28
	v_add_u32_e32 v66, 0x1000, v64
	;; [unrolled: 2-line block ×7, first 2 shown]
	v_ashrrev_i32_e32 v41, 31, v40
	s_addc_u32 s9, s1, 0
	v_mov_b32_e32 v42, 0xfeffffff
	v_lshlrev_b32_e32 v6, 2, v6
	v_add_u32_e32 v47, 32, v0
	v_xor_b32_e32 v56, 16, v25
	v_xor_b32_e32 v53, 8, v25
	;; [unrolled: 1-line block ×5, first 2 shown]
	s_mov_b32 s24, 0x3fb8aa3b
	s_mov_b32 s25, 0xc2ce8ed0
	;; [unrolled: 1-line block ×3, first 2 shown]
	v_mov_b32_e32 v72, 0x7f800000
	s_mov_b32 s27, 0x10001
	v_add_u32_e32 v73, 0x800, v45
	v_add_u32_e32 v74, 0x1000, v45
	;; [unrolled: 1-line block ×7, first 2 shown]
	v_mov_b32_e32 v81, v7
	v_mov_b32_e32 v80, v7
	;; [unrolled: 1-line block ×3, first 2 shown]
.LBB30_9:                               ; =>This Inner Loop Header: Depth=1
	v_cmp_lt_i32_e32 vcc, v56, v47
	v_mov_b32_e32 v0, v42
	s_mul_hi_i32 s5, s2, s11
	v_cndmask_b32_e32 v3, v25, v56, vcc
	v_cmp_lt_i32_e32 vcc, v53, v47
	s_mul_i32 s4, s2, s11
	s_lshl_b64 s[4:5], s[4:5], 2
	v_cndmask_b32_e32 v42, v25, v53, vcc
	v_cmp_lt_i32_e32 vcc, v51, v47
	v_add_u32_e32 v84, s2, v24
	s_add_u32 s4, s14, s4
	v_cndmask_b32_e32 v83, v25, v51, vcc
	v_cmp_lt_i32_e32 vcc, v49, v47
	v_ashrrev_i32_e32 v85, 31, v84
	s_addc_u32 s5, s15, s5
	v_cndmask_b32_e32 v86, v25, v49, vcc
	v_cmp_lt_i32_e32 vcc, v50, v47
	v_mov_b32_e32 v132, v82
	v_lshlrev_b32_e32 v133, 2, v83
	v_cndmask_b32_e32 v87, v25, v50, vcc
	v_lshlrev_b32_e32 v134, 2, v86
	v_lshlrev_b32_e32 v135, 2, v87
	v_lshl_add_u64 v[114:115], v[84:85], 1, s[30:31]
	v_lshl_add_u64 v[82:83], v[8:9], 2, s[4:5]
	;; [unrolled: 1-line block ×17, first 2 shown]
	global_load_dwordx4 v[82:85], v[106:107], off
	global_load_dwordx4 v[86:89], v[108:109], off
	;; [unrolled: 1-line block ×6, first 2 shown]
                                        ; kill: killed $vgpr110_vgpr111
                                        ; kill: killed $vgpr118_vgpr119
                                        ; kill: killed $vgpr108_vgpr109
                                        ; kill: killed $vgpr116_vgpr117
                                        ; kill: killed $vgpr106_vgpr107
                                        ; kill: killed $vgpr112_vgpr113
	s_nop 0
	global_load_dwordx4 v[106:109], v[120:121], off
	global_load_dwordx4 v[110:113], v[122:123], off
	s_mul_hi_i32 s7, s2, s10
	s_mul_i32 s6, s2, s10
	s_lshl_b64 s[6:7], s[6:7], 2
	s_add_u32 s4, s20, s6
	s_addc_u32 s5, s21, s7
	v_mov_b32_e32 v1, 0
	v_mov_b32_e32 v2, 0
	v_lshl_add_u64 v[116:117], v[26:27], 2, s[4:5]
	v_lshl_add_u64 v[118:119], v[28:29], 2, s[4:5]
	v_lshl_add_u64 v[120:121], v[30:31], 2, s[4:5]
	v_lshl_add_u64 v[116:117], v[116:117], 0, v[6:7]
	v_lshl_add_u64 v[118:119], v[118:119], 0, v[6:7]
	v_lshl_add_u64 v[120:121], v[120:121], 0, v[6:7]
	v_lshlrev_b32_e32 v3, 2, v3
	v_lshlrev_b32_e32 v42, 2, v42
	s_waitcnt vmcnt(7)
	ds_write_b128 v48, v[82:85]
	v_lshl_add_u64 v[82:83], v[32:33], 2, s[4:5]
	v_lshl_add_u64 v[84:85], v[34:35], 2, s[4:5]
	s_waitcnt vmcnt(6)
	ds_write_b128 v52, v[86:89]
	v_lshl_add_u64 v[86:87], v[36:37], 2, s[4:5]
	v_lshl_add_u64 v[88:89], v[38:39], 2, s[4:5]
	;; [unrolled: 4-line block ×3, first 2 shown]
	v_lshl_add_u64 v[124:125], v[84:85], 0, v[6:7]
	v_lshl_add_u64 v[126:127], v[86:87], 0, v[6:7]
	;; [unrolled: 1-line block ×4, first 2 shown]
	s_waitcnt vmcnt(4)
	ds_write_b128 v55, v[94:97]
	s_waitcnt vmcnt(3)
	ds_write_b128 v57, v[98:101]
	;; [unrolled: 2-line block ×5, first 2 shown]
	s_waitcnt lgkmcnt(0)
	s_barrier
	ds_read_b128 v[82:85], v61
	ds_read_b128 v[86:89], v46
	ds_read_b128 v[90:93], v61 offset:8704
	s_waitcnt lgkmcnt(1)
	;;#ASMSTART
	v_dot2_f32_f16 v1, v82, v86, v1
	;;#ASMEND
	s_nop 0
	;;#ASMSTART
	v_dot2_f32_f16 v1, v83, v87, v1
	;;#ASMEND
	s_nop 0
	;;#ASMSTART
	v_dot2_f32_f16 v1, v84, v88, v1
	;;#ASMEND
	s_nop 0
	;;#ASMSTART
	v_dot2_f32_f16 v1, v85, v89, v1
	;;#ASMEND
	s_waitcnt lgkmcnt(0)
	;;#ASMSTART
	v_dot2_f32_f16 v2, v90, v86, v2
	;;#ASMEND
	s_nop 0
	;;#ASMSTART
	v_dot2_f32_f16 v2, v91, v87, v2
	;;#ASMEND
	s_nop 0
	;;#ASMSTART
	v_dot2_f32_f16 v2, v92, v88, v2
	;;#ASMEND
	s_nop 0
	;;#ASMSTART
	v_dot2_f32_f16 v2, v93, v89, v2
	;;#ASMEND
	ds_read_b128 v[82:85], v61 offset:16
	ds_read_b128 v[86:89], v46 offset:16
	ds_read_b128 v[90:93], v61 offset:8720
	s_waitcnt lgkmcnt(1)
	;;#ASMSTART
	v_dot2_f32_f16 v1, v82, v86, v1
	;;#ASMEND
	s_nop 0
	;;#ASMSTART
	v_dot2_f32_f16 v1, v83, v87, v1
	;;#ASMEND
	s_nop 0
	;;#ASMSTART
	v_dot2_f32_f16 v1, v84, v88, v1
	;;#ASMEND
	s_nop 0
	;;#ASMSTART
	v_dot2_f32_f16 v1, v85, v89, v1
	;;#ASMEND
	s_waitcnt lgkmcnt(0)
	;;#ASMSTART
	v_dot2_f32_f16 v2, v90, v86, v2
	;;#ASMEND
	s_nop 0
	;;#ASMSTART
	v_dot2_f32_f16 v2, v91, v87, v2
	;;#ASMEND
	s_nop 0
	;;#ASMSTART
	v_dot2_f32_f16 v2, v92, v88, v2
	;;#ASMEND
	s_nop 0
	;;#ASMSTART
	v_dot2_f32_f16 v2, v93, v89, v2
	;;#ASMEND
	ds_read_b128 v[82:85], v61 offset:32
	ds_read_b128 v[86:89], v46 offset:32
	;; [unrolled: 35-line block ×15, first 2 shown]
	ds_read_b128 v[90:93], v61 offset:8944
	s_waitcnt lgkmcnt(1)
	;;#ASMSTART
	v_dot2_f32_f16 v1, v82, v86, v1
	;;#ASMEND
	s_nop 0
	;;#ASMSTART
	v_dot2_f32_f16 v1, v83, v87, v1
	;;#ASMEND
	s_nop 0
	;; [unrolled: 4-line block ×3, first 2 shown]
	;;#ASMSTART
	v_dot2_f32_f16 v1, v85, v89, v1
	;;#ASMEND
	s_waitcnt lgkmcnt(0)
	;;#ASMSTART
	v_dot2_f32_f16 v2, v90, v86, v2
	;;#ASMEND
	s_nop 0
	;;#ASMSTART
	v_dot2_f32_f16 v2, v91, v87, v2
	;;#ASMEND
	s_nop 0
	;; [unrolled: 4-line block ×3, first 2 shown]
	;;#ASMSTART
	v_dot2_f32_f16 v2, v93, v89, v2
	;;#ASMEND
	global_load_ushort v82, v[114:115], off
	global_load_ushort v83, v[114:115], off offset:64
	s_barrier
	global_load_dwordx4 v[84:87], v[116:117], off
	global_load_dwordx4 v[88:91], v[118:119], off
	;; [unrolled: 1-line block ×6, first 2 shown]
                                        ; kill: killed $vgpr118_vgpr119
                                        ; kill: killed $vgpr126_vgpr127
                                        ; kill: killed $vgpr120_vgpr121
                                        ; kill: killed $vgpr122_vgpr123
                                        ; kill: killed $vgpr116_vgpr117
                                        ; kill: killed $vgpr124_vgpr125
	global_load_dwordx4 v[108:111], v[128:129], off
	global_load_dwordx4 v[112:115], v[130:131], off
	s_waitcnt vmcnt(9)
	v_cvt_f32_f16_e32 v82, v82
	s_waitcnt vmcnt(8)
	v_cvt_f32_f16_e32 v83, v83
	v_add_f32_e32 v1, v1, v82
	v_add_f32_e32 v2, v2, v83
	;; [unrolled: 1-line block ×4, first 2 shown]
	v_max3_f32 v82, v0, v82, v83
	ds_bpermute_b32 v3, v3, v82
	s_waitcnt lgkmcnt(0)
	v_max_f32_e32 v3, v3, v3
	v_max_f32_e32 v3, v82, v3
	ds_bpermute_b32 v42, v42, v3
	s_waitcnt lgkmcnt(0)
	v_max_f32_e32 v42, v42, v42
	v_max_f32_e32 v3, v3, v42
	;; [unrolled: 4-line block ×5, first 2 shown]
	v_sub_f32_e32 v0, v0, v42
	v_sub_f32_e32 v1, v1, v42
	;; [unrolled: 1-line block ×3, first 2 shown]
	v_mul_f32_e32 v3, 0x3fb8aa3b, v1
	v_mul_f32_e32 v82, 0x3fb8aa3b, v2
	;; [unrolled: 1-line block ×3, first 2 shown]
	v_fma_f32 v116, v1, s24, -v3
	v_rndne_f32_e32 v117, v3
	v_fma_f32 v118, v2, s24, -v82
	v_rndne_f32_e32 v119, v82
	;; [unrolled: 2-line block ×3, first 2 shown]
	v_fmac_f32_e32 v116, 0x32a5705f, v1
	v_sub_f32_e32 v3, v3, v117
	v_fmac_f32_e32 v118, 0x32a5705f, v2
	v_sub_f32_e32 v82, v82, v119
	;; [unrolled: 2-line block ×3, first 2 shown]
	v_add_f32_e32 v3, v3, v116
	v_add_f32_e32 v82, v82, v118
	;; [unrolled: 1-line block ×3, first 2 shown]
	v_cvt_i32_f32_e32 v117, v117
	v_cvt_i32_f32_e32 v119, v119
	;; [unrolled: 1-line block ×3, first 2 shown]
	v_exp_f32_e32 v3, v3
	v_exp_f32_e32 v82, v82
	;; [unrolled: 1-line block ×3, first 2 shown]
	v_cmp_ngt_f32_e32 vcc, s25, v2
	v_ldexp_f32 v3, v3, v117
	v_ldexp_f32 v82, v82, v119
	;; [unrolled: 1-line block ×3, first 2 shown]
	v_cmp_ngt_f32_e64 s[4:5], s25, v0
	v_cmp_ngt_f32_e64 s[6:7], s25, v1
	v_cndmask_b32_e32 v82, 0, v82, vcc
	v_cmp_nlt_f32_e32 vcc, s26, v2
	v_cndmask_b32_e64 v3, 0, v3, s[6:7]
	v_cndmask_b32_e64 v2, 0, v83, s[4:5]
	v_cmp_nlt_f32_e64 s[4:5], s26, v0
	v_cmp_nlt_f32_e64 s[6:7], s26, v1
	v_cndmask_b32_e32 v1, v72, v82, vcc
	v_cndmask_b32_e64 v2, v72, v2, s[4:5]
	v_cndmask_b32_e64 v0, v72, v3, s[6:7]
	v_cvt_f16_f32_e32 v3, v0
	v_add_f32_e32 v82, v0, v1
	v_cvt_f16_f32_e32 v0, v2
	v_cvt_f16_f32_e32 v1, v1
	v_fmac_f32_e32 v82, v132, v2
	ds_write_b16 v63, v3
	ds_write_b16 v63, v1 offset:64
	s_waitcnt vmcnt(7)
	ds_write_b128 v64, v[84:87]
	s_waitcnt vmcnt(6)
	ds_write_b128 v65, v[88:91]
	s_waitcnt vmcnt(5)
	ds_write_b128 v66, v[92:95]
	s_waitcnt vmcnt(4)
	ds_write_b128 v67, v[96:99]
	s_waitcnt vmcnt(3)
	ds_write_b128 v68, v[100:103]
	s_waitcnt vmcnt(2)
	ds_write_b128 v69, v[104:107]
	s_waitcnt vmcnt(1)
	ds_write_b128 v70, v[108:111]
	s_waitcnt vmcnt(0)
	ds_write_b128 v71, v[112:115]
	v_mul_u32_u24_e32 v83, 0x10001, v0
	s_waitcnt lgkmcnt(0)
	s_barrier
	ds_read2_b64 v[84:87], v45 offset1:32
	ds_read_b128 v[88:91], v62
	ds_read_b128 v[92:95], v62 offset:16
	ds_read_b128 v[96:99], v62 offset:32
	;; [unrolled: 1-line block ×3, first 2 shown]
	ds_read2_b64 v[100:103], v45 offset0:64 offset1:96
	ds_read2_b64 v[104:107], v45 offset0:128 offset1:160
	;; [unrolled: 1-line block ×3, first 2 shown]
	ds_read2_b64 v[112:115], v73 offset1:32
	ds_read2_b64 v[116:119], v73 offset0:64 offset1:96
	ds_read2_b64 v[120:123], v73 offset0:128 offset1:160
	s_waitcnt lgkmcnt(9)
	v_mul_u32_u24_sdwa v124, v88, s27 dst_sel:DWORD dst_unused:UNUSED_PAD src0_sel:WORD_0 src1_sel:DWORD
	v_pk_mul_f16 v84, v84, v124
	v_pk_mul_f16 v85, v85, v124
	v_pk_fma_f16 v81, v81, v83, v84
	v_mul_u32_u24_sdwa v84, v88, s27 dst_sel:DWORD dst_unused:UNUSED_PAD src0_sel:WORD_1 src1_sel:DWORD
	v_pk_fma_f16 v80, v80, v83, v85
	v_pk_fma_f16 v81, v86, v84, v81
	;; [unrolled: 1-line block ×3, first 2 shown]
	v_mul_u32_u24_sdwa v83, v89, s27 dst_sel:DWORD dst_unused:UNUSED_PAD src0_sel:WORD_0 src1_sel:DWORD
	v_mul_u32_u24_sdwa v88, v89, s27 dst_sel:DWORD dst_unused:UNUSED_PAD src0_sel:WORD_1 src1_sel:DWORD
	s_waitcnt lgkmcnt(5)
	v_pk_fma_f16 v81, v100, v83, v81
	v_pk_fma_f16 v80, v101, v83, v80
	;; [unrolled: 1-line block ×4, first 2 shown]
	v_mul_u32_u24_sdwa v83, v90, s27 dst_sel:DWORD dst_unused:UNUSED_PAD src0_sel:WORD_0 src1_sel:DWORD
	v_mul_u32_u24_sdwa v124, v90, s27 dst_sel:DWORD dst_unused:UNUSED_PAD src0_sel:WORD_1 src1_sel:DWORD
	s_waitcnt lgkmcnt(4)
	v_pk_fma_f16 v81, v104, v83, v81
	v_pk_fma_f16 v80, v105, v83, v80
	v_mul_u32_u24_sdwa v125, v91, s27 dst_sel:DWORD dst_unused:UNUSED_PAD src0_sel:WORD_0 src1_sel:DWORD
	v_pk_fma_f16 v81, v106, v124, v81
	v_pk_fma_f16 v80, v107, v124, v80
	v_mul_u32_u24_sdwa v126, v91, s27 dst_sel:DWORD dst_unused:UNUSED_PAD src0_sel:WORD_1 src1_sel:DWORD
	s_waitcnt lgkmcnt(3)
	v_pk_fma_f16 v81, v108, v125, v81
	v_pk_fma_f16 v80, v109, v125, v80
	;; [unrolled: 1-line block ×4, first 2 shown]
	v_mul_u32_u24_sdwa v83, v92, s27 dst_sel:DWORD dst_unused:UNUSED_PAD src0_sel:WORD_0 src1_sel:DWORD
	v_mul_u32_u24_sdwa v92, v92, s27 dst_sel:DWORD dst_unused:UNUSED_PAD src0_sel:WORD_1 src1_sel:DWORD
	s_waitcnt lgkmcnt(2)
	v_pk_fma_f16 v81, v112, v83, v81
	v_pk_fma_f16 v80, v113, v83, v80
	ds_read2_b64 v[84:87], v73 offset0:192 offset1:224
	v_pk_fma_f16 v81, v114, v92, v81
	v_pk_fma_f16 v80, v115, v92, v80
	v_mul_u32_u24_sdwa v83, v93, s27 dst_sel:DWORD dst_unused:UNUSED_PAD src0_sel:WORD_0 src1_sel:DWORD
	v_mul_u32_u24_sdwa v92, v93, s27 dst_sel:DWORD dst_unused:UNUSED_PAD src0_sel:WORD_1 src1_sel:DWORD
	s_waitcnt lgkmcnt(2)
	v_pk_fma_f16 v81, v116, v83, v81
	v_pk_fma_f16 v80, v117, v83, v80
	ds_read2_b64 v[100:103], v74 offset1:32
	v_pk_fma_f16 v81, v118, v92, v81
	v_pk_fma_f16 v80, v119, v92, v80
	v_mul_u32_u24_sdwa v83, v94, s27 dst_sel:DWORD dst_unused:UNUSED_PAD src0_sel:WORD_0 src1_sel:DWORD
	v_mul_u32_u24_sdwa v124, v94, s27 dst_sel:DWORD dst_unused:UNUSED_PAD src0_sel:WORD_1 src1_sel:DWORD
	s_waitcnt lgkmcnt(2)
	v_pk_fma_f16 v81, v120, v83, v81
	v_pk_fma_f16 v80, v121, v83, v80
	ds_read2_b64 v[88:91], v74 offset0:64 offset1:96
	v_mul_u32_u24_sdwa v125, v95, s27 dst_sel:DWORD dst_unused:UNUSED_PAD src0_sel:WORD_0 src1_sel:DWORD
	v_pk_fma_f16 v81, v122, v124, v81
	v_pk_fma_f16 v80, v123, v124, v80
	v_mul_u32_u24_sdwa v126, v95, s27 dst_sel:DWORD dst_unused:UNUSED_PAD src0_sel:WORD_1 src1_sel:DWORD
	s_waitcnt lgkmcnt(2)
	v_pk_fma_f16 v81, v84, v125, v81
	v_pk_fma_f16 v80, v85, v125, v80
	ds_read2_b64 v[104:107], v74 offset0:128 offset1:160
	v_pk_fma_f16 v81, v86, v126, v81
	v_pk_fma_f16 v80, v87, v126, v80
	v_mul_u32_u24_sdwa v83, v96, s27 dst_sel:DWORD dst_unused:UNUSED_PAD src0_sel:WORD_0 src1_sel:DWORD
	v_mul_u32_u24_sdwa v96, v96, s27 dst_sel:DWORD dst_unused:UNUSED_PAD src0_sel:WORD_1 src1_sel:DWORD
	s_waitcnt lgkmcnt(2)
	v_pk_fma_f16 v81, v100, v83, v81
	v_pk_fma_f16 v80, v101, v83, v80
	ds_read2_b64 v[108:111], v74 offset0:192 offset1:224
	v_pk_fma_f16 v81, v102, v96, v81
	v_pk_fma_f16 v80, v103, v96, v80
	v_mul_u32_u24_sdwa v83, v97, s27 dst_sel:DWORD dst_unused:UNUSED_PAD src0_sel:WORD_0 src1_sel:DWORD
	v_mul_u32_u24_sdwa v96, v97, s27 dst_sel:DWORD dst_unused:UNUSED_PAD src0_sel:WORD_1 src1_sel:DWORD
	s_waitcnt lgkmcnt(2)
	v_pk_fma_f16 v81, v88, v83, v81
	v_pk_fma_f16 v80, v89, v83, v80
	ds_read2_b64 v[112:115], v75 offset1:32
	v_pk_fma_f16 v81, v90, v96, v81
	v_pk_fma_f16 v80, v91, v96, v80
	v_mul_u32_u24_sdwa v83, v98, s27 dst_sel:DWORD dst_unused:UNUSED_PAD src0_sel:WORD_0 src1_sel:DWORD
	v_mul_u32_u24_sdwa v124, v98, s27 dst_sel:DWORD dst_unused:UNUSED_PAD src0_sel:WORD_1 src1_sel:DWORD
	s_waitcnt lgkmcnt(2)
	v_pk_fma_f16 v81, v104, v83, v81
	v_pk_fma_f16 v80, v105, v83, v80
	ds_read2_b64 v[116:119], v75 offset0:64 offset1:96
	v_mul_u32_u24_sdwa v125, v99, s27 dst_sel:DWORD dst_unused:UNUSED_PAD src0_sel:WORD_0 src1_sel:DWORD
	v_pk_fma_f16 v81, v106, v124, v81
	v_pk_fma_f16 v80, v107, v124, v80
	v_mul_u32_u24_sdwa v126, v99, s27 dst_sel:DWORD dst_unused:UNUSED_PAD src0_sel:WORD_1 src1_sel:DWORD
	s_waitcnt lgkmcnt(2)
	v_pk_fma_f16 v81, v108, v125, v81
	v_pk_fma_f16 v80, v109, v125, v80
	ds_read2_b64 v[92:95], v75 offset0:128 offset1:160
	v_pk_fma_f16 v81, v110, v126, v81
	v_pk_fma_f16 v80, v111, v126, v80
	v_mul_u32_u24_sdwa v83, v0, s27 dst_sel:DWORD dst_unused:UNUSED_PAD src0_sel:WORD_0 src1_sel:DWORD
	v_mul_u32_u24_sdwa v0, v0, s27 dst_sel:DWORD dst_unused:UNUSED_PAD src0_sel:WORD_1 src1_sel:DWORD
	s_waitcnt lgkmcnt(2)
	v_pk_fma_f16 v81, v112, v83, v81
	v_pk_fma_f16 v80, v113, v83, v80
	ds_read2_b64 v[120:123], v75 offset0:192 offset1:224
	v_pk_fma_f16 v81, v114, v0, v81
	v_pk_fma_f16 v0, v115, v0, v80
	v_mul_u32_u24_sdwa v80, v1, s27 dst_sel:DWORD dst_unused:UNUSED_PAD src0_sel:WORD_0 src1_sel:DWORD
	ds_read_b128 v[100:103], v62 offset:64
	ds_read_b128 v[112:115], v62 offset:80
	v_mul_u32_u24_sdwa v1, v1, s27 dst_sel:DWORD dst_unused:UNUSED_PAD src0_sel:WORD_1 src1_sel:DWORD
	s_waitcnt lgkmcnt(4)
	v_pk_fma_f16 v81, v116, v80, v81
	v_pk_fma_f16 v0, v117, v80, v0
	ds_read2_b64 v[84:87], v76 offset1:32
	v_pk_fma_f16 v80, v118, v1, v81
	v_pk_fma_f16 v0, v119, v1, v0
	v_mul_u32_u24_sdwa v1, v2, s27 dst_sel:DWORD dst_unused:UNUSED_PAD src0_sel:WORD_0 src1_sel:DWORD
	v_mul_u32_u24_sdwa v81, v2, s27 dst_sel:DWORD dst_unused:UNUSED_PAD src0_sel:WORD_1 src1_sel:DWORD
	s_waitcnt lgkmcnt(4)
	v_pk_fma_f16 v80, v92, v1, v80
	v_pk_fma_f16 v92, v93, v1, v0
	ds_read2_b64 v[88:91], v76 offset0:64 offset1:96
	v_mul_u32_u24_sdwa v83, v3, s27 dst_sel:DWORD dst_unused:UNUSED_PAD src0_sel:WORD_0 src1_sel:DWORD
	v_pk_fma_f16 v80, v94, v81, v80
	v_pk_fma_f16 v81, v95, v81, v92
	v_mul_u32_u24_sdwa v124, v3, s27 dst_sel:DWORD dst_unused:UNUSED_PAD src0_sel:WORD_1 src1_sel:DWORD
	s_waitcnt lgkmcnt(4)
	v_pk_fma_f16 v80, v120, v83, v80
	v_pk_fma_f16 v81, v121, v83, v81
	ds_read2_b64 v[96:99], v76 offset0:128 offset1:160
	v_pk_fma_f16 v80, v122, v124, v80
	v_pk_fma_f16 v81, v123, v124, v81
	s_waitcnt lgkmcnt(4)
	v_mul_u32_u24_sdwa v83, v100, s27 dst_sel:DWORD dst_unused:UNUSED_PAD src0_sel:WORD_0 src1_sel:DWORD
	v_mul_u32_u24_sdwa v100, v100, s27 dst_sel:DWORD dst_unused:UNUSED_PAD src0_sel:WORD_1 src1_sel:DWORD
	s_waitcnt lgkmcnt(2)
	v_pk_fma_f16 v80, v84, v83, v80
	v_pk_fma_f16 v81, v85, v83, v81
	ds_read2_b64 v[104:107], v76 offset0:192 offset1:224
	v_pk_fma_f16 v80, v86, v100, v80
	v_pk_fma_f16 v81, v87, v100, v81
	v_mul_u32_u24_sdwa v83, v101, s27 dst_sel:DWORD dst_unused:UNUSED_PAD src0_sel:WORD_0 src1_sel:DWORD
	v_mul_u32_u24_sdwa v100, v101, s27 dst_sel:DWORD dst_unused:UNUSED_PAD src0_sel:WORD_1 src1_sel:DWORD
	s_waitcnt lgkmcnt(2)
	v_pk_fma_f16 v80, v88, v83, v80
	v_pk_fma_f16 v81, v89, v83, v81
	ds_read2_b64 v[108:111], v77 offset1:32
	v_pk_fma_f16 v80, v90, v100, v80
	v_pk_fma_f16 v81, v91, v100, v81
	v_mul_u32_u24_sdwa v83, v102, s27 dst_sel:DWORD dst_unused:UNUSED_PAD src0_sel:WORD_0 src1_sel:DWORD
	v_mul_u32_u24_sdwa v124, v102, s27 dst_sel:DWORD dst_unused:UNUSED_PAD src0_sel:WORD_1 src1_sel:DWORD
	s_waitcnt lgkmcnt(2)
	v_pk_fma_f16 v80, v96, v83, v80
	v_pk_fma_f16 v81, v97, v83, v81
	ds_read2_b64 v[116:119], v77 offset0:64 offset1:96
	v_mul_u32_u24_sdwa v125, v103, s27 dst_sel:DWORD dst_unused:UNUSED_PAD src0_sel:WORD_0 src1_sel:DWORD
	v_pk_fma_f16 v80, v98, v124, v80
	v_pk_fma_f16 v81, v99, v124, v81
	v_mul_u32_u24_sdwa v126, v103, s27 dst_sel:DWORD dst_unused:UNUSED_PAD src0_sel:WORD_1 src1_sel:DWORD
	s_waitcnt lgkmcnt(2)
	v_pk_fma_f16 v80, v104, v125, v80
	v_pk_fma_f16 v81, v105, v125, v81
	ds_read2_b64 v[0:3], v77 offset0:128 offset1:160
	v_mul_u32_u24_sdwa v83, v112, s27 dst_sel:DWORD dst_unused:UNUSED_PAD src0_sel:WORD_0 src1_sel:DWORD
	v_pk_fma_f16 v80, v106, v126, v80
	v_pk_fma_f16 v81, v107, v126, v81
	;; [unrolled: 8-line block ×3, first 2 shown]
	ds_read_b128 v[84:87], v62 offset:96
	ds_read_b128 v[108:111], v62 offset:112
	v_mul_u32_u24_sdwa v113, v113, s27 dst_sel:DWORD dst_unused:UNUSED_PAD src0_sel:WORD_1 src1_sel:DWORD
	s_waitcnt lgkmcnt(4)
	v_pk_fma_f16 v80, v116, v124, v80
	v_pk_fma_f16 v81, v117, v124, v81
	ds_read2_b64 v[120:123], v78 offset1:32
	v_mul_u32_u24_sdwa v125, v114, s27 dst_sel:DWORD dst_unused:UNUSED_PAD src0_sel:WORD_0 src1_sel:DWORD
	v_pk_fma_f16 v80, v118, v113, v80
	v_pk_fma_f16 v81, v119, v113, v81
	v_mul_u32_u24_sdwa v114, v114, s27 dst_sel:DWORD dst_unused:UNUSED_PAD src0_sel:WORD_1 src1_sel:DWORD
	s_waitcnt lgkmcnt(4)
	v_pk_fma_f16 v0, v0, v125, v80
	v_pk_fma_f16 v1, v1, v125, v81
	ds_read2_b64 v[88:91], v78 offset0:64 offset1:96
	v_mul_u32_u24_sdwa v126, v115, s27 dst_sel:DWORD dst_unused:UNUSED_PAD src0_sel:WORD_0 src1_sel:DWORD
	v_pk_fma_f16 v80, v2, v114, v0
	v_pk_fma_f16 v81, v3, v114, v1
	v_mul_u32_u24_sdwa v115, v115, s27 dst_sel:DWORD dst_unused:UNUSED_PAD src0_sel:WORD_1 src1_sel:DWORD
	s_waitcnt lgkmcnt(4)
	v_pk_fma_f16 v80, v92, v126, v80
	v_pk_fma_f16 v81, v93, v126, v81
	ds_read2_b64 v[100:103], v78 offset0:128 offset1:160
	s_waitcnt lgkmcnt(4)
	v_mul_u32_u24_sdwa v83, v84, s27 dst_sel:DWORD dst_unused:UNUSED_PAD src0_sel:WORD_0 src1_sel:DWORD
	v_pk_fma_f16 v80, v94, v115, v80
	v_pk_fma_f16 v81, v95, v115, v81
	v_mul_u32_u24_sdwa v112, v84, s27 dst_sel:DWORD dst_unused:UNUSED_PAD src0_sel:WORD_1 src1_sel:DWORD
	s_waitcnt lgkmcnt(2)
	v_pk_fma_f16 v80, v120, v83, v80
	v_pk_fma_f16 v81, v121, v83, v81
	ds_read2_b64 v[96:99], v78 offset0:192 offset1:224
	v_mul_u32_u24_sdwa v113, v85, s27 dst_sel:DWORD dst_unused:UNUSED_PAD src0_sel:WORD_0 src1_sel:DWORD
	v_pk_fma_f16 v80, v122, v112, v80
	v_pk_fma_f16 v81, v123, v112, v81
	v_mul_u32_u24_sdwa v116, v85, s27 dst_sel:DWORD dst_unused:UNUSED_PAD src0_sel:WORD_1 src1_sel:DWORD
	s_waitcnt lgkmcnt(2)
	v_pk_fma_f16 v80, v88, v113, v80
	v_pk_fma_f16 v81, v89, v113, v81
	ds_read2_b64 v[104:107], v79 offset1:32
	v_mul_u32_u24_sdwa v117, v86, s27 dst_sel:DWORD dst_unused:UNUSED_PAD src0_sel:WORD_0 src1_sel:DWORD
	v_pk_fma_f16 v80, v90, v116, v80
	v_pk_fma_f16 v81, v91, v116, v81
	v_mul_u32_u24_sdwa v118, v86, s27 dst_sel:DWORD dst_unused:UNUSED_PAD src0_sel:WORD_1 src1_sel:DWORD
	s_waitcnt lgkmcnt(2)
	v_pk_fma_f16 v80, v100, v117, v80
	v_pk_fma_f16 v81, v101, v117, v81
	v_mul_u32_u24_sdwa v119, v87, s27 dst_sel:DWORD dst_unused:UNUSED_PAD src0_sel:WORD_0 src1_sel:DWORD
	v_mul_u32_u24_sdwa v124, v87, s27 dst_sel:DWORD dst_unused:UNUSED_PAD src0_sel:WORD_1 src1_sel:DWORD
	ds_read2_b64 v[84:87], v79 offset0:64 offset1:96
	v_pk_fma_f16 v80, v102, v118, v80
	v_pk_fma_f16 v81, v103, v118, v81
	s_waitcnt lgkmcnt(2)
	v_pk_fma_f16 v80, v96, v119, v80
	v_pk_fma_f16 v81, v97, v119, v81
	ds_read2_b64 v[0:3], v79 offset0:128 offset1:160
	v_mul_u32_u24_sdwa v114, v108, s27 dst_sel:DWORD dst_unused:UNUSED_PAD src0_sel:WORD_0 src1_sel:DWORD
	v_pk_fma_f16 v80, v98, v124, v80
	v_pk_fma_f16 v81, v99, v124, v81
	v_mul_u32_u24_sdwa v108, v108, s27 dst_sel:DWORD dst_unused:UNUSED_PAD src0_sel:WORD_1 src1_sel:DWORD
	ds_read2_b64 v[92:95], v79 offset0:192 offset1:224
	s_waitcnt lgkmcnt(0)
	s_barrier
	s_load_dword s4, s[8:9], 0x4
	v_pk_fma_f16 v80, v104, v114, v80
	v_pk_fma_f16 v81, v105, v114, v81
	v_mul_u32_u24_sdwa v115, v109, s27 dst_sel:DWORD dst_unused:UNUSED_PAD src0_sel:WORD_0 src1_sel:DWORD
	v_pk_fma_f16 v80, v106, v108, v80
	v_pk_fma_f16 v81, v107, v108, v81
	v_mul_u32_u24_sdwa v109, v109, s27 dst_sel:DWORD dst_unused:UNUSED_PAD src0_sel:WORD_1 src1_sel:DWORD
	v_pk_fma_f16 v80, v84, v115, v80
	v_pk_fma_f16 v81, v85, v115, v81
	v_mul_u32_u24_sdwa v125, v110, s27 dst_sel:DWORD dst_unused:UNUSED_PAD src0_sel:WORD_0 src1_sel:DWORD
	v_pk_fma_f16 v80, v86, v109, v80
	v_pk_fma_f16 v81, v87, v109, v81
	v_mul_u32_u24_sdwa v110, v110, s27 dst_sel:DWORD dst_unused:UNUSED_PAD src0_sel:WORD_1 src1_sel:DWORD
	v_pk_fma_f16 v0, v0, v125, v80
	v_pk_fma_f16 v1, v1, v125, v81
	v_mul_u32_u24_sdwa v126, v111, s27 dst_sel:DWORD dst_unused:UNUSED_PAD src0_sel:WORD_0 src1_sel:DWORD
	s_waitcnt lgkmcnt(0)
	s_lshl_b32 s4, s4, 6
	v_pk_fma_f16 v0, v2, v110, v0
	v_pk_fma_f16 v1, v3, v110, v1
	v_mul_u32_u24_sdwa v111, v111, s27 dst_sel:DWORD dst_unused:UNUSED_PAD src0_sel:WORD_1 src1_sel:DWORD
	s_add_i32 s2, s4, s2
	v_pk_fma_f16 v0, v92, v126, v0
	v_pk_fma_f16 v1, v93, v126, v1
	s_cmp_ge_i32 s2, s28
	v_pk_fma_f16 v81, v94, v111, v0
	v_pk_fma_f16 v80, v95, v111, v1
	s_cbranch_scc0 .LBB30_9
.LBB30_10:
	v_cmp_lt_i32_e32 vcc, v56, v47
	s_cmp_lg_u64 s[12:13], 0
	s_cselect_b64 s[4:5], -1, 0
	v_cndmask_b32_e32 v0, v25, v56, vcc
	v_lshlrev_b32_e32 v0, 2, v0
	ds_bpermute_b32 v0, v0, v82
	v_cmp_lt_i32_e32 vcc, v53, v47
	s_cmp_eq_u32 s3, 0
	s_cselect_b64 s[6:7], -1, 0
	v_cndmask_b32_e32 v1, v25, v53, vcc
	v_lshlrev_b32_e32 v1, 2, v1
	s_waitcnt lgkmcnt(0)
	v_add_f32_e32 v0, v82, v0
	ds_bpermute_b32 v1, v1, v0
	v_cmp_lt_i32_e32 vcc, v51, v47
	s_and_b64 s[4:5], s[6:7], s[4:5]
	s_waitcnt lgkmcnt(0)
	v_add_f32_e32 v0, v0, v1
	v_cndmask_b32_e32 v2, v25, v51, vcc
	v_lshlrev_b32_e32 v2, 2, v2
	ds_bpermute_b32 v1, v2, v0
	v_cmp_lt_i32_e32 vcc, v49, v47
	s_waitcnt lgkmcnt(0)
	v_add_f32_e32 v1, v0, v1
	v_cndmask_b32_e32 v2, v25, v49, vcc
	v_lshlrev_b32_e32 v2, 2, v2
	ds_bpermute_b32 v2, v2, v1
	v_cmp_lt_i32_e32 vcc, v50, v47
	v_add_u32_e32 v0, s29, v43
	s_waitcnt lgkmcnt(0)
	v_add_f32_e32 v1, v1, v2
	v_cndmask_b32_e32 v3, v25, v50, vcc
	v_lshlrev_b32_e32 v3, 2, v3
	ds_bpermute_b32 v2, v3, v1
	s_and_b64 vcc, exec, s[4:5]
	s_waitcnt lgkmcnt(0)
	v_add_f32_e32 v43, v1, v2
	s_cbranch_vccz .LBB30_12
; %bb.11:
	v_ashrrev_i32_e32 v1, 31, v0
	v_lshl_add_u64 v[2:3], v[0:1], 2, s[12:13]
	global_load_dword v1, v[2:3], off
	v_max_f32_e32 v2, v42, v42
	s_mov_b32 s2, 0x3fb8aa3b
	s_mov_b32 s4, 0xc2ce8ed0
	s_waitcnt vmcnt(0)
	v_max_f32_e32 v3, v1, v1
	v_max_f32_e32 v2, v2, v3
	v_sub_f32_e32 v3, v42, v2
	v_sub_f32_e32 v1, v1, v2
	v_mul_f32_e32 v6, 0x3fb8aa3b, v3
	v_mul_f32_e32 v7, 0x3fb8aa3b, v1
	v_fma_f32 v8, v3, s2, -v6
	v_rndne_f32_e32 v9, v6
	v_fma_f32 v10, v1, s2, -v7
	v_rndne_f32_e32 v11, v7
	v_fmac_f32_e32 v8, 0x32a5705f, v3
	v_sub_f32_e32 v6, v6, v9
	v_fmac_f32_e32 v10, 0x32a5705f, v1
	v_sub_f32_e32 v7, v7, v11
	v_add_f32_e32 v6, v6, v8
	v_cvt_i32_f32_e32 v9, v9
	v_add_f32_e32 v7, v7, v10
	v_exp_f32_e32 v6, v6
	v_cvt_i32_f32_e32 v11, v11
	v_exp_f32_e32 v7, v7
	v_cmp_ngt_f32_e32 vcc, s4, v3
	v_ldexp_f32 v6, v6, v9
	s_mov_b32 s2, 0x42b17218
	v_ldexp_f32 v7, v7, v11
	v_cndmask_b32_e32 v6, 0, v6, vcc
	v_cmp_ngt_f32_e32 vcc, s4, v1
	v_mov_b32_e32 v8, 0x7f800000
	s_nop 0
	v_cndmask_b32_e32 v7, 0, v7, vcc
	v_cmp_nlt_f32_e32 vcc, s2, v3
	s_nop 1
	v_cndmask_b32_e32 v6, v8, v6, vcc
	v_cvt_f16_f32_e32 v9, v6
	v_cmp_nlt_f32_e32 vcc, s2, v1
	v_mul_u32_u24_e32 v1, 0x10001, v9
	s_nop 0
	v_cndmask_b32_e32 v3, v8, v7, vcc
	v_fmac_f32_e32 v3, v43, v6
	v_pk_mul_f16 v81, v81, v1
	v_pk_mul_f16 v80, v80, v1
	v_mov_b64_e32 v[42:43], v[2:3]
	s_branch .LBB30_13
.LBB30_12:
	v_mov_b32_e32 v3, v43
.LBB30_13:
	s_load_dword s2, s[0:1], 0xd4
	v_div_scale_f32 v1, s[0:1], v3, v3, 1.0
	v_rcp_f32_e32 v2, v1
	s_mul_i32 s33, s33, s22
	s_waitcnt lgkmcnt(0)
	s_cmp_lg_u32 s2, 1
	s_cselect_b64 s[0:1], -1, 0
	v_fma_f32 v8, -v1, v2, 1.0
	v_fmac_f32_e32 v2, v8, v2
	v_div_scale_f32 v8, vcc, 1.0, v3, 1.0
	v_mul_f32_e32 v9, v8, v2
	v_fma_f32 v10, -v1, v9, v8
	v_fmac_f32_e32 v9, v10, v2
	v_fma_f32 v1, -v1, v9, v8
	v_div_fmas_f32 v1, v1, v2, v9
	v_div_fixup_f32 v1, v1, v3, 1.0
	v_cndmask_b32_e64 v8, v1, 1.0, s[0:1]
	v_add_u32_e32 v1, s33, v5
	v_mad_u64_u32 v[0:1], s[4:5], v1, s23, v[0:1]
	v_cmp_eq_u32_e32 vcc, 0, v4
	v_cvt_f32_f16_sdwa v5, v81 dst_sel:DWORD dst_unused:UNUSED_PAD src0_sel:WORD_1
	v_cvt_f32_f16_e32 v4, v81
	v_cvt_f32_f16_sdwa v11, v80 dst_sel:DWORD dst_unused:UNUSED_PAD src0_sel:WORD_1
	v_cvt_f32_f16_e32 v10, v80
	v_mul_lo_u32 v0, s2, v0
	v_add_u32_e32 v0, s3, v0
	v_mov_b32_e32 v6, s16
	v_mov_b32_e32 v7, s17
	v_lshl_add_u32 v2, v0, 7, v44
	v_mov_b32_e32 v3, 0
	v_lshl_add_u64 v[6:7], v[2:3], 2, v[6:7]
	s_and_b64 s[0:1], vcc, s[0:1]
	v_pk_mul_f32 v[2:3], v[8:9], v[4:5] op_sel_hi:[0,1]
	v_pk_mul_f32 v[4:5], v[8:9], v[10:11] op_sel_hi:[0,1]
	global_store_dwordx4 v[6:7], v[2:5], off
	s_and_saveexec_b64 s[2:3], s[0:1]
	s_cbranch_execz .LBB30_15
; %bb.14:
	v_mov_b32_e32 v2, s18
	v_mov_b32_e32 v3, s19
	v_ashrrev_i32_e32 v1, 31, v0
	v_lshl_add_u64 v[0:1], v[0:1], 3, v[2:3]
	global_store_dwordx2 v[0:1], v[42:43], off
.LBB30_15:
	s_endpgm
	.section	.rodata,"a",@progbits
	.p2align	6, 0x0
	.amdhsa_kernel _ZL15flash_attn_tileILi128ELi128ELi1ELi4ELb0EEvPKcS1_S1_S1_S1_PKiPfP15HIP_vector_typeIfLj2EEffffjfiS5_IjLj3EEiiiiiiiiiiiliiliiiiil
		.amdhsa_group_segment_fixed_size 18944
		.amdhsa_private_segment_fixed_size 0
		.amdhsa_kernarg_size 464
		.amdhsa_user_sgpr_count 2
		.amdhsa_user_sgpr_dispatch_ptr 0
		.amdhsa_user_sgpr_queue_ptr 0
		.amdhsa_user_sgpr_kernarg_segment_ptr 1
		.amdhsa_user_sgpr_dispatch_id 0
		.amdhsa_user_sgpr_kernarg_preload_length 0
		.amdhsa_user_sgpr_kernarg_preload_offset 0
		.amdhsa_user_sgpr_private_segment_size 0
		.amdhsa_uses_dynamic_stack 0
		.amdhsa_enable_private_segment 0
		.amdhsa_system_sgpr_workgroup_id_x 1
		.amdhsa_system_sgpr_workgroup_id_y 1
		.amdhsa_system_sgpr_workgroup_id_z 1
		.amdhsa_system_sgpr_workgroup_info 0
		.amdhsa_system_vgpr_workitem_id 1
		.amdhsa_next_free_vgpr 136
		.amdhsa_next_free_sgpr 96
		.amdhsa_accum_offset 136
		.amdhsa_reserve_vcc 1
		.amdhsa_float_round_mode_32 0
		.amdhsa_float_round_mode_16_64 0
		.amdhsa_float_denorm_mode_32 3
		.amdhsa_float_denorm_mode_16_64 3
		.amdhsa_dx10_clamp 1
		.amdhsa_ieee_mode 1
		.amdhsa_fp16_overflow 0
		.amdhsa_tg_split 0
		.amdhsa_exception_fp_ieee_invalid_op 0
		.amdhsa_exception_fp_denorm_src 0
		.amdhsa_exception_fp_ieee_div_zero 0
		.amdhsa_exception_fp_ieee_overflow 0
		.amdhsa_exception_fp_ieee_underflow 0
		.amdhsa_exception_fp_ieee_inexact 0
		.amdhsa_exception_int_div_zero 0
	.end_amdhsa_kernel
	.section	.text._ZL15flash_attn_tileILi128ELi128ELi1ELi4ELb0EEvPKcS1_S1_S1_S1_PKiPfP15HIP_vector_typeIfLj2EEffffjfiS5_IjLj3EEiiiiiiiiiiiliiliiiiil,"axG",@progbits,_ZL15flash_attn_tileILi128ELi128ELi1ELi4ELb0EEvPKcS1_S1_S1_S1_PKiPfP15HIP_vector_typeIfLj2EEffffjfiS5_IjLj3EEiiiiiiiiiiiliiliiiiil,comdat
.Lfunc_end30:
	.size	_ZL15flash_attn_tileILi128ELi128ELi1ELi4ELb0EEvPKcS1_S1_S1_S1_PKiPfP15HIP_vector_typeIfLj2EEffffjfiS5_IjLj3EEiiiiiiiiiiiliiliiiiil, .Lfunc_end30-_ZL15flash_attn_tileILi128ELi128ELi1ELi4ELb0EEvPKcS1_S1_S1_S1_PKiPfP15HIP_vector_typeIfLj2EEffffjfiS5_IjLj3EEiiiiiiiiiiiliiliiiiil
                                        ; -- End function
	.set _ZL15flash_attn_tileILi128ELi128ELi1ELi4ELb0EEvPKcS1_S1_S1_S1_PKiPfP15HIP_vector_typeIfLj2EEffffjfiS5_IjLj3EEiiiiiiiiiiiliiliiiiil.num_vgpr, 136
	.set _ZL15flash_attn_tileILi128ELi128ELi1ELi4ELb0EEvPKcS1_S1_S1_S1_PKiPfP15HIP_vector_typeIfLj2EEffffjfiS5_IjLj3EEiiiiiiiiiiiliiliiiiil.num_agpr, 0
	.set _ZL15flash_attn_tileILi128ELi128ELi1ELi4ELb0EEvPKcS1_S1_S1_S1_PKiPfP15HIP_vector_typeIfLj2EEffffjfiS5_IjLj3EEiiiiiiiiiiiliiliiiiil.numbered_sgpr, 39
	.set _ZL15flash_attn_tileILi128ELi128ELi1ELi4ELb0EEvPKcS1_S1_S1_S1_PKiPfP15HIP_vector_typeIfLj2EEffffjfiS5_IjLj3EEiiiiiiiiiiiliiliiiiil.num_named_barrier, 0
	.set _ZL15flash_attn_tileILi128ELi128ELi1ELi4ELb0EEvPKcS1_S1_S1_S1_PKiPfP15HIP_vector_typeIfLj2EEffffjfiS5_IjLj3EEiiiiiiiiiiiliiliiiiil.private_seg_size, 0
	.set _ZL15flash_attn_tileILi128ELi128ELi1ELi4ELb0EEvPKcS1_S1_S1_S1_PKiPfP15HIP_vector_typeIfLj2EEffffjfiS5_IjLj3EEiiiiiiiiiiiliiliiiiil.uses_vcc, 1
	.set _ZL15flash_attn_tileILi128ELi128ELi1ELi4ELb0EEvPKcS1_S1_S1_S1_PKiPfP15HIP_vector_typeIfLj2EEffffjfiS5_IjLj3EEiiiiiiiiiiiliiliiiiil.uses_flat_scratch, 0
	.set _ZL15flash_attn_tileILi128ELi128ELi1ELi4ELb0EEvPKcS1_S1_S1_S1_PKiPfP15HIP_vector_typeIfLj2EEffffjfiS5_IjLj3EEiiiiiiiiiiiliiliiiiil.has_dyn_sized_stack, 0
	.set _ZL15flash_attn_tileILi128ELi128ELi1ELi4ELb0EEvPKcS1_S1_S1_S1_PKiPfP15HIP_vector_typeIfLj2EEffffjfiS5_IjLj3EEiiiiiiiiiiiliiliiiiil.has_recursion, 0
	.set _ZL15flash_attn_tileILi128ELi128ELi1ELi4ELb0EEvPKcS1_S1_S1_S1_PKiPfP15HIP_vector_typeIfLj2EEffffjfiS5_IjLj3EEiiiiiiiiiiiliiliiiiil.has_indirect_call, 0
	.section	.AMDGPU.csdata,"",@progbits
; Kernel info:
; codeLenInByte = 8568
; TotalNumSgprs: 45
; NumVgprs: 136
; NumAgprs: 0
; TotalNumVgprs: 136
; ScratchSize: 0
; MemoryBound: 0
; FloatMode: 240
; IeeeMode: 1
; LDSByteSize: 18944 bytes/workgroup (compile time only)
; SGPRBlocks: 12
; VGPRBlocks: 16
; NumSGPRsForWavesPerEU: 102
; NumVGPRsForWavesPerEU: 136
; AccumOffset: 136
; Occupancy: 3
; WaveLimiterHint : 1
; COMPUTE_PGM_RSRC2:SCRATCH_EN: 0
; COMPUTE_PGM_RSRC2:USER_SGPR: 2
; COMPUTE_PGM_RSRC2:TRAP_HANDLER: 0
; COMPUTE_PGM_RSRC2:TGID_X_EN: 1
; COMPUTE_PGM_RSRC2:TGID_Y_EN: 1
; COMPUTE_PGM_RSRC2:TGID_Z_EN: 1
; COMPUTE_PGM_RSRC2:TIDIG_COMP_CNT: 1
; COMPUTE_PGM_RSRC3_GFX90A:ACCUM_OFFSET: 33
; COMPUTE_PGM_RSRC3_GFX90A:TG_SPLIT: 0
	.section	.text._ZL33flash_attn_stream_k_fixup_uniformILi128ELi1ELi4EEvPfPK15HIP_vector_typeIfLj2EEiiiiiiS1_IjLj3EES5_S5_,"axG",@progbits,_ZL33flash_attn_stream_k_fixup_uniformILi128ELi1ELi4EEvPfPK15HIP_vector_typeIfLj2EEiiiiiiS1_IjLj3EES5_S5_,comdat
	.globl	_ZL33flash_attn_stream_k_fixup_uniformILi128ELi1ELi4EEvPfPK15HIP_vector_typeIfLj2EEiiiiiiS1_IjLj3EES5_S5_ ; -- Begin function _ZL33flash_attn_stream_k_fixup_uniformILi128ELi1ELi4EEvPfPK15HIP_vector_typeIfLj2EEiiiiiiS1_IjLj3EES5_S5_
	.p2align	8
	.type	_ZL33flash_attn_stream_k_fixup_uniformILi128ELi1ELi4EEvPfPK15HIP_vector_typeIfLj2EEiiiiiiS1_IjLj3EES5_S5_,@function
_ZL33flash_attn_stream_k_fixup_uniformILi128ELi1ELi4EEvPfPK15HIP_vector_typeIfLj2EEiiiiiiS1_IjLj3EES5_S5_: ; @_ZL33flash_attn_stream_k_fixup_uniformILi128ELi1ELi4EEvPfPK15HIP_vector_typeIfLj2EEiiiiiiS1_IjLj3EES5_S5_
; %bb.0:
	s_load_dwordx8 s[8:15], s[0:1], 0x1c
	s_load_dwordx2 s[6:7], s[0:1], 0x10
	s_load_dwordx4 s[16:19], s[0:1], 0x3c
	s_waitcnt lgkmcnt(0)
	s_mul_hi_u32 s5, s11, s2
	s_add_i32 s5, s2, s5
	s_lshr_b32 s5, s5, s12
	s_mul_i32 s11, s5, s13
	s_sub_i32 s12, s2, s11
	s_mul_hi_u32 s11, s12, s14
	s_add_i32 s11, s12, s11
	s_lshr_b32 s11, s11, s15
	s_mul_i32 s13, s11, s16
	s_sub_i32 s12, s12, s13
	;; [unrolled: 5-line block ×3, first 2 shown]
	s_lshl_b32 s16, s13, 2
	s_add_i32 s17, s17, s3
	s_cmp_lt_i32 s17, s6
	s_cselect_b64 s[12:13], -1, 0
	s_add_i32 s16, s16, s4
	s_cmp_lt_i32 s16, s9
	s_cselect_b64 s[14:15], -1, 0
	s_and_b64 s[12:13], s[12:13], s[14:15]
	s_andn2_b64 vcc, exec, s[12:13]
	s_cbranch_vccnz .LBB31_6
; %bb.1:
	s_load_dwordx4 s[12:15], s[0:1], 0x0
	s_mul_i32 s5, s5, s6
	s_mul_i32 s11, s11, s9
	s_add_i32 s0, s17, s5
	s_mul_i32 s0, s0, s7
	s_add_i32 s1, s16, s11
	s_add_i32 s1, s1, s0
	v_lshl_or_b32 v4, s1, 7, v0
	s_waitcnt lgkmcnt(0)
	v_mov_b32_e32 v2, s12
	v_mov_b32_e32 v3, s13
	v_ashrrev_i32_e32 v5, 31, v4
	v_lshl_add_u64 v[2:3], v[4:5], 2, v[2:3]
	global_load_dword v5, v[2:3], off
	s_mul_i32 s9, s10, s2
	s_add_i32 s5, s9, s10
	s_add_i32 s0, s3, s5
	s_lshl_b32 s0, s0, 2
	s_add_i32 s0, s0, s4
	s_add_i32 s0, s0, -4
	s_ashr_i32 s1, s0, 31
	s_lshl_b64 s[0:1], s[0:1], 3
	s_add_u32 s0, s14, s0
	s_addc_u32 s1, s15, s1
	s_load_dword s12, s[0:1], 0x4
	s_add_i32 s6, s5, -2
	s_cmp_lt_i32 s6, s9
	s_cbranch_scc1 .LBB31_4
; %bb.2:
	s_lshl_b32 s6, s8, 4
	s_ashr_i32 s7, s6, 31
	s_lshl_b64 s[6:7], s[6:7], 2
	s_add_u32 s6, s14, s6
	s_addc_u32 s7, s15, s7
	s_load_dword s0, s[0:1], 0x0
	s_add_i32 s2, s2, 1
	s_lshl_b32 s1, s4, 7
	s_add_i32 s8, s3, s8
	s_mul_i32 s2, s10, s2
	s_lshl_b32 s3, s3, 9
	s_add_i32 s8, s8, s5
	s_lshl_b32 s2, s2, 9
	s_add_i32 s1, s1, s3
	s_add_i32 s11, s5, -1
	s_lshl_b32 s5, s8, 2
	s_add_i32 s1, s1, s2
	s_add_i32 s4, s4, s5
	v_or_b32_e32 v0, s1, v0
	s_add_i32 s4, s4, -8
	v_add_u32_e32 v0, 0xfffffc00, v0
	s_waitcnt lgkmcnt(0)
	v_mov_b32_e32 v7, s0
	v_mov_b32_e32 v4, s12
	s_mov_b32 s2, 0x3fb8aa3b
	s_mov_b32 s3, 0xc2ce8ed0
	;; [unrolled: 1-line block ×3, first 2 shown]
	v_mov_b32_e32 v6, 0x7f800000
	s_mov_b32 s10, 0xc1a00000
.LBB31_3:                               ; =>This Inner Loop Header: Depth=1
	v_ashrrev_i32_e32 v1, 31, v0
	v_lshl_add_u64 v[8:9], v[0:1], 2, s[6:7]
	global_load_dword v9, v[8:9], off
	s_ashr_i32 s5, s4, 31
	s_lshl_b64 s[0:1], s[4:5], 3
	s_add_u32 s0, s14, s0
	s_addc_u32 s1, s15, s1
	s_load_dwordx2 s[0:1], s[0:1], 0x0
	v_max_f32_e32 v1, v7, v7
	s_add_i32 s11, s11, -1
	s_add_i32 s4, s4, -4
	v_add_u32_e32 v0, 0xfffffe00, v0
	s_waitcnt lgkmcnt(0)
	v_max_f32_e64 v10, s0, s0
	v_max_f32_e32 v1, v1, v10
	v_sub_f32_e32 v11, s0, v1
	v_sub_f32_e32 v10, v7, v1
	v_mul_f32_e32 v12, 0x3fb8aa3b, v11
	v_mov_b32_e32 v7, v1
	v_mul_f32_e32 v1, 0x3fb8aa3b, v10
	v_fma_f32 v15, v11, s2, -v12
	v_rndne_f32_e32 v16, v12
	v_fma_f32 v13, v10, s2, -v1
	v_rndne_f32_e32 v14, v1
	v_fmac_f32_e32 v15, 0x32a5705f, v11
	v_sub_f32_e32 v12, v12, v16
	v_fmac_f32_e32 v13, 0x32a5705f, v10
	v_sub_f32_e32 v1, v1, v14
	v_add_f32_e32 v12, v12, v15
	v_cvt_i32_f32_e32 v16, v16
	v_add_f32_e32 v1, v1, v13
	v_exp_f32_e32 v12, v12
	v_cvt_i32_f32_e32 v14, v14
	v_exp_f32_e32 v1, v1
	v_cmp_ngt_f32_e32 vcc, s3, v11
	v_ldexp_f32 v12, v12, v16
	v_mov_b32_e32 v8, s1
	v_ldexp_f32 v1, v1, v14
	v_cmp_ngt_f32_e64 s[0:1], s3, v10
	v_cndmask_b32_e32 v12, 0, v12, vcc
	v_cmp_nlt_f32_e32 vcc, s8, v11
	v_cndmask_b32_e64 v1, 0, v1, s[0:1]
	v_cmp_nlt_f32_e64 s[0:1], s8, v10
	v_cndmask_b32_e32 v12, v6, v12, vcc
	v_cmp_le_f32_e32 vcc, s10, v11
	v_cndmask_b32_e64 v1, v6, v1, s[0:1]
	v_cmp_le_f32_e64 s[0:1], s10, v10
	v_cndmask_b32_e32 v12, 0, v12, vcc
	s_cmp_le_i32 s11, s9
	v_cndmask_b32_e64 v10, 0, v1, s[0:1]
	s_waitcnt vmcnt(0)
	v_pk_mul_f32 v[8:9], v[8:9], v[12:13] op_sel_hi:[1,0]
	s_nop 0
	v_pk_fma_f32 v[4:5], v[4:5], v[10:11], v[8:9] op_sel_hi:[1,0,1]
	s_cbranch_scc0 .LBB31_3
	s_branch .LBB31_5
.LBB31_4:
	s_waitcnt lgkmcnt(0)
	v_mov_b32_e32 v4, s12
.LBB31_5:
	s_waitcnt vmcnt(0)
	v_div_scale_f32 v0, s[0:1], v4, v4, v5
	v_rcp_f32_e32 v1, v0
	v_div_scale_f32 v6, vcc, v5, v4, v5
	v_fma_f32 v7, -v0, v1, 1.0
	v_fmac_f32_e32 v1, v7, v1
	v_mul_f32_e32 v7, v6, v1
	v_fma_f32 v8, -v0, v7, v6
	v_fmac_f32_e32 v7, v8, v1
	v_fma_f32 v0, -v0, v7, v6
	v_div_fmas_f32 v0, v0, v1, v7
	v_div_fixup_f32 v0, v0, v4, v5
	global_store_dword v[2:3], v0, off
.LBB31_6:
	s_endpgm
	.section	.rodata,"a",@progbits
	.p2align	6, 0x0
	.amdhsa_kernel _ZL33flash_attn_stream_k_fixup_uniformILi128ELi1ELi4EEvPfPK15HIP_vector_typeIfLj2EEiiiiiiS1_IjLj3EES5_S5_
		.amdhsa_group_segment_fixed_size 0
		.amdhsa_private_segment_fixed_size 0
		.amdhsa_kernarg_size 76
		.amdhsa_user_sgpr_count 2
		.amdhsa_user_sgpr_dispatch_ptr 0
		.amdhsa_user_sgpr_queue_ptr 0
		.amdhsa_user_sgpr_kernarg_segment_ptr 1
		.amdhsa_user_sgpr_dispatch_id 0
		.amdhsa_user_sgpr_kernarg_preload_length 0
		.amdhsa_user_sgpr_kernarg_preload_offset 0
		.amdhsa_user_sgpr_private_segment_size 0
		.amdhsa_uses_dynamic_stack 0
		.amdhsa_enable_private_segment 0
		.amdhsa_system_sgpr_workgroup_id_x 1
		.amdhsa_system_sgpr_workgroup_id_y 1
		.amdhsa_system_sgpr_workgroup_id_z 1
		.amdhsa_system_sgpr_workgroup_info 0
		.amdhsa_system_vgpr_workitem_id 0
		.amdhsa_next_free_vgpr 17
		.amdhsa_next_free_sgpr 20
		.amdhsa_accum_offset 20
		.amdhsa_reserve_vcc 1
		.amdhsa_float_round_mode_32 0
		.amdhsa_float_round_mode_16_64 0
		.amdhsa_float_denorm_mode_32 3
		.amdhsa_float_denorm_mode_16_64 3
		.amdhsa_dx10_clamp 1
		.amdhsa_ieee_mode 1
		.amdhsa_fp16_overflow 0
		.amdhsa_tg_split 0
		.amdhsa_exception_fp_ieee_invalid_op 0
		.amdhsa_exception_fp_denorm_src 0
		.amdhsa_exception_fp_ieee_div_zero 0
		.amdhsa_exception_fp_ieee_overflow 0
		.amdhsa_exception_fp_ieee_underflow 0
		.amdhsa_exception_fp_ieee_inexact 0
		.amdhsa_exception_int_div_zero 0
	.end_amdhsa_kernel
	.section	.text._ZL33flash_attn_stream_k_fixup_uniformILi128ELi1ELi4EEvPfPK15HIP_vector_typeIfLj2EEiiiiiiS1_IjLj3EES5_S5_,"axG",@progbits,_ZL33flash_attn_stream_k_fixup_uniformILi128ELi1ELi4EEvPfPK15HIP_vector_typeIfLj2EEiiiiiiS1_IjLj3EES5_S5_,comdat
.Lfunc_end31:
	.size	_ZL33flash_attn_stream_k_fixup_uniformILi128ELi1ELi4EEvPfPK15HIP_vector_typeIfLj2EEiiiiiiS1_IjLj3EES5_S5_, .Lfunc_end31-_ZL33flash_attn_stream_k_fixup_uniformILi128ELi1ELi4EEvPfPK15HIP_vector_typeIfLj2EEiiiiiiS1_IjLj3EES5_S5_
                                        ; -- End function
	.set _ZL33flash_attn_stream_k_fixup_uniformILi128ELi1ELi4EEvPfPK15HIP_vector_typeIfLj2EEiiiiiiS1_IjLj3EES5_S5_.num_vgpr, 17
	.set _ZL33flash_attn_stream_k_fixup_uniformILi128ELi1ELi4EEvPfPK15HIP_vector_typeIfLj2EEiiiiiiS1_IjLj3EES5_S5_.num_agpr, 0
	.set _ZL33flash_attn_stream_k_fixup_uniformILi128ELi1ELi4EEvPfPK15HIP_vector_typeIfLj2EEiiiiiiS1_IjLj3EES5_S5_.numbered_sgpr, 20
	.set _ZL33flash_attn_stream_k_fixup_uniformILi128ELi1ELi4EEvPfPK15HIP_vector_typeIfLj2EEiiiiiiS1_IjLj3EES5_S5_.num_named_barrier, 0
	.set _ZL33flash_attn_stream_k_fixup_uniformILi128ELi1ELi4EEvPfPK15HIP_vector_typeIfLj2EEiiiiiiS1_IjLj3EES5_S5_.private_seg_size, 0
	.set _ZL33flash_attn_stream_k_fixup_uniformILi128ELi1ELi4EEvPfPK15HIP_vector_typeIfLj2EEiiiiiiS1_IjLj3EES5_S5_.uses_vcc, 1
	.set _ZL33flash_attn_stream_k_fixup_uniformILi128ELi1ELi4EEvPfPK15HIP_vector_typeIfLj2EEiiiiiiS1_IjLj3EES5_S5_.uses_flat_scratch, 0
	.set _ZL33flash_attn_stream_k_fixup_uniformILi128ELi1ELi4EEvPfPK15HIP_vector_typeIfLj2EEiiiiiiS1_IjLj3EES5_S5_.has_dyn_sized_stack, 0
	.set _ZL33flash_attn_stream_k_fixup_uniformILi128ELi1ELi4EEvPfPK15HIP_vector_typeIfLj2EEiiiiiiS1_IjLj3EES5_S5_.has_recursion, 0
	.set _ZL33flash_attn_stream_k_fixup_uniformILi128ELi1ELi4EEvPfPK15HIP_vector_typeIfLj2EEiiiiiiS1_IjLj3EES5_S5_.has_indirect_call, 0
	.section	.AMDGPU.csdata,"",@progbits
; Kernel info:
; codeLenInByte = 808
; TotalNumSgprs: 26
; NumVgprs: 17
; NumAgprs: 0
; TotalNumVgprs: 17
; ScratchSize: 0
; MemoryBound: 0
; FloatMode: 240
; IeeeMode: 1
; LDSByteSize: 0 bytes/workgroup (compile time only)
; SGPRBlocks: 3
; VGPRBlocks: 2
; NumSGPRsForWavesPerEU: 26
; NumVGPRsForWavesPerEU: 17
; AccumOffset: 20
; Occupancy: 8
; WaveLimiterHint : 0
; COMPUTE_PGM_RSRC2:SCRATCH_EN: 0
; COMPUTE_PGM_RSRC2:USER_SGPR: 2
; COMPUTE_PGM_RSRC2:TRAP_HANDLER: 0
; COMPUTE_PGM_RSRC2:TGID_X_EN: 1
; COMPUTE_PGM_RSRC2:TGID_Y_EN: 1
; COMPUTE_PGM_RSRC2:TGID_Z_EN: 1
; COMPUTE_PGM_RSRC2:TIDIG_COMP_CNT: 0
; COMPUTE_PGM_RSRC3_GFX90A:ACCUM_OFFSET: 4
; COMPUTE_PGM_RSRC3_GFX90A:TG_SPLIT: 0
	.section	.text._ZL33flash_attn_stream_k_fixup_generalILi128ELi1ELi4EEvPfPK15HIP_vector_typeIfLj2EEiiiiS1_IjLj3EES5_S5_S5_,"axG",@progbits,_ZL33flash_attn_stream_k_fixup_generalILi128ELi1ELi4EEvPfPK15HIP_vector_typeIfLj2EEiiiiS1_IjLj3EES5_S5_S5_,comdat
	.globl	_ZL33flash_attn_stream_k_fixup_generalILi128ELi1ELi4EEvPfPK15HIP_vector_typeIfLj2EEiiiiS1_IjLj3EES5_S5_S5_ ; -- Begin function _ZL33flash_attn_stream_k_fixup_generalILi128ELi1ELi4EEvPfPK15HIP_vector_typeIfLj2EEiiiiS1_IjLj3EES5_S5_S5_
	.p2align	8
	.type	_ZL33flash_attn_stream_k_fixup_generalILi128ELi1ELi4EEvPfPK15HIP_vector_typeIfLj2EEiiiiS1_IjLj3EES5_S5_S5_,@function
_ZL33flash_attn_stream_k_fixup_generalILi128ELi1ELi4EEvPfPK15HIP_vector_typeIfLj2EEiiiiS1_IjLj3EES5_S5_S5_: ; @_ZL33flash_attn_stream_k_fixup_generalILi128ELi1ELi4EEvPfPK15HIP_vector_typeIfLj2EEiiiiS1_IjLj3EES5_S5_S5_
; %bb.0:
	s_load_dwordx4 s[8:11], s[0:1], 0x10
	s_load_dword s5, s[0:1], 0x50
	s_mov_b32 s12, 0
	s_waitcnt lgkmcnt(0)
	s_mul_hi_i32 s13, s11, s2
	s_cmp_lg_u64 s[12:13], 0
	s_mul_i32 s18, s11, s2
	s_cbranch_scc0 .LBB32_20
; %bb.1:
	s_add_u32 s6, s5, 0
	s_addc_u32 s7, 0, 0
	s_xor_b64 s[6:7], s[6:7], 0
	v_cvt_f32_u32_e32 v1, s6
	v_cvt_f32_u32_e32 v2, s7
	s_sub_u32 s12, 0, s6
	s_subb_u32 s19, 0, s7
	v_fmamk_f32 v1, v2, 0x4f800000, v1
	v_rcp_f32_e32 v1, v1
	s_nop 0
	v_mul_f32_e32 v1, 0x5f7ffffc, v1
	v_mul_f32_e32 v2, 0x2f800000, v1
	v_trunc_f32_e32 v2, v2
	v_fmamk_f32 v1, v2, 0xcf800000, v1
	v_cvt_u32_f32_e32 v2, v2
	v_cvt_u32_f32_e32 v1, v1
	v_readfirstlane_b32 s20, v2
	v_readfirstlane_b32 s14, v1
	s_mul_i32 s15, s12, s20
	s_mul_hi_u32 s22, s12, s14
	s_mul_i32 s21, s19, s14
	s_add_i32 s15, s22, s15
	s_add_i32 s15, s15, s21
	s_mul_i32 s23, s12, s14
	s_mul_i32 s22, s14, s15
	s_mul_hi_u32 s24, s14, s23
	s_mul_hi_u32 s21, s14, s15
	s_add_u32 s22, s24, s22
	s_addc_u32 s21, 0, s21
	s_mul_hi_u32 s25, s20, s23
	s_mul_i32 s23, s20, s23
	s_add_u32 s22, s22, s23
	s_mul_hi_u32 s24, s20, s15
	s_addc_u32 s21, s21, s25
	s_addc_u32 s22, s24, 0
	s_mul_i32 s15, s20, s15
	s_add_u32 s15, s21, s15
	s_addc_u32 s21, 0, s22
	s_add_u32 s22, s14, s15
	s_cselect_b64 s[14:15], -1, 0
	s_cmp_lg_u64 s[14:15], 0
	s_addc_u32 s20, s20, s21
	s_mul_i32 s14, s12, s20
	s_mul_hi_u32 s15, s12, s22
	s_add_i32 s14, s15, s14
	s_mul_i32 s19, s19, s22
	s_add_i32 s14, s14, s19
	s_mul_i32 s12, s12, s22
	s_mul_hi_u32 s19, s20, s12
	s_mul_i32 s21, s20, s12
	s_mul_i32 s24, s22, s14
	s_mul_hi_u32 s12, s22, s12
	s_mul_hi_u32 s23, s22, s14
	s_add_u32 s12, s12, s24
	s_addc_u32 s23, 0, s23
	s_add_u32 s12, s12, s21
	s_mul_hi_u32 s15, s20, s14
	s_addc_u32 s12, s23, s19
	s_addc_u32 s15, s15, 0
	s_mul_i32 s14, s20, s14
	s_add_u32 s12, s12, s14
	s_addc_u32 s19, 0, s15
	s_add_u32 s21, s22, s12
	s_cselect_b64 s[14:15], -1, 0
	s_cmp_lg_u64 s[14:15], 0
	s_addc_u32 s19, s20, s19
	s_ashr_i32 s14, s13, 31
	s_add_u32 s12, s18, s14
	s_mov_b32 s15, s14
	s_addc_u32 s13, s13, s14
	s_xor_b64 s[12:13], s[12:13], s[14:15]
	s_mul_i32 s22, s12, s19
	s_mul_hi_u32 s23, s12, s21
	s_mul_hi_u32 s20, s12, s19
	s_add_u32 s22, s23, s22
	s_addc_u32 s20, 0, s20
	s_mul_hi_u32 s24, s13, s21
	s_mul_i32 s21, s13, s21
	s_add_u32 s21, s22, s21
	s_mul_hi_u32 s23, s13, s19
	s_addc_u32 s20, s20, s24
	s_addc_u32 s21, s23, 0
	s_mul_i32 s19, s13, s19
	s_add_u32 s19, s20, s19
	s_addc_u32 s24, 0, s21
	s_mul_i32 s20, s6, s24
	s_mul_hi_u32 s21, s6, s19
	s_add_i32 s20, s21, s20
	s_mul_i32 s21, s7, s19
	s_add_i32 s25, s20, s21
	s_sub_i32 s22, s13, s25
	s_mul_i32 s20, s6, s19
	s_sub_u32 s12, s12, s20
	s_cselect_b64 s[20:21], -1, 0
	s_cmp_lg_u64 s[20:21], 0
	s_subb_u32 s26, s22, s7
	s_sub_u32 s27, s12, s6
	s_cselect_b64 s[22:23], -1, 0
	s_cmp_lg_u64 s[22:23], 0
	s_subb_u32 s22, s26, 0
	s_cmp_ge_u32 s22, s7
	s_cselect_b32 s23, -1, 0
	s_cmp_ge_u32 s27, s6
	s_cselect_b32 s26, -1, 0
	s_cmp_eq_u32 s22, s7
	s_cselect_b32 s22, s26, s23
	s_add_u32 s23, s19, 1
	s_addc_u32 s26, s24, 0
	s_add_u32 s27, s19, 2
	s_addc_u32 s28, s24, 0
	s_cmp_lg_u32 s22, 0
	s_cselect_b32 s22, s27, s23
	s_cselect_b32 s23, s28, s26
	s_cmp_lg_u64 s[20:21], 0
	s_subb_u32 s13, s13, s25
	s_cmp_ge_u32 s13, s7
	s_cselect_b32 s20, -1, 0
	s_cmp_ge_u32 s12, s6
	s_cselect_b32 s6, -1, 0
	s_cmp_eq_u32 s13, s7
	s_cselect_b32 s6, s6, s20
	s_cmp_lg_u32 s6, 0
	s_cselect_b32 s7, s23, s24
	s_cselect_b32 s6, s22, s19
	s_xor_b64 s[12:13], s[14:15], 0
	s_xor_b64 s[6:7], s[6:7], s[12:13]
	s_sub_u32 s6, s6, s12
	s_load_dwordx4 s[12:15], s[0:1], 0x44
	s_cbranch_execnz .LBB32_3
.LBB32_2:
	v_cvt_f32_u32_e32 v1, s5
	s_sub_i32 s6, 0, s5
	v_rcp_iflag_f32_e32 v1, v1
	s_nop 0
	v_mul_f32_e32 v1, 0x4f7ffffe, v1
	v_cvt_u32_f32_e32 v1, v1
	s_nop 0
	v_readfirstlane_b32 s7, v1
	s_mul_i32 s6, s6, s7
	s_mul_hi_u32 s6, s7, s6
	s_add_i32 s7, s7, s6
	s_mul_hi_u32 s6, s18, s7
	s_waitcnt lgkmcnt(0)
	s_mul_i32 s15, s6, s5
	s_sub_i32 s15, s18, s15
	s_add_i32 s7, s6, 1
	s_sub_i32 s16, s15, s5
	s_cmp_ge_u32 s15, s5
	s_cselect_b32 s6, s7, s6
	s_cselect_b32 s15, s16, s15
	s_add_i32 s7, s6, 1
	s_cmp_ge_u32 s15, s5
	s_cselect_b32 s6, s7, s6
.LBB32_3:
	s_add_i32 s7, s2, 1
	s_mul_hi_i32 s21, s11, s7
	s_mov_b32 s20, 0
	s_cmp_lg_u64 s[20:21], 0
	s_mul_i32 s7, s11, s7
	s_cbranch_scc0 .LBB32_21
; %bb.4:
	s_add_u32 s16, s5, 0
	s_addc_u32 s17, 0, 0
	s_xor_b64 s[18:19], s[16:17], 0
	v_cvt_f32_u32_e32 v1, s18
	v_cvt_f32_u32_e32 v2, s19
	s_waitcnt lgkmcnt(0)
	s_sub_u32 s15, 0, s18
	s_subb_u32 s20, 0, s19
	v_fmamk_f32 v1, v2, 0x4f800000, v1
	v_rcp_f32_e32 v1, v1
	s_nop 0
	v_mul_f32_e32 v1, 0x5f7ffffc, v1
	v_mul_f32_e32 v2, 0x2f800000, v1
	v_trunc_f32_e32 v2, v2
	v_fmamk_f32 v1, v2, 0xcf800000, v1
	v_cvt_u32_f32_e32 v2, v2
	v_cvt_u32_f32_e32 v1, v1
	v_readfirstlane_b32 s24, v2
	v_readfirstlane_b32 s22, v1
	s_mul_i32 s23, s15, s24
	s_mul_hi_u32 s26, s15, s22
	s_mul_i32 s25, s20, s22
	s_add_i32 s23, s26, s23
	s_add_i32 s23, s23, s25
	s_mul_i32 s27, s15, s22
	s_mul_i32 s26, s22, s23
	s_mul_hi_u32 s28, s22, s27
	s_mul_hi_u32 s25, s22, s23
	s_add_u32 s26, s28, s26
	s_addc_u32 s25, 0, s25
	s_mul_hi_u32 s29, s24, s27
	s_mul_i32 s27, s24, s27
	s_add_u32 s26, s26, s27
	s_mul_hi_u32 s28, s24, s23
	s_addc_u32 s25, s25, s29
	s_addc_u32 s26, s28, 0
	s_mul_i32 s23, s24, s23
	s_add_u32 s23, s25, s23
	s_addc_u32 s25, 0, s26
	s_add_u32 s26, s22, s23
	s_cselect_b64 s[22:23], -1, 0
	s_cmp_lg_u64 s[22:23], 0
	s_addc_u32 s24, s24, s25
	s_mul_i32 s22, s15, s24
	s_mul_hi_u32 s23, s15, s26
	s_add_i32 s22, s23, s22
	s_mul_i32 s20, s20, s26
	s_add_i32 s22, s22, s20
	s_mul_i32 s15, s15, s26
	s_mul_hi_u32 s23, s24, s15
	s_mul_i32 s25, s24, s15
	s_mul_i32 s28, s26, s22
	s_mul_hi_u32 s15, s26, s15
	s_mul_hi_u32 s27, s26, s22
	s_add_u32 s15, s15, s28
	s_addc_u32 s27, 0, s27
	s_add_u32 s15, s15, s25
	s_mul_hi_u32 s20, s24, s22
	s_addc_u32 s15, s27, s23
	s_addc_u32 s20, s20, 0
	s_mul_i32 s22, s24, s22
	s_add_u32 s15, s15, s22
	s_addc_u32 s20, 0, s20
	s_add_u32 s15, s26, s15
	s_cselect_b64 s[22:23], -1, 0
	s_cmp_lg_u64 s[22:23], 0
	s_addc_u32 s24, s24, s20
	s_ashr_i32 s22, s21, 31
	s_add_u32 s20, s7, s22
	s_mov_b32 s23, s22
	s_addc_u32 s21, s21, s22
	s_xor_b64 s[20:21], s[20:21], s[22:23]
	s_mul_i32 s26, s20, s24
	s_mul_hi_u32 s27, s20, s15
	s_mul_hi_u32 s25, s20, s24
	s_add_u32 s26, s27, s26
	s_addc_u32 s25, 0, s25
	s_mul_hi_u32 s28, s21, s15
	s_mul_i32 s15, s21, s15
	s_add_u32 s15, s26, s15
	s_mul_hi_u32 s27, s21, s24
	s_addc_u32 s15, s25, s28
	s_addc_u32 s25, s27, 0
	s_mul_i32 s24, s21, s24
	s_add_u32 s15, s15, s24
	s_addc_u32 s28, 0, s25
	s_mul_i32 s24, s18, s28
	s_mul_hi_u32 s25, s18, s15
	s_add_i32 s24, s25, s24
	s_mul_i32 s25, s19, s15
	s_add_i32 s29, s24, s25
	s_sub_i32 s26, s21, s29
	s_mul_i32 s24, s18, s15
	s_sub_u32 s20, s20, s24
	s_cselect_b64 s[24:25], -1, 0
	s_cmp_lg_u64 s[24:25], 0
	s_subb_u32 s30, s26, s19
	s_sub_u32 s31, s20, s18
	s_cselect_b64 s[26:27], -1, 0
	s_cmp_lg_u64 s[26:27], 0
	s_subb_u32 s26, s30, 0
	s_cmp_ge_u32 s26, s19
	s_cselect_b32 s27, -1, 0
	s_cmp_ge_u32 s31, s18
	s_cselect_b32 s30, -1, 0
	s_cmp_eq_u32 s26, s19
	s_cselect_b32 s26, s30, s27
	s_add_u32 s27, s15, 1
	s_addc_u32 s30, s28, 0
	s_add_u32 s31, s15, 2
	s_addc_u32 s33, s28, 0
	s_cmp_lg_u32 s26, 0
	s_cselect_b32 s26, s31, s27
	s_cselect_b32 s27, s33, s30
	s_cmp_lg_u64 s[24:25], 0
	s_subb_u32 s21, s21, s29
	s_cmp_ge_u32 s21, s19
	s_cselect_b32 s24, -1, 0
	s_cmp_ge_u32 s20, s18
	s_cselect_b32 s18, -1, 0
	s_cmp_eq_u32 s21, s19
	s_cselect_b32 s18, s18, s24
	s_cmp_lg_u32 s18, 0
	s_cselect_b32 s19, s27, s28
	s_cselect_b32 s18, s26, s15
	s_xor_b64 s[20:21], s[22:23], 0
	s_xor_b64 s[18:19], s[18:19], s[20:21]
	s_sub_u32 s18, s18, s20
	s_cbranch_execnz .LBB32_6
.LBB32_5:
	v_cvt_f32_u32_e32 v1, s5
	s_waitcnt lgkmcnt(0)
	s_sub_i32 s15, 0, s5
	v_rcp_iflag_f32_e32 v1, v1
	s_nop 0
	v_mul_f32_e32 v1, 0x4f7ffffe, v1
	v_cvt_u32_f32_e32 v1, v1
	s_nop 0
	v_readfirstlane_b32 s16, v1
	s_mul_i32 s15, s15, s16
	s_mul_hi_u32 s15, s16, s15
	s_add_i32 s16, s16, s15
	s_mul_hi_u32 s15, s7, s16
	s_mul_i32 s17, s15, s5
	s_sub_i32 s7, s7, s17
	s_add_i32 s16, s15, 1
	s_sub_i32 s17, s7, s5
	s_cmp_ge_u32 s7, s5
	s_cselect_b32 s15, s16, s15
	s_cselect_b32 s7, s17, s7
	s_add_i32 s16, s15, 1
	s_cmp_ge_u32 s7, s5
	s_cselect_b32 s18, s16, s15
.LBB32_6:
	s_cmp_eq_u32 s6, s18
	s_waitcnt lgkmcnt(0)
	s_mul_hi_u32 s7, s6, s12
	s_cselect_b64 s[16:17], -1, 0
	s_add_i32 s7, s7, s6
	s_lshr_b32 s7, s7, s13
	s_mul_i32 s15, s7, s14
	s_cmp_eq_u32 s15, s6
	s_mul_hi_u32 s15, s18, s12
	s_cselect_b64 s[20:21], -1, 0
	s_add_i32 s15, s15, s18
	s_lshr_b32 s15, s15, s13
	s_cmp_eq_u32 s7, s15
	s_mul_i32 s15, s15, s14
	s_cselect_b64 s[22:23], -1, 0
	s_cmp_lg_u32 s15, s18
	s_cselect_b64 s[18:19], -1, 0
	s_and_b64 s[18:19], s[22:23], s[18:19]
	s_or_b64 s[16:17], s[16:17], s[20:21]
	s_or_b64 s[16:17], s[16:17], s[18:19]
	s_and_b64 vcc, exec, s[16:17]
	s_cbranch_vccnz .LBB32_23
; %bb.7:
	s_load_dwordx8 s[16:23], s[0:1], 0x20
	s_load_dword s24, s[0:1], 0x40
	s_waitcnt lgkmcnt(0)
	s_mul_hi_u32 s15, s6, s16
	s_add_i32 s15, s15, s6
	s_lshr_b32 s15, s15, s17
	s_mul_i32 s16, s15, s18
	s_sub_i32 s16, s6, s16
	s_mul_hi_u32 s17, s16, s19
	s_add_i32 s17, s16, s17
	s_lshr_b32 s20, s17, s20
	s_mul_i32 s17, s20, s21
	s_sub_i32 s16, s16, s17
	;; [unrolled: 5-line block ×3, first 2 shown]
	s_lshl_b32 s22, s17, 2
	s_mul_hi_u32 s17, s16, s12
	s_add_i32 s16, s16, s17
	s_lshr_b32 s21, s16, s13
	s_add_i32 s21, s21, s3
	s_cmp_lt_i32 s21, s8
	s_cselect_b64 s[16:17], -1, 0
	s_add_i32 s22, s22, s4
	s_cmp_lt_i32 s22, s10
	s_cselect_b64 s[18:19], -1, 0
	s_and_b64 s[16:17], s[16:17], s[18:19]
	s_andn2_b64 vcc, exec, s[16:17]
	s_cbranch_vccnz .LBB32_23
; %bb.8:
	s_load_dwordx4 s[16:19], s[0:1], 0x0
	s_mov_b32 s0, 0
	s_lshl_b32 s24, s5, 4
	s_mov_b32 s25, s0
	s_mul_i32 s15, s15, s8
	s_waitcnt lgkmcnt(0)
	v_mov_b32_e32 v2, s16
	v_mov_b32_e32 v3, s17
	s_lshl_b64 s[16:17], s[24:25], 2
	s_add_u32 s16, s18, s16
	s_addc_u32 s17, s19, s17
	s_mul_i32 s20, s20, s10
	s_add_i32 s1, s21, s15
	s_mul_i32 s1, s1, s9
	s_add_i32 s8, s22, s20
	s_add_i32 s8, s8, s1
	v_lshl_or_b32 v4, s8, 7, v0
	v_ashrrev_i32_e32 v5, 31, v4
	v_lshl_add_u64 v[2:3], v[4:5], 2, v[2:3]
	global_load_dword v1, v[2:3], off
	s_add_i32 s1, s3, s2
	v_cvt_f32_u32_e32 v4, s5
	s_lshl_b32 s1, s1, 2
	s_add_i32 s8, s1, s4
	s_ashr_i32 s9, s8, 31
	s_lshl_b64 s[8:9], s[8:9], 3
	v_rcp_iflag_f32_e32 v4, v4
	s_add_u32 s8, s18, s8
	s_addc_u32 s9, s19, s9
	s_load_dwordx2 s[8:9], s[8:9], 0x0
	v_mul_f32_e32 v4, 0x4f7ffffe, v4
	v_cvt_u32_f32_e32 v7, v4
	s_add_i32 s25, s2, -1
	v_lshl_or_b32 v6, s4, 7, v0
	s_waitcnt lgkmcnt(0)
	v_mov_b32_e32 v0, s9
	v_mov_b32_e32 v9, s8
	s_mov_b32 s2, 0x3fb8aa3b
	s_mov_b32 s10, 0xc2ce8ed0
	;; [unrolled: 1-line block ×4, first 2 shown]
	v_mov_b32_e32 v8, 0x7f800000
	s_mul_hi_i32 s1, s25, s11
	s_cmp_lg_u64 s[0:1], 0
	s_mul_i32 s22, s25, s11
	s_cbranch_scc0 .LBB32_19
.LBB32_9:
	s_add_u32 s8, s5, 0
	s_addc_u32 s9, 0, 0
	s_xor_b64 s[8:9], s[8:9], 0
	v_cvt_f32_u32_e32 v4, s8
	v_cvt_f32_u32_e32 v5, s9
	s_sub_u32 s23, 0, s8
	s_subb_u32 s26, 0, s9
	v_fmac_f32_e32 v4, 0x4f800000, v5
	v_rcp_f32_e32 v4, v4
	s_nop 0
	v_mul_f32_e32 v4, 0x5f7ffffc, v4
	v_mul_f32_e32 v5, 0x2f800000, v4
	v_trunc_f32_e32 v5, v5
	v_fmac_f32_e32 v4, 0xcf800000, v5
	v_cvt_u32_f32_e32 v5, v5
	v_cvt_u32_f32_e32 v4, v4
	v_readfirstlane_b32 s27, v5
	v_readfirstlane_b32 s20, v4
	s_mul_i32 s21, s23, s27
	s_mul_hi_u32 s29, s23, s20
	s_mul_i32 s28, s26, s20
	s_add_i32 s21, s29, s21
	s_mul_i32 s30, s23, s20
	s_add_i32 s21, s21, s28
	s_mul_i32 s29, s20, s21
	s_mul_hi_u32 s31, s20, s30
	s_mul_hi_u32 s28, s20, s21
	s_add_u32 s29, s31, s29
	s_addc_u32 s28, 0, s28
	s_mul_hi_u32 s33, s27, s30
	s_mul_i32 s30, s27, s30
	s_add_u32 s29, s29, s30
	s_mul_hi_u32 s31, s27, s21
	s_addc_u32 s28, s28, s33
	s_addc_u32 s29, s31, 0
	s_mul_i32 s21, s27, s21
	s_add_u32 s21, s28, s21
	s_addc_u32 s28, 0, s29
	s_add_u32 s29, s20, s21
	s_cselect_b64 s[20:21], -1, 0
	s_cmp_lg_u64 s[20:21], 0
	s_addc_u32 s27, s27, s28
	s_mul_i32 s20, s23, s27
	s_mul_hi_u32 s21, s23, s29
	s_add_i32 s20, s21, s20
	s_mul_i32 s26, s26, s29
	s_add_i32 s20, s20, s26
	s_mul_i32 s23, s23, s29
	s_mul_hi_u32 s26, s27, s23
	s_mul_i32 s28, s27, s23
	s_mul_i32 s31, s29, s20
	s_mul_hi_u32 s23, s29, s23
	s_mul_hi_u32 s30, s29, s20
	s_add_u32 s23, s23, s31
	s_addc_u32 s30, 0, s30
	s_add_u32 s23, s23, s28
	s_mul_hi_u32 s21, s27, s20
	s_addc_u32 s23, s30, s26
	s_addc_u32 s21, s21, 0
	s_mul_i32 s20, s27, s20
	s_add_u32 s20, s23, s20
	s_addc_u32 s23, 0, s21
	s_add_u32 s28, s29, s20
	s_cselect_b64 s[20:21], -1, 0
	s_cmp_lg_u64 s[20:21], 0
	s_addc_u32 s23, s27, s23
	s_ashr_i32 s20, s1, 31
	s_add_u32 s26, s22, s20
	s_mov_b32 s21, s20
	s_addc_u32 s27, s1, s20
	s_xor_b64 s[26:27], s[26:27], s[20:21]
	s_mul_i32 s29, s26, s23
	s_mul_hi_u32 s30, s26, s28
	s_mul_hi_u32 s1, s26, s23
	s_add_u32 s29, s30, s29
	s_addc_u32 s1, 0, s1
	s_mul_hi_u32 s31, s27, s28
	s_mul_i32 s28, s27, s28
	s_add_u32 s28, s29, s28
	s_mul_hi_u32 s30, s27, s23
	s_addc_u32 s1, s1, s31
	s_addc_u32 s28, s30, 0
	s_mul_i32 s23, s27, s23
	s_add_u32 s1, s1, s23
	s_addc_u32 s23, 0, s28
	s_mul_i32 s28, s8, s23
	s_mul_hi_u32 s29, s8, s1
	s_add_i32 s28, s29, s28
	s_mul_i32 s29, s9, s1
	s_add_i32 s33, s28, s29
	s_sub_i32 s30, s27, s33
	s_mul_i32 s28, s8, s1
	s_sub_u32 s26, s26, s28
	s_cselect_b64 s[28:29], -1, 0
	s_cmp_lg_u64 s[28:29], 0
	s_subb_u32 s34, s30, s9
	s_sub_u32 s35, s26, s8
	s_cselect_b64 s[30:31], -1, 0
	s_cmp_lg_u64 s[30:31], 0
	s_subb_u32 s30, s34, 0
	s_cmp_ge_u32 s30, s9
	s_cselect_b32 s31, -1, 0
	s_cmp_ge_u32 s35, s8
	s_cselect_b32 s34, -1, 0
	s_cmp_eq_u32 s30, s9
	s_cselect_b32 s30, s34, s31
	s_add_u32 s31, s1, 1
	s_addc_u32 s34, s23, 0
	s_add_u32 s35, s1, 2
	s_addc_u32 s36, s23, 0
	s_cmp_lg_u32 s30, 0
	s_cselect_b32 s30, s35, s31
	s_cselect_b32 s31, s36, s34
	s_cmp_lg_u64 s[28:29], 0
	s_subb_u32 s27, s27, s33
	s_cmp_ge_u32 s27, s9
	s_cselect_b32 s28, -1, 0
	s_cmp_ge_u32 s26, s8
	s_cselect_b32 s8, -1, 0
	s_cmp_eq_u32 s27, s9
	s_cselect_b32 s8, s8, s28
	s_cmp_lg_u32 s8, 0
	s_cselect_b32 s9, s31, s23
	s_cselect_b32 s8, s30, s1
	s_xor_b64 s[20:21], s[20:21], 0
	s_xor_b64 s[8:9], s[8:9], s[20:21]
	s_sub_u32 s20, s8, s20
	s_cbranch_execnz .LBB32_11
.LBB32_10:
	s_sub_i32 s1, 0, s5
	v_readfirstlane_b32 s8, v7
	s_mul_i32 s1, s1, s8
	s_mul_hi_u32 s1, s8, s1
	s_add_i32 s8, s8, s1
	s_mul_hi_u32 s1, s22, s8
	s_mul_i32 s9, s1, s5
	s_sub_i32 s9, s22, s9
	s_add_i32 s8, s1, 1
	s_sub_i32 s20, s9, s5
	s_cmp_ge_u32 s9, s5
	s_cselect_b32 s1, s8, s1
	s_cselect_b32 s9, s20, s9
	s_add_i32 s8, s1, 1
	s_cmp_ge_u32 s9, s5
	s_cselect_b32 s20, s8, s1
.LBB32_11:
	s_cmp_lg_u32 s6, s20
	s_cbranch_scc0 .LBB32_15
; %bb.12:
	s_add_i32 s21, s25, s3
	s_add_i32 s1, s21, s5
	s_lshl_b32 s1, s1, 2
	s_add_i32 s8, s1, s4
	s_mov_b32 s9, s0
	s_lshl_b64 s[8:9], s[8:9], 3
	s_add_u32 s22, s18, s8
	s_mul_hi_u32 s1, s20, s12
	s_addc_u32 s23, s19, s9
	s_add_i32 s1, s1, s20
	s_lshr_b32 s1, s1, s13
	s_mul_i32 s8, s1, s14
	s_cmp_eq_u32 s8, s20
	s_cselect_b64 s[8:9], -1, 0
	s_cmp_lt_u32 s1, s7
	s_cselect_b64 s[26:27], -1, 0
	s_or_b64 s[26:27], s[26:27], s[8:9]
	s_mov_b64 s[8:9], -1
	s_and_b64 vcc, exec, s[26:27]
	s_mov_b32 s1, s25
	s_mov_b32 s26, s6
	s_cbranch_vccnz .LBB32_14
; %bb.13:
	s_add_i32 s1, s25, -1
	s_mov_b64 s[8:9], 0
	s_mov_b32 s26, s20
.LBB32_14:
	v_lshl_add_u32 v4, s21, 9, v6
	v_ashrrev_i32_e32 v5, 31, v4
	v_lshl_add_u64 v[4:5], v[4:5], 2, s[16:17]
	global_load_dword v5, v[4:5], off
	s_load_dwordx2 s[20:21], s[22:23], 0x0
	v_max_f32_e32 v4, v9, v9
	s_waitcnt lgkmcnt(0)
	v_max_f32_e64 v10, s20, s20
	v_max_f32_e32 v10, v4, v10
	v_sub_f32_e32 v11, v9, v10
	v_sub_f32_e32 v13, s20, v10
	v_mul_f32_e32 v4, 0x3fb8aa3b, v11
	v_mul_f32_e32 v12, 0x3fb8aa3b, v13
	v_fma_f32 v14, v11, s2, -v4
	v_rndne_f32_e32 v15, v4
	v_fma_f32 v16, v13, s2, -v12
	v_rndne_f32_e32 v17, v12
	v_fmac_f32_e32 v14, 0x32a5705f, v11
	v_sub_f32_e32 v4, v4, v15
	v_fmac_f32_e32 v16, 0x32a5705f, v13
	v_sub_f32_e32 v12, v12, v17
	v_add_f32_e32 v4, v4, v14
	v_cvt_i32_f32_e32 v15, v15
	v_add_f32_e32 v12, v12, v16
	v_exp_f32_e32 v14, v4
	v_cvt_i32_f32_e32 v17, v17
	v_exp_f32_e32 v12, v12
	v_cmp_ngt_f32_e32 vcc, s10, v11
	v_ldexp_f32 v14, v14, v15
	v_mov_b32_e32 v4, s21
	v_ldexp_f32 v12, v12, v17
	v_cndmask_b32_e32 v14, 0, v14, vcc
	v_cmp_ngt_f32_e32 vcc, s10, v13
	s_nop 1
	v_cndmask_b32_e32 v12, 0, v12, vcc
	v_cmp_nlt_f32_e32 vcc, s15, v11
	s_nop 1
	v_cndmask_b32_e32 v14, v8, v14, vcc
	v_cmp_nlt_f32_e32 vcc, s15, v13
	s_nop 1
	v_cndmask_b32_e32 v15, v8, v12, vcc
	v_cmp_le_f32_e32 vcc, s24, v11
	s_nop 1
	v_cndmask_b32_e32 v12, 0, v14, vcc
	v_cmp_le_f32_e32 vcc, s24, v13
	s_nop 1
	v_cndmask_b32_e32 v14, 0, v15, vcc
	s_waitcnt vmcnt(0)
	v_pk_mul_f32 v[4:5], v[4:5], v[14:15] op_sel_hi:[1,0]
	s_nop 0
	v_pk_fma_f32 v[4:5], v[0:1], v[12:13], v[4:5] op_sel_hi:[1,0,1]
	s_cbranch_execz .LBB32_16
	s_branch .LBB32_17
.LBB32_15:
                                        ; implicit-def: $vgpr4_vgpr5
                                        ; implicit-def: $sgpr8_sgpr9
                                        ; implicit-def: $vgpr10
                                        ; implicit-def: $sgpr1
                                        ; implicit-def: $sgpr26
.LBB32_16:
	s_add_i32 s1, s25, -1
	s_mov_b64 s[8:9], 0
	s_mov_b32 s26, s6
	v_mov_b32_e32 v10, v9
	s_waitcnt vmcnt(0)
	v_mov_b64_e32 v[4:5], v[0:1]
.LBB32_17:
	s_andn2_b64 vcc, exec, s[8:9]
	s_cbranch_vccz .LBB32_22
; %bb.18:
	s_mov_b32 s6, s26
	s_mov_b32 s25, s1
	v_mov_b32_e32 v9, v10
	s_waitcnt vmcnt(0)
	v_mov_b64_e32 v[0:1], v[4:5]
	s_mul_hi_i32 s1, s25, s11
	s_cmp_lg_u64 s[0:1], 0
	s_mul_i32 s22, s25, s11
	s_cbranch_scc1 .LBB32_9
.LBB32_19:
                                        ; implicit-def: $sgpr20_sgpr21
	s_branch .LBB32_10
.LBB32_20:
                                        ; implicit-def: $sgpr6_sgpr7
	s_load_dwordx4 s[12:15], s[0:1], 0x44
	s_branch .LBB32_2
.LBB32_21:
                                        ; implicit-def: $sgpr18_sgpr19
	s_branch .LBB32_5
.LBB32_22:
	v_div_scale_f32 v0, s[0:1], v4, v4, v5
	s_waitcnt vmcnt(0)
	v_rcp_f32_e32 v1, v0
	v_div_scale_f32 v6, vcc, v5, v4, v5
	v_fma_f32 v7, -v0, v1, 1.0
	v_fmac_f32_e32 v1, v7, v1
	v_mul_f32_e32 v7, v6, v1
	v_fma_f32 v8, -v0, v7, v6
	v_fmac_f32_e32 v7, v8, v1
	v_fma_f32 v0, -v0, v7, v6
	v_div_fmas_f32 v0, v0, v1, v7
	v_div_fixup_f32 v0, v0, v4, v5
	global_store_dword v[2:3], v0, off
.LBB32_23:
	s_endpgm
	.section	.rodata,"a",@progbits
	.p2align	6, 0x0
	.amdhsa_kernel _ZL33flash_attn_stream_k_fixup_generalILi128ELi1ELi4EEvPfPK15HIP_vector_typeIfLj2EEiiiiS1_IjLj3EES5_S5_S5_
		.amdhsa_group_segment_fixed_size 0
		.amdhsa_private_segment_fixed_size 0
		.amdhsa_kernarg_size 336
		.amdhsa_user_sgpr_count 2
		.amdhsa_user_sgpr_dispatch_ptr 0
		.amdhsa_user_sgpr_queue_ptr 0
		.amdhsa_user_sgpr_kernarg_segment_ptr 1
		.amdhsa_user_sgpr_dispatch_id 0
		.amdhsa_user_sgpr_kernarg_preload_length 0
		.amdhsa_user_sgpr_kernarg_preload_offset 0
		.amdhsa_user_sgpr_private_segment_size 0
		.amdhsa_uses_dynamic_stack 0
		.amdhsa_enable_private_segment 0
		.amdhsa_system_sgpr_workgroup_id_x 1
		.amdhsa_system_sgpr_workgroup_id_y 1
		.amdhsa_system_sgpr_workgroup_id_z 1
		.amdhsa_system_sgpr_workgroup_info 0
		.amdhsa_system_vgpr_workitem_id 0
		.amdhsa_next_free_vgpr 18
		.amdhsa_next_free_sgpr 37
		.amdhsa_accum_offset 20
		.amdhsa_reserve_vcc 1
		.amdhsa_float_round_mode_32 0
		.amdhsa_float_round_mode_16_64 0
		.amdhsa_float_denorm_mode_32 3
		.amdhsa_float_denorm_mode_16_64 3
		.amdhsa_dx10_clamp 1
		.amdhsa_ieee_mode 1
		.amdhsa_fp16_overflow 0
		.amdhsa_tg_split 0
		.amdhsa_exception_fp_ieee_invalid_op 0
		.amdhsa_exception_fp_denorm_src 0
		.amdhsa_exception_fp_ieee_div_zero 0
		.amdhsa_exception_fp_ieee_overflow 0
		.amdhsa_exception_fp_ieee_underflow 0
		.amdhsa_exception_fp_ieee_inexact 0
		.amdhsa_exception_int_div_zero 0
	.end_amdhsa_kernel
	.section	.text._ZL33flash_attn_stream_k_fixup_generalILi128ELi1ELi4EEvPfPK15HIP_vector_typeIfLj2EEiiiiS1_IjLj3EES5_S5_S5_,"axG",@progbits,_ZL33flash_attn_stream_k_fixup_generalILi128ELi1ELi4EEvPfPK15HIP_vector_typeIfLj2EEiiiiS1_IjLj3EES5_S5_S5_,comdat
.Lfunc_end32:
	.size	_ZL33flash_attn_stream_k_fixup_generalILi128ELi1ELi4EEvPfPK15HIP_vector_typeIfLj2EEiiiiS1_IjLj3EES5_S5_S5_, .Lfunc_end32-_ZL33flash_attn_stream_k_fixup_generalILi128ELi1ELi4EEvPfPK15HIP_vector_typeIfLj2EEiiiiS1_IjLj3EES5_S5_S5_
                                        ; -- End function
	.set _ZL33flash_attn_stream_k_fixup_generalILi128ELi1ELi4EEvPfPK15HIP_vector_typeIfLj2EEiiiiS1_IjLj3EES5_S5_S5_.num_vgpr, 18
	.set _ZL33flash_attn_stream_k_fixup_generalILi128ELi1ELi4EEvPfPK15HIP_vector_typeIfLj2EEiiiiS1_IjLj3EES5_S5_S5_.num_agpr, 0
	.set _ZL33flash_attn_stream_k_fixup_generalILi128ELi1ELi4EEvPfPK15HIP_vector_typeIfLj2EEiiiiS1_IjLj3EES5_S5_S5_.numbered_sgpr, 37
	.set _ZL33flash_attn_stream_k_fixup_generalILi128ELi1ELi4EEvPfPK15HIP_vector_typeIfLj2EEiiiiS1_IjLj3EES5_S5_S5_.num_named_barrier, 0
	.set _ZL33flash_attn_stream_k_fixup_generalILi128ELi1ELi4EEvPfPK15HIP_vector_typeIfLj2EEiiiiS1_IjLj3EES5_S5_S5_.private_seg_size, 0
	.set _ZL33flash_attn_stream_k_fixup_generalILi128ELi1ELi4EEvPfPK15HIP_vector_typeIfLj2EEiiiiS1_IjLj3EES5_S5_S5_.uses_vcc, 1
	.set _ZL33flash_attn_stream_k_fixup_generalILi128ELi1ELi4EEvPfPK15HIP_vector_typeIfLj2EEiiiiS1_IjLj3EES5_S5_S5_.uses_flat_scratch, 0
	.set _ZL33flash_attn_stream_k_fixup_generalILi128ELi1ELi4EEvPfPK15HIP_vector_typeIfLj2EEiiiiS1_IjLj3EES5_S5_S5_.has_dyn_sized_stack, 0
	.set _ZL33flash_attn_stream_k_fixup_generalILi128ELi1ELi4EEvPfPK15HIP_vector_typeIfLj2EEiiiiS1_IjLj3EES5_S5_S5_.has_recursion, 0
	.set _ZL33flash_attn_stream_k_fixup_generalILi128ELi1ELi4EEvPfPK15HIP_vector_typeIfLj2EEiiiiS1_IjLj3EES5_S5_S5_.has_indirect_call, 0
	.section	.AMDGPU.csdata,"",@progbits
; Kernel info:
; codeLenInByte = 2924
; TotalNumSgprs: 43
; NumVgprs: 18
; NumAgprs: 0
; TotalNumVgprs: 18
; ScratchSize: 0
; MemoryBound: 0
; FloatMode: 240
; IeeeMode: 1
; LDSByteSize: 0 bytes/workgroup (compile time only)
; SGPRBlocks: 5
; VGPRBlocks: 2
; NumSGPRsForWavesPerEU: 43
; NumVGPRsForWavesPerEU: 18
; AccumOffset: 20
; Occupancy: 8
; WaveLimiterHint : 0
; COMPUTE_PGM_RSRC2:SCRATCH_EN: 0
; COMPUTE_PGM_RSRC2:USER_SGPR: 2
; COMPUTE_PGM_RSRC2:TRAP_HANDLER: 0
; COMPUTE_PGM_RSRC2:TGID_X_EN: 1
; COMPUTE_PGM_RSRC2:TGID_Y_EN: 1
; COMPUTE_PGM_RSRC2:TGID_Z_EN: 1
; COMPUTE_PGM_RSRC2:TIDIG_COMP_CNT: 0
; COMPUTE_PGM_RSRC3_GFX90A:ACCUM_OFFSET: 4
; COMPUTE_PGM_RSRC3_GFX90A:TG_SPLIT: 0
	.section	.text._ZL15flash_attn_tileILi128ELi128ELi32ELi2ELb0EEvPKcS1_S1_S1_S1_PKiPfP15HIP_vector_typeIfLj2EEffffjfiS5_IjLj3EEiiiiiiiiiiiliiliiiiil,"axG",@progbits,_ZL15flash_attn_tileILi128ELi128ELi32ELi2ELb0EEvPKcS1_S1_S1_S1_PKiPfP15HIP_vector_typeIfLj2EEffffjfiS5_IjLj3EEiiiiiiiiiiiliiliiiiil,comdat
	.globl	_ZL15flash_attn_tileILi128ELi128ELi32ELi2ELb0EEvPKcS1_S1_S1_S1_PKiPfP15HIP_vector_typeIfLj2EEffffjfiS5_IjLj3EEiiiiiiiiiiiliiliiiiil ; -- Begin function _ZL15flash_attn_tileILi128ELi128ELi32ELi2ELb0EEvPKcS1_S1_S1_S1_PKiPfP15HIP_vector_typeIfLj2EEffffjfiS5_IjLj3EEiiiiiiiiiiiliiliiiiil
	.p2align	8
	.type	_ZL15flash_attn_tileILi128ELi128ELi32ELi2ELb0EEvPKcS1_S1_S1_S1_PKiPfP15HIP_vector_typeIfLj2EEffffjfiS5_IjLj3EEiiiiiiiiiiiliiliiiiil,@function
_ZL15flash_attn_tileILi128ELi128ELi32ELi2ELb0EEvPKcS1_S1_S1_S1_PKiPfP15HIP_vector_typeIfLj2EEffffjfiS5_IjLj3EEiiiiiiiiiiiliiliiiiil: ; @_ZL15flash_attn_tileILi128ELi128ELi32ELi2ELb0EEvPKcS1_S1_S1_S1_PKiPfP15HIP_vector_typeIfLj2EEffffjfiS5_IjLj3EEiiiiiiiiiiiliiliiiiil
; %bb.0:
	s_load_dwordx4 s[76:79], s[0:1], 0x5c
	s_load_dwordx2 s[82:83], s[0:1], 0x80
	s_load_dwordx16 s[60:75], s[0:1], 0x0
	s_mov_b64 s[84:85], 0
	s_waitcnt lgkmcnt(0)
	s_lshr_b32 s5, s79, 31
	s_add_i32 s5, s79, s5
	s_ashr_i32 s5, s5, 1
	v_cvt_f32_u32_e32 v1, s5
	s_sub_i32 s6, 0, s5
	v_rcp_iflag_f32_e32 v1, v1
	s_nop 0
	v_mul_f32_e32 v1, 0x4f7ffffe, v1
	v_cvt_u32_f32_e32 v1, v1
	s_nop 0
	v_readfirstlane_b32 s7, v1
	s_mul_i32 s6, s6, s7
	s_mul_hi_u32 s6, s7, s6
	s_add_i32 s7, s7, s6
	s_mul_hi_u32 s6, s4, s7
	s_mul_i32 s7, s6, s5
	s_sub_i32 s7, s4, s7
	s_add_i32 s8, s6, 1
	s_sub_i32 s9, s7, s5
	s_cmp_ge_u32 s7, s5
	s_cselect_b32 s6, s8, s6
	s_cselect_b32 s7, s9, s7
	s_add_i32 s8, s6, 1
	s_cmp_ge_u32 s7, s5
	s_cselect_b32 s33, s8, s6
	s_abs_i32 s5, s83
	v_cvt_f32_u32_e32 v1, s5
	s_lshl_b32 s4, s4, 1
	s_mul_i32 s8, s33, s79
	s_sub_i32 s9, 0, s5
	v_rcp_iflag_f32_e32 v1, v1
	s_sub_i32 s80, s4, s8
	s_abs_i32 s7, s79
	s_xor_b32 s6, s79, s83
	v_mul_f32_e32 v1, 0x4f7ffffe, v1
	v_cvt_u32_f32_e32 v1, v1
	s_ashr_i32 s6, s6, 31
	v_readfirstlane_b32 s4, v1
	s_mul_i32 s9, s9, s4
	s_mul_hi_u32 s8, s4, s9
	s_add_i32 s4, s4, s8
	s_mul_hi_u32 s4, s7, s4
	s_mul_i32 s8, s4, s5
	s_sub_i32 s7, s7, s8
	s_add_i32 s9, s4, 1
	s_sub_i32 s8, s7, s5
	s_cmp_ge_u32 s7, s5
	s_cselect_b32 s4, s9, s4
	s_cselect_b32 s7, s8, s7
	s_add_i32 s8, s4, 1
	s_cmp_ge_u32 s7, s5
	s_cselect_b32 s4, s8, s4
	s_xor_b32 s4, s4, s6
	s_sub_i32 s13, s4, s6
	s_abs_i32 s12, s13
	v_cvt_f32_u32_e32 v1, s12
	s_load_dwordx2 s[8:9], s[0:1], 0xb8
	s_cmp_eq_u64 s[66:67], 0
	v_rcp_iflag_f32_e32 v1, v1
	s_nop 0
	v_mul_f32_e32 v1, 0x4f7ffffe, v1
	v_cvt_u32_f32_e32 v1, v1
	s_nop 0
	v_readfirstlane_b32 s14, v1
	s_cbranch_scc1 .LBB33_2
; %bb.1:
	s_waitcnt lgkmcnt(0)
	s_abs_i32 s6, s8
	v_cvt_f32_u32_e32 v1, s6
	s_sub_i32 s10, 0, s6
	s_abs_i32 s8, s33
	s_ashr_i32 s7, s33, 31
	v_rcp_iflag_f32_e32 v1, v1
	s_load_dwordx2 s[4:5], s[0:1], 0xc8
	v_mul_f32_e32 v1, 0x4f7ffffe, v1
	v_cvt_u32_f32_e32 v1, v1
	s_nop 0
	v_readfirstlane_b32 s11, v1
	s_mul_i32 s10, s10, s11
	s_mul_hi_u32 s10, s11, s10
	s_add_i32 s11, s11, s10
	s_mul_hi_u32 s10, s8, s11
	s_mul_i32 s10, s10, s6
	s_sub_i32 s8, s8, s10
	s_sub_i32 s10, s8, s6
	s_cmp_ge_u32 s8, s6
	s_cselect_b32 s8, s10, s8
	s_sub_i32 s10, s8, s6
	s_cmp_ge_u32 s8, s6
	s_cselect_b32 s6, s10, s8
	s_xor_b32 s6, s6, s7
	s_sub_i32 s6, s6, s7
	s_ashr_i32 s7, s6, 31
	s_waitcnt lgkmcnt(0)
	s_mul_hi_u32 s8, s4, s6
	s_mul_i32 s7, s4, s7
	s_mul_i32 s5, s5, s6
	s_add_i32 s7, s8, s7
	s_add_i32 s7, s7, s5
	s_mul_i32 s4, s4, s6
	s_add_u32 s84, s66, s4
	s_addc_u32 s85, s67, s7
.LBB33_2:
	s_load_dwordx4 s[4:7], s[0:1], 0x70
	v_bfe_u32 v1, v0, 10, 10
	s_lshl_b32 s83, s2, 5
	v_lshlrev_b32_e32 v64, 2, v1
	v_add_u32_e32 v67, s83, v64
	s_waitcnt lgkmcnt(0)
	s_mul_i32 s6, s33, s6
	s_ashr_i32 s8, s6, 31
	s_mul_i32 s7, s80, s5
	s_add_u32 s6, s60, s6
	v_and_b32_e32 v65, 0x3ff, v0
	v_mul_hi_u32 v0, v67, s76
	s_addc_u32 s8, s61, s8
	s_ashr_i32 s11, s7, 31
	v_add_u32_e32 v0, v67, v0
	s_add_u32 s10, s6, s7
	v_lshrrev_b32_e32 v0, s77, v0
	s_addc_u32 s11, s8, s11
	s_ashr_i32 s17, s4, 31
	s_mov_b32 s16, s4
	v_mul_lo_u32 v0, v0, s78
	s_lshr_b64 s[6:7], s[16:17], 2
	v_sub_u32_e32 v4, v67, v0
	v_mad_u64_u32 v[2:3], s[18:19], s6, v4, 0
	v_mov_b32_e32 v0, v3
	s_lshr_b32 s8, s17, 2
	v_mad_u64_u32 v[6:7], s[16:17], s8, v4, v[0:1]
	v_mov_b32_e32 v3, v6
	v_lshlrev_b64 v[10:11], 2, v[2:3]
	v_lshl_add_u64 v[6:7], s[10:11], 0, v[10:11]
	v_lshlrev_b32_e32 v2, 4, v65
	v_mov_b32_e32 v3, 0
	v_lshl_add_u64 v[6:7], v[6:7], 0, v[2:3]
	global_load_dwordx4 v[6:9], v[6:7], off
	v_lshlrev_b32_e32 v5, 3, v1
	v_or_b32_e32 v37, 2, v5
	v_or_b32_e32 v38, 3, v5
	;; [unrolled: 1-line block ×3, first 2 shown]
	v_lshrrev_b32_e32 v63, 1, v37
	v_lshrrev_b32_e32 v60, 1, v38
	;; [unrolled: 1-line block ×3, first 2 shown]
	v_add_u32_e32 v66, s83, v63
	v_add_u32_e32 v62, s83, v60
	;; [unrolled: 1-line block ×3, first 2 shown]
	v_mul_hi_u32 v12, v66, s76
	s_ashr_i32 s15, s5, 31
	s_and_b32 s4, s5, -4
	v_mul_hi_u32 v13, v62, s76
	v_mul_hi_u32 v14, v59, s76
	v_add_u32_e32 v12, v66, v12
	s_add_u32 s4, s10, s4
	v_add_u32_e32 v13, v62, v13
	v_add_u32_e32 v14, v59, v14
	v_lshrrev_b32_e32 v12, s77, v12
	s_addc_u32 s5, s11, s15
	v_lshrrev_b32_e32 v13, s77, v13
	v_lshrrev_b32_e32 v14, s77, v14
	v_mul_lo_u32 v12, v12, s78
	v_lshl_add_u64 v[10:11], s[4:5], 0, v[10:11]
	s_load_dword s7, s[0:1], 0x40
	v_mul_lo_u32 v13, v13, s78
	v_mul_lo_u32 v14, v14, s78
	v_sub_u32_e32 v19, v66, v12
	v_lshl_add_u64 v[10:11], v[10:11], 0, v[2:3]
	v_sub_u32_e32 v21, v62, v13
	v_sub_u32_e32 v25, v59, v14
	v_mad_u64_u32 v[14:15], s[16:17], s6, v19, 0
	global_load_dwordx4 v[10:13], v[10:11], off
	v_mad_u64_u32 v[16:17], s[16:17], s6, v21, 0
	v_mov_b32_e32 v18, v15
	v_mov_b32_e32 v20, v17
	v_mad_u64_u32 v[18:19], s[16:17], s8, v19, v[18:19]
	v_mad_u64_u32 v[20:21], s[16:17], s8, v21, v[20:21]
	v_mov_b32_e32 v15, v18
	v_mad_u64_u32 v[22:23], s[16:17], s6, v25, 0
	v_mov_b32_e32 v17, v20
	v_lshl_add_u64 v[14:15], v[14:15], 2, s[10:11]
	v_mov_b32_e32 v24, v23
	v_lshl_add_u64 v[16:17], v[16:17], 2, s[4:5]
	v_lshl_add_u64 v[26:27], v[14:15], 0, v[2:3]
	v_or_b32_e32 v41, 5, v5
	v_lshl_add_u64 v[28:29], v[16:17], 0, v[2:3]
	global_load_dwordx4 v[14:17], v[26:27], off
	global_load_dwordx4 v[18:21], v[28:29], off
	v_lshrrev_b32_e32 v56, 1, v41
	v_add_u32_e32 v58, s83, v56
	v_or_b32_e32 v42, 6, v5
	v_lshrrev_b32_e32 v54, 1, v42
	v_add_u32_e32 v55, s83, v54
	v_mul_hi_u32 v26, v55, s76
	v_add_u32_e32 v26, v55, v26
	v_lshrrev_b32_e32 v26, s77, v26
	v_or_b32_e32 v43, 7, v5
	v_mul_lo_u32 v26, v26, s78
	v_lshrrev_b32_e32 v52, 1, v43
	v_sub_u32_e32 v29, v55, v26
	v_add_u32_e32 v53, s83, v52
	v_mad_u64_u32 v[26:27], s[16:17], s6, v29, 0
	v_mul_hi_u32 v30, v53, s76
	v_mov_b32_e32 v28, v27
	v_add_u32_e32 v30, v53, v30
	v_mad_u64_u32 v[28:29], s[16:17], s8, v29, v[28:29]
	v_lshrrev_b32_e32 v30, s77, v30
	v_mov_b32_e32 v27, v28
	v_mul_lo_u32 v30, v30, s78
	v_lshl_add_u64 v[26:27], v[26:27], 2, s[10:11]
	v_sub_u32_e32 v33, v53, v30
	s_waitcnt vmcnt(3) lgkmcnt(0)
	v_fma_mixlo_f16 v6, s7, v6, 0
	v_fma_mixlo_f16 v7, s7, v7, 0
	v_lshlrev_b32_e32 v7, 16, v7
	v_and_b32_e32 v6, 0xffff, v6
	v_or_b32_e32 v40, v7, v6
	v_mad_u64_u32 v[6:7], s[16:17], s8, v25, v[24:25]
	v_mov_b32_e32 v23, v6
	v_lshl_add_u64 v[6:7], v[22:23], 2, s[10:11]
	v_mul_hi_u32 v22, v58, s76
	v_add_u32_e32 v22, v58, v22
	v_lshrrev_b32_e32 v22, s77, v22
	v_mul_lo_u32 v22, v22, s78
	v_sub_u32_e32 v25, v58, v22
	v_fma_mixlo_f16 v8, s7, v8, 0
	v_fma_mixlo_f16 v9, s7, v9, 0
	v_lshl_add_u64 v[6:7], v[6:7], 0, v[2:3]
	v_mad_u64_u32 v[22:23], s[16:17], s6, v25, 0
	v_lshlrev_b32_e32 v34, 16, v9
	v_and_b32_e32 v35, 0xffff, v8
	global_load_dwordx4 v[6:9], v[6:7], off
	v_mov_b32_e32 v24, v23
	v_mad_u64_u32 v[24:25], s[16:17], s8, v25, v[24:25]
	v_mov_b32_e32 v23, v24
	v_lshl_add_u64 v[22:23], v[22:23], 2, s[4:5]
	v_lshl_add_u64 v[22:23], v[22:23], 0, v[2:3]
	global_load_dwordx4 v[22:25], v[22:23], off
	v_lshl_add_u64 v[26:27], v[26:27], 0, v[2:3]
	v_mad_u64_u32 v[30:31], s[10:11], s6, v33, 0
	global_load_dwordx4 v[26:29], v[26:27], off
	v_mov_b32_e32 v32, v31
	v_mad_u64_u32 v[32:33], s[10:11], s8, v33, v[32:33]
	v_mov_b32_e32 v31, v32
	v_lshl_add_u64 v[30:31], v[30:31], 2, s[4:5]
	v_lshl_add_u64 v[30:31], v[30:31], 0, v[2:3]
	global_load_dwordx4 v[30:33], v[30:31], off
	s_waitcnt vmcnt(6)
	v_fma_mixlo_f16 v3, s7, v10, 0
	v_fma_mixlo_f16 v10, s7, v11, 0
	v_lshlrev_b32_e32 v10, 16, v10
	v_and_b32_e32 v3, 0xffff, v3
	v_or_b32_e32 v3, v10, v3
	v_fma_mixlo_f16 v10, s7, v12, 0
	v_fma_mixlo_f16 v11, s7, v13, 0
	v_lshlrev_b32_e32 v0, 3, v65
	v_lshlrev_b32_e32 v68, 11, v1
	;; [unrolled: 1-line block ×3, first 2 shown]
	v_and_b32_e32 v10, 0xffff, v10
	v_add_u32_e32 v36, v0, v68
	v_or3_b32 v35, v34, v35, 0
	v_or3_b32 v34, 0, 0, v40
	;; [unrolled: 1-line block ×4, first 2 shown]
	ds_write2_b64 v36, v[34:35], v[10:11] offset1:32
	s_waitcnt vmcnt(5)
	v_fma_mixlo_f16 v3, s7, v14, 0
	v_fma_mixlo_f16 v10, s7, v15, 0
	v_lshlrev_b32_e32 v10, 16, v10
	v_and_b32_e32 v3, 0xffff, v3
	v_or_b32_e32 v3, v10, v3
	v_fma_mixlo_f16 v10, s7, v16, 0
	v_fma_mixlo_f16 v11, s7, v17, 0
	v_lshlrev_b32_e32 v11, 16, v11
	v_and_b32_e32 v10, 0xffff, v10
	v_lshl_add_u32 v12, v37, 8, v0
	v_or3_b32 v11, v11, v10, 0
	v_or3_b32 v10, 0, 0, v3
	ds_write_b64 v12, v[10:11]
	s_waitcnt vmcnt(4)
	v_fma_mixlo_f16 v3, s7, v18, 0
	v_fma_mixlo_f16 v10, s7, v19, 0
	v_lshlrev_b32_e32 v10, 16, v10
	v_and_b32_e32 v3, 0xffff, v3
	v_or_b32_e32 v3, v10, v3
	v_fma_mixlo_f16 v10, s7, v20, 0
	v_fma_mixlo_f16 v11, s7, v21, 0
	v_lshlrev_b32_e32 v11, 16, v11
	v_and_b32_e32 v10, 0xffff, v10
	v_or3_b32 v11, v11, v10, 0
	v_or3_b32 v10, 0, 0, v3
	v_lshl_add_u32 v12, v38, 8, v0
	s_cmp_eq_u64 s[70:71], 0
	ds_write_b64 v12, v[10:11]
	s_waitcnt vmcnt(3)
	v_fma_mixlo_f16 v3, s7, v6, 0
	v_fma_mixlo_f16 v6, s7, v7, 0
	v_lshlrev_b32_e32 v6, 16, v6
	v_and_b32_e32 v3, 0xffff, v3
	v_or_b32_e32 v3, v6, v3
	v_fma_mixlo_f16 v6, s7, v8, 0
	v_fma_mixlo_f16 v7, s7, v9, 0
	v_lshlrev_b32_e32 v7, 16, v7
	v_and_b32_e32 v6, 0xffff, v6
	v_lshl_add_u32 v8, v39, 8, v0
	v_or3_b32 v7, v7, v6, 0
	v_or3_b32 v6, 0, 0, v3
	ds_write_b64 v8, v[6:7]
	s_waitcnt vmcnt(2)
	v_fma_mixlo_f16 v3, s7, v22, 0
	v_fma_mixlo_f16 v6, s7, v23, 0
	v_lshlrev_b32_e32 v6, 16, v6
	v_and_b32_e32 v3, 0xffff, v3
	v_or_b32_e32 v3, v6, v3
	v_fma_mixlo_f16 v6, s7, v24, 0
	v_fma_mixlo_f16 v7, s7, v25, 0
	v_lshlrev_b32_e32 v7, 16, v7
	v_and_b32_e32 v6, 0xffff, v6
	v_lshl_add_u32 v8, v41, 8, v0
	v_or3_b32 v7, v7, v6, 0
	v_or3_b32 v6, 0, 0, v3
	ds_write_b64 v8, v[6:7]
	s_waitcnt vmcnt(1)
	v_fma_mixlo_f16 v3, s7, v26, 0
	v_fma_mixlo_f16 v6, s7, v27, 0
	v_lshlrev_b32_e32 v6, 16, v6
	v_and_b32_e32 v3, 0xffff, v3
	v_or_b32_e32 v3, v6, v3
	v_fma_mixlo_f16 v6, s7, v28, 0
	v_fma_mixlo_f16 v7, s7, v29, 0
	v_lshlrev_b32_e32 v7, 16, v7
	v_and_b32_e32 v6, 0xffff, v6
	v_lshl_add_u32 v8, v42, 8, v0
	v_or3_b32 v7, v7, v6, 0
	v_or3_b32 v6, 0, 0, v3
	ds_write_b64 v8, v[6:7]
	s_waitcnt vmcnt(0)
	v_fma_mixlo_f16 v3, s7, v30, 0
	v_fma_mixlo_f16 v6, s7, v31, 0
	v_lshlrev_b32_e32 v6, 16, v6
	v_and_b32_e32 v3, 0xffff, v3
	v_or_b32_e32 v3, v6, v3
	v_fma_mixlo_f16 v6, s7, v32, 0
	v_fma_mixlo_f16 v7, s7, v33, 0
	v_lshlrev_b32_e32 v7, 16, v7
	v_and_b32_e32 v6, 0xffff, v6
	v_lshl_add_u32 v8, v43, 8, v0
	v_or3_b32 v7, v7, v6, 0
	v_or3_b32 v6, 0, 0, v3
	ds_write_b64 v8, v[6:7]
	s_waitcnt lgkmcnt(0)
	s_barrier
	s_cbranch_scc1 .LBB33_4
; %bb.3:
	s_load_dword s4, s[0:1], 0xd0
	s_mov_b32 s5, 0
	s_waitcnt lgkmcnt(0)
	s_mul_i32 s4, s4, s33
	s_add_i32 s4, s4, s2
	s_lshl_b64 s[4:5], s[4:5], 2
	s_add_u32 s4, s70, s4
	s_addc_u32 s5, s71, s5
	s_load_dword s82, s[4:5], 0x0
.LBB33_4:
	s_lshl_b32 s2, s3, 6
	s_waitcnt lgkmcnt(0)
	s_cmp_lt_i32 s2, s82
	v_mbcnt_lo_u32_b32 v3, -1, 0
	s_cbranch_scc1 .LBB33_7
; %bb.5:
	v_mbcnt_hi_u32_b32 v48, -1, v3
	v_and_b32_e32 v6, 0x60, v48
	v_add_u32_e32 v69, 32, v6
	v_xor_b32_e32 v73, 16, v48
	v_xor_b32_e32 v74, 8, v48
	;; [unrolled: 1-line block ×5, first 2 shown]
	v_lshlrev_b32_e32 v61, 2, v65
	s_cbranch_execz .LBB33_8
; %bb.6:
	v_mov_b32_e32 v37, 0
	v_mov_b32_e32 v100, 0
	;; [unrolled: 1-line block ×32, first 2 shown]
	s_branch .LBB33_10
.LBB33_7:
                                        ; implicit-def: $vgpr48
                                        ; implicit-def: $vgpr69
                                        ; implicit-def: $vgpr73
                                        ; implicit-def: $vgpr74
                                        ; implicit-def: $vgpr72
                                        ; implicit-def: $vgpr71
                                        ; implicit-def: $vgpr70
	v_lshlrev_b32_e32 v61, 2, v65
.LBB33_8:
	s_sub_i32 s4, 0, s12
	s_mul_i32 s4, s4, s14
	s_mul_hi_u32 s4, s14, s4
	s_add_i32 s14, s14, s4
	s_load_dwordx2 s[10:11], s[0:1], 0x8c
	s_load_dwordx4 s[4:7], s[0:1], 0x98
	s_abs_i32 s8, s80
	s_ashr_i32 s17, s80, 31
	s_ashr_i32 s13, s13, 31
	s_waitcnt lgkmcnt(0)
	s_ashr_i32 s86, s10, 2
	s_ashr_i32 s81, s6, 2
	;; [unrolled: 1-line block ×3, first 2 shown]
	s_mul_hi_u32 s10, s4, s33
	s_mul_i32 s18, s4, s6
	s_add_i32 s10, s10, s18
	s_mul_i32 s5, s5, s33
	s_ashr_i32 s9, s9, 1
	s_add_i32 s10, s10, s5
	s_mul_i32 s4, s4, s33
	s_mul_hi_u32 s16, s8, s14
	s_add_u32 s4, s62, s4
	s_addc_u32 s5, s63, s10
	s_xor_b32 s10, s17, s13
	s_mul_i32 s13, s16, s12
	s_sub_i32 s8, s8, s13
	s_add_i32 s13, s16, 1
	s_sub_i32 s17, s8, s12
	s_cmp_ge_u32 s8, s12
	s_cselect_b32 s13, s13, s16
	s_cselect_b32 s8, s17, s8
	s_add_i32 s16, s13, 1
	s_cmp_ge_u32 s8, s12
	s_load_dwordx2 s[14:15], s[0:1], 0xa8
	s_cselect_b32 s8, s16, s13
	s_xor_b32 s8, s8, s10
	s_sub_i32 s8, s8, s10
	s_mul_i32 s10, s8, s11
	s_ashr_i32 s11, s10, 31
	s_add_u32 s4, s4, s10
	s_waitcnt lgkmcnt(0)
	s_mul_hi_u32 s10, s14, s33
	s_mul_i32 s6, s14, s6
	s_addc_u32 s5, s5, s11
	s_add_i32 s6, s10, s6
	s_mul_i32 s10, s15, s33
	s_add_i32 s6, s6, s10
	s_mul_i32 s10, s14, s33
	s_add_u32 s10, s64, s10
	s_mul_i32 s8, s8, s7
	v_lshrrev_b32_e32 v6, 2, v65
	s_addc_u32 s11, s65, s6
	s_ashr_i32 s7, s8, 31
	v_add_u32_e32 v5, v6, v5
	v_and_b32_e32 v6, 12, v61
	s_add_u32 s6, s10, s8
	s_movk_i32 s8, 0x50
	v_mul_u32_u24_e32 v7, 0x50, v5
	v_lshlrev_b32_e32 v48, 2, v6
	v_mul_lo_u32 v6, s86, v5
	v_mov_b32_e32 v5, 0x6000
	v_mul_lo_u32 v77, v4, s9
	v_add_u32_e32 v4, 1, v67
	v_mad_u32_u24 v76, v65, s8, v5
	v_mul_hi_u32 v5, s76, v4
	v_add_u32_e32 v5, v4, v5
	v_lshrrev_b32_e32 v5, s77, v5
	v_mul_lo_u32 v5, v5, s78
	v_sub_u32_e32 v4, v4, v5
	v_mul_lo_u32 v78, v4, s9
	v_add_u32_e32 v4, 2, v67
	v_mul_hi_u32 v5, s76, v4
	v_add_u32_e32 v5, v4, v5
	v_lshrrev_b32_e32 v5, s77, v5
	v_mul_lo_u32 v5, v5, s78
	v_sub_u32_e32 v4, v4, v5
	v_mul_lo_u32 v79, v4, s9
	v_add_u32_e32 v4, 3, v67
	v_mul_hi_u32 v5, s76, v4
	v_add_u32_e32 v5, v4, v5
	v_lshrrev_b32_e32 v5, s77, v5
	v_mul_lo_u32 v5, v5, s78
	v_sub_u32_e32 v4, v4, v5
	s_movk_i32 s10, 0x6000
	v_mul_lo_u32 v80, v4, s9
	v_mov_b32_e32 v4, 0x4000
	v_add3_u32 v75, v7, v48, s10
	v_ashrrev_i32_e32 v7, 31, v6
	v_lshl_add_u32 v81, v1, 10, v4
	v_lshrrev_b32_e32 v4, 4, v65
	v_lshl_add_u64 v[6:7], v[6:7], 2, s[4:5]
	v_mov_b32_e32 v49, 0
	v_lshl_add_u32 v1, v1, 1, v4
	v_and_b32_e32 v4, 60, v61
	v_lshl_add_u64 v[44:45], v[6:7], 0, v[48:49]
	v_lshlrev_b32_e32 v48, 2, v4
	v_lshl_or_b32 v4, v1, 8, v48
	v_add_u32_e32 v82, 0x6000, v4
	v_mul_lo_u32 v4, s81, v1
	s_addc_u32 s7, s11, s7
	v_ashrrev_i32_e32 v5, 31, v4
	v_lshl_add_u64 v[4:5], v[4:5], 2, s[6:7]
	v_lshl_add_u64 v[46:47], v[4:5], 0, v[48:49]
	v_mbcnt_hi_u32_b32 v48, -1, v3
	v_or_b32_e32 v83, 0x6000, v0
	s_add_u32 s70, s0, 0xd0
	v_and_b32_e32 v1, 0x60, v48
	s_addc_u32 s71, s1, 0
	v_mov_b32_e32 v0, 0xfeffffff
	v_add_u32_e32 v69, 32, v1
	v_xor_b32_e32 v73, 16, v48
	v_xor_b32_e32 v74, 8, v48
	;; [unrolled: 1-line block ×5, first 2 shown]
	s_mov_b32 s76, 0x3fb8aa3b
	s_mov_b32 s77, 0xc2ce8ed0
	;; [unrolled: 1-line block ×3, first 2 shown]
	v_mov_b32_e32 v84, 0x7f800000
	s_mov_b32 s88, 0x10001
	v_add_u32_e32 v85, v81, v2
	v_add_u32_e32 v86, 0x800, v83
	v_mov_b32_e32 v87, v49
	v_mov_b32_e32 v89, v49
	;; [unrolled: 1-line block ×30, first 2 shown]
.LBB33_9:                               ; =>This Inner Loop Header: Depth=1
	s_mul_hi_i32 s13, s2, s86
	s_mul_i32 s12, s2, s86
	v_lshl_add_u64 v[50:51], s[12:13], 2, v[44:45]
	v_mov_b32_e32 v104, v3
	v_mov_b32_e32 v105, v2
	v_mov_b32_e32 v102, v1
	v_mov_b32_e32 v103, v0
	global_load_dwordx4 v[0:3], v[50:51], off
	v_mov_b32_e32 v110, 0
	v_mov_b32_e32 v108, v7
	;; [unrolled: 1-line block ×20, first 2 shown]
	v_add_u32_e32 v126, s2, v65
	v_cmp_lt_i32_e64 s[6:7], v74, v69
	v_cmp_lt_i32_e64 s[4:5], v72, v69
	v_cmp_lt_i32_e32 vcc, v70, v69
	s_mul_hi_i32 s15, s2, s81
	s_mul_i32 s14, s2, s81
	v_cmp_lt_i32_e64 s[8:9], v73, v69
	v_cmp_lt_i32_e64 s[10:11], v71, v69
	s_waitcnt vmcnt(0)
	ds_write_b128 v75, v[0:3]
	s_waitcnt lgkmcnt(0)
	s_barrier
	ds_read_b128 v[0:3], v76
	ds_read_b128 v[4:7], v76 offset:2560
	ds_read_b128 v[8:11], v68
	ds_read_b128 v[12:15], v68 offset:256
	ds_read_b128 v[16:19], v68 offset:512
	;; [unrolled: 1-line block ×7, first 2 shown]
	s_waitcnt lgkmcnt(7)
	;;#ASMSTART
	v_dot2_f32_f16 v110, v0, v8, v110
	;;#ASMEND
	v_cndmask_b32_e64 v127, v48, v73, s[8:9]
	;;#ASMSTART
	v_dot2_f32_f16 v110, v1, v9, v110
	;;#ASMEND
	s_nop 0
	;;#ASMSTART
	v_dot2_f32_f16 v110, v2, v10, v110
	;;#ASMEND
	s_nop 0
	;;#ASMSTART
	v_dot2_f32_f16 v110, v3, v11, v110
	;;#ASMEND
	s_waitcnt lgkmcnt(6)
	;;#ASMSTART
	v_dot2_f32_f16 v111, v0, v12, v111
	;;#ASMEND
	s_nop 0
	;;#ASMSTART
	v_dot2_f32_f16 v111, v1, v13, v111
	;;#ASMEND
	s_nop 0
	;;#ASMSTART
	v_dot2_f32_f16 v111, v2, v14, v111
	;;#ASMEND
	s_nop 0
	;;#ASMSTART
	v_dot2_f32_f16 v111, v3, v15, v111
	;;#ASMEND
	s_waitcnt lgkmcnt(5)
	;;#ASMSTART
	v_dot2_f32_f16 v112, v0, v16, v112
	;;#ASMEND
	s_nop 0
	;; [unrolled: 16-line block ×7, first 2 shown]
	;;#ASMSTART
	v_dot2_f32_f16 v117, v1, v129, v117
	;;#ASMEND
	s_nop 0
	;;#ASMSTART
	v_dot2_f32_f16 v117, v2, v130, v117
	;;#ASMEND
	s_nop 0
	;;#ASMSTART
	v_dot2_f32_f16 v117, v3, v131, v117
	;;#ASMEND
	;;#ASMSTART
	v_dot2_f32_f16 v118, v4, v8, v118
	;;#ASMEND
	s_nop 0
	;;#ASMSTART
	v_dot2_f32_f16 v118, v5, v9, v118
	;;#ASMEND
	s_nop 0
	;;#ASMSTART
	v_dot2_f32_f16 v118, v6, v10, v118
	;;#ASMEND
	s_nop 0
	;;#ASMSTART
	v_dot2_f32_f16 v118, v7, v11, v118
	;;#ASMEND
	;;#ASMSTART
	v_dot2_f32_f16 v119, v4, v12, v119
	;;#ASMEND
	s_nop 0
	;; [unrolled: 15-line block ×8, first 2 shown]
	;;#ASMSTART
	v_dot2_f32_f16 v125, v5, v129, v125
	;;#ASMEND
	s_nop 0
	;;#ASMSTART
	v_dot2_f32_f16 v125, v6, v130, v125
	;;#ASMEND
	s_nop 0
	;;#ASMSTART
	v_dot2_f32_f16 v125, v7, v131, v125
	;;#ASMEND
	ds_read_b128 v[0:3], v76 offset:16
	ds_read_b128 v[4:7], v76 offset:2576
	;; [unrolled: 1-line block ×10, first 2 shown]
	s_waitcnt lgkmcnt(7)
	;;#ASMSTART
	v_dot2_f32_f16 v110, v0, v8, v110
	;;#ASMEND
	s_nop 0
	;;#ASMSTART
	v_dot2_f32_f16 v110, v1, v9, v110
	;;#ASMEND
	s_nop 0
	;;#ASMSTART
	v_dot2_f32_f16 v110, v2, v10, v110
	;;#ASMEND
	s_nop 0
	;;#ASMSTART
	v_dot2_f32_f16 v110, v3, v11, v110
	;;#ASMEND
	s_waitcnt lgkmcnt(6)
	;;#ASMSTART
	v_dot2_f32_f16 v111, v0, v12, v111
	;;#ASMEND
	s_nop 0
	;;#ASMSTART
	v_dot2_f32_f16 v111, v1, v13, v111
	;;#ASMEND
	s_nop 0
	;;#ASMSTART
	v_dot2_f32_f16 v111, v2, v14, v111
	;;#ASMEND
	s_nop 0
	;;#ASMSTART
	v_dot2_f32_f16 v111, v3, v15, v111
	;;#ASMEND
	;; [unrolled: 16-line block ×8, first 2 shown]
	;;#ASMSTART
	v_dot2_f32_f16 v118, v4, v8, v118
	;;#ASMEND
	s_nop 0
	;;#ASMSTART
	v_dot2_f32_f16 v118, v5, v9, v118
	;;#ASMEND
	s_nop 0
	;;#ASMSTART
	v_dot2_f32_f16 v118, v6, v10, v118
	;;#ASMEND
	s_nop 0
	;;#ASMSTART
	v_dot2_f32_f16 v118, v7, v11, v118
	;;#ASMEND
	;;#ASMSTART
	v_dot2_f32_f16 v119, v4, v12, v119
	;;#ASMEND
	s_nop 0
	;;#ASMSTART
	v_dot2_f32_f16 v119, v5, v13, v119
	;;#ASMEND
	s_nop 0
	;;#ASMSTART
	v_dot2_f32_f16 v119, v6, v14, v119
	;;#ASMEND
	s_nop 0
	;;#ASMSTART
	v_dot2_f32_f16 v119, v7, v15, v119
	;;#ASMEND
	;; [unrolled: 15-line block ×8, first 2 shown]
	ds_read_b128 v[0:3], v76 offset:32
	ds_read_b128 v[4:7], v76 offset:2592
	;; [unrolled: 1-line block ×10, first 2 shown]
	s_waitcnt lgkmcnt(7)
	;;#ASMSTART
	v_dot2_f32_f16 v110, v0, v8, v110
	;;#ASMEND
	s_nop 0
	;;#ASMSTART
	v_dot2_f32_f16 v110, v1, v9, v110
	;;#ASMEND
	s_nop 0
	;;#ASMSTART
	v_dot2_f32_f16 v110, v2, v10, v110
	;;#ASMEND
	s_nop 0
	;;#ASMSTART
	v_dot2_f32_f16 v110, v3, v11, v110
	;;#ASMEND
	s_waitcnt lgkmcnt(6)
	;;#ASMSTART
	v_dot2_f32_f16 v111, v0, v12, v111
	;;#ASMEND
	s_nop 0
	;;#ASMSTART
	v_dot2_f32_f16 v111, v1, v13, v111
	;;#ASMEND
	s_nop 0
	;;#ASMSTART
	v_dot2_f32_f16 v111, v2, v14, v111
	;;#ASMEND
	s_nop 0
	;;#ASMSTART
	v_dot2_f32_f16 v111, v3, v15, v111
	;;#ASMEND
	;; [unrolled: 16-line block ×8, first 2 shown]
	;;#ASMSTART
	v_dot2_f32_f16 v118, v4, v8, v118
	;;#ASMEND
	s_nop 0
	;;#ASMSTART
	v_dot2_f32_f16 v118, v5, v9, v118
	;;#ASMEND
	s_nop 0
	;;#ASMSTART
	v_dot2_f32_f16 v118, v6, v10, v118
	;;#ASMEND
	s_nop 0
	;;#ASMSTART
	v_dot2_f32_f16 v118, v7, v11, v118
	;;#ASMEND
	;;#ASMSTART
	v_dot2_f32_f16 v119, v4, v12, v119
	;;#ASMEND
	s_nop 0
	;;#ASMSTART
	v_dot2_f32_f16 v119, v5, v13, v119
	;;#ASMEND
	s_nop 0
	;;#ASMSTART
	v_dot2_f32_f16 v119, v6, v14, v119
	;;#ASMEND
	s_nop 0
	;;#ASMSTART
	v_dot2_f32_f16 v119, v7, v15, v119
	;;#ASMEND
	;; [unrolled: 15-line block ×8, first 2 shown]
	ds_read_b128 v[0:3], v76 offset:48
	ds_read_b128 v[4:7], v76 offset:2608
	;; [unrolled: 1-line block ×10, first 2 shown]
	s_waitcnt lgkmcnt(7)
	;;#ASMSTART
	v_dot2_f32_f16 v110, v0, v8, v110
	;;#ASMEND
	s_nop 0
	;;#ASMSTART
	v_dot2_f32_f16 v110, v1, v9, v110
	;;#ASMEND
	s_nop 0
	;;#ASMSTART
	v_dot2_f32_f16 v110, v2, v10, v110
	;;#ASMEND
	s_nop 0
	;;#ASMSTART
	v_dot2_f32_f16 v110, v3, v11, v110
	;;#ASMEND
	s_waitcnt lgkmcnt(6)
	;;#ASMSTART
	v_dot2_f32_f16 v111, v0, v12, v111
	;;#ASMEND
	s_nop 0
	;;#ASMSTART
	v_dot2_f32_f16 v111, v1, v13, v111
	;;#ASMEND
	s_nop 0
	;;#ASMSTART
	v_dot2_f32_f16 v111, v2, v14, v111
	;;#ASMEND
	s_nop 0
	;;#ASMSTART
	v_dot2_f32_f16 v111, v3, v15, v111
	;;#ASMEND
	;; [unrolled: 16-line block ×8, first 2 shown]
	;;#ASMSTART
	v_dot2_f32_f16 v118, v4, v8, v118
	;;#ASMEND
	s_nop 0
	;;#ASMSTART
	v_dot2_f32_f16 v118, v5, v9, v118
	;;#ASMEND
	s_nop 0
	;;#ASMSTART
	v_dot2_f32_f16 v118, v6, v10, v118
	;;#ASMEND
	s_nop 0
	;;#ASMSTART
	v_dot2_f32_f16 v118, v7, v11, v118
	;;#ASMEND
	;;#ASMSTART
	v_dot2_f32_f16 v119, v4, v12, v119
	;;#ASMEND
	s_nop 0
	;;#ASMSTART
	v_dot2_f32_f16 v119, v5, v13, v119
	;;#ASMEND
	s_nop 0
	;;#ASMSTART
	v_dot2_f32_f16 v119, v6, v14, v119
	;;#ASMEND
	s_nop 0
	;;#ASMSTART
	v_dot2_f32_f16 v119, v7, v15, v119
	;;#ASMEND
	;; [unrolled: 15-line block ×8, first 2 shown]
	s_barrier
	global_load_dwordx4 v[0:3], v[50:51], off offset:64
	s_waitcnt vmcnt(0)
	ds_write_b128 v75, v[0:3]
	s_waitcnt lgkmcnt(0)
	s_barrier
	ds_read_b128 v[0:3], v76
	ds_read_b128 v[4:7], v76 offset:2560
	ds_read_b128 v[8:11], v68 offset:64
	ds_read_b128 v[12:15], v68 offset:320
	ds_read_b128 v[16:19], v68 offset:576
	ds_read_b128 v[20:23], v68 offset:832
	ds_read_b128 v[24:27], v68 offset:1088
	ds_read_b128 v[28:31], v68 offset:1344
	ds_read_b128 v[32:35], v68 offset:1600
	ds_read_b128 v[128:131], v68 offset:1856
	s_waitcnt lgkmcnt(7)
	;;#ASMSTART
	v_dot2_f32_f16 v110, v0, v8, v110
	;;#ASMEND
	s_nop 0
	;;#ASMSTART
	v_dot2_f32_f16 v110, v1, v9, v110
	;;#ASMEND
	s_nop 0
	;;#ASMSTART
	v_dot2_f32_f16 v110, v2, v10, v110
	;;#ASMEND
	s_nop 0
	;;#ASMSTART
	v_dot2_f32_f16 v110, v3, v11, v110
	;;#ASMEND
	s_waitcnt lgkmcnt(6)
	;;#ASMSTART
	v_dot2_f32_f16 v111, v0, v12, v111
	;;#ASMEND
	s_nop 0
	;;#ASMSTART
	v_dot2_f32_f16 v111, v1, v13, v111
	;;#ASMEND
	s_nop 0
	;;#ASMSTART
	v_dot2_f32_f16 v111, v2, v14, v111
	;;#ASMEND
	s_nop 0
	;;#ASMSTART
	v_dot2_f32_f16 v111, v3, v15, v111
	;;#ASMEND
	s_waitcnt lgkmcnt(5)
	;;#ASMSTART
	v_dot2_f32_f16 v112, v0, v16, v112
	;;#ASMEND
	s_nop 0
	;;#ASMSTART
	v_dot2_f32_f16 v112, v1, v17, v112
	;;#ASMEND
	s_nop 0
	;;#ASMSTART
	v_dot2_f32_f16 v112, v2, v18, v112
	;;#ASMEND
	s_nop 0
	;;#ASMSTART
	v_dot2_f32_f16 v112, v3, v19, v112
	;;#ASMEND
	s_waitcnt lgkmcnt(4)
	;;#ASMSTART
	v_dot2_f32_f16 v113, v0, v20, v113
	;;#ASMEND
	s_nop 0
	;;#ASMSTART
	v_dot2_f32_f16 v113, v1, v21, v113
	;;#ASMEND
	s_nop 0
	;;#ASMSTART
	v_dot2_f32_f16 v113, v2, v22, v113
	;;#ASMEND
	s_nop 0
	;;#ASMSTART
	v_dot2_f32_f16 v113, v3, v23, v113
	;;#ASMEND
	s_waitcnt lgkmcnt(3)
	;;#ASMSTART
	v_dot2_f32_f16 v114, v0, v24, v114
	;;#ASMEND
	s_nop 0
	;;#ASMSTART
	v_dot2_f32_f16 v114, v1, v25, v114
	;;#ASMEND
	s_nop 0
	;;#ASMSTART
	v_dot2_f32_f16 v114, v2, v26, v114
	;;#ASMEND
	s_nop 0
	;;#ASMSTART
	v_dot2_f32_f16 v114, v3, v27, v114
	;;#ASMEND
	s_waitcnt lgkmcnt(2)
	;;#ASMSTART
	v_dot2_f32_f16 v115, v0, v28, v115
	;;#ASMEND
	s_nop 0
	;;#ASMSTART
	v_dot2_f32_f16 v115, v1, v29, v115
	;;#ASMEND
	s_nop 0
	;;#ASMSTART
	v_dot2_f32_f16 v115, v2, v30, v115
	;;#ASMEND
	s_nop 0
	;;#ASMSTART
	v_dot2_f32_f16 v115, v3, v31, v115
	;;#ASMEND
	s_waitcnt lgkmcnt(1)
	;;#ASMSTART
	v_dot2_f32_f16 v116, v0, v32, v116
	;;#ASMEND
	s_nop 0
	;;#ASMSTART
	v_dot2_f32_f16 v116, v1, v33, v116
	;;#ASMEND
	s_nop 0
	;;#ASMSTART
	v_dot2_f32_f16 v116, v2, v34, v116
	;;#ASMEND
	s_nop 0
	;;#ASMSTART
	v_dot2_f32_f16 v116, v3, v35, v116
	;;#ASMEND
	s_waitcnt lgkmcnt(0)
	;;#ASMSTART
	v_dot2_f32_f16 v117, v0, v128, v117
	;;#ASMEND
	s_nop 0
	;;#ASMSTART
	v_dot2_f32_f16 v117, v1, v129, v117
	;;#ASMEND
	s_nop 0
	;;#ASMSTART
	v_dot2_f32_f16 v117, v2, v130, v117
	;;#ASMEND
	s_nop 0
	;;#ASMSTART
	v_dot2_f32_f16 v117, v3, v131, v117
	;;#ASMEND
	;;#ASMSTART
	v_dot2_f32_f16 v118, v4, v8, v118
	;;#ASMEND
	s_nop 0
	;;#ASMSTART
	v_dot2_f32_f16 v118, v5, v9, v118
	;;#ASMEND
	s_nop 0
	;;#ASMSTART
	v_dot2_f32_f16 v118, v6, v10, v118
	;;#ASMEND
	s_nop 0
	;;#ASMSTART
	v_dot2_f32_f16 v118, v7, v11, v118
	;;#ASMEND
	;;#ASMSTART
	v_dot2_f32_f16 v119, v4, v12, v119
	;;#ASMEND
	s_nop 0
	;;#ASMSTART
	v_dot2_f32_f16 v119, v5, v13, v119
	;;#ASMEND
	s_nop 0
	;;#ASMSTART
	v_dot2_f32_f16 v119, v6, v14, v119
	;;#ASMEND
	s_nop 0
	;;#ASMSTART
	v_dot2_f32_f16 v119, v7, v15, v119
	;;#ASMEND
	;;#ASMSTART
	v_dot2_f32_f16 v120, v4, v16, v120
	;;#ASMEND
	s_nop 0
	;;#ASMSTART
	v_dot2_f32_f16 v120, v5, v17, v120
	;;#ASMEND
	s_nop 0
	;;#ASMSTART
	v_dot2_f32_f16 v120, v6, v18, v120
	;;#ASMEND
	s_nop 0
	;;#ASMSTART
	v_dot2_f32_f16 v120, v7, v19, v120
	;;#ASMEND
	;;#ASMSTART
	v_dot2_f32_f16 v121, v4, v20, v121
	;;#ASMEND
	s_nop 0
	;;#ASMSTART
	v_dot2_f32_f16 v121, v5, v21, v121
	;;#ASMEND
	s_nop 0
	;;#ASMSTART
	v_dot2_f32_f16 v121, v6, v22, v121
	;;#ASMEND
	s_nop 0
	;;#ASMSTART
	v_dot2_f32_f16 v121, v7, v23, v121
	;;#ASMEND
	;;#ASMSTART
	v_dot2_f32_f16 v122, v4, v24, v122
	;;#ASMEND
	s_nop 0
	;;#ASMSTART
	v_dot2_f32_f16 v122, v5, v25, v122
	;;#ASMEND
	s_nop 0
	;;#ASMSTART
	v_dot2_f32_f16 v122, v6, v26, v122
	;;#ASMEND
	s_nop 0
	;;#ASMSTART
	v_dot2_f32_f16 v122, v7, v27, v122
	;;#ASMEND
	;;#ASMSTART
	v_dot2_f32_f16 v123, v4, v28, v123
	;;#ASMEND
	s_nop 0
	;;#ASMSTART
	v_dot2_f32_f16 v123, v5, v29, v123
	;;#ASMEND
	s_nop 0
	;;#ASMSTART
	v_dot2_f32_f16 v123, v6, v30, v123
	;;#ASMEND
	s_nop 0
	;;#ASMSTART
	v_dot2_f32_f16 v123, v7, v31, v123
	;;#ASMEND
	;;#ASMSTART
	v_dot2_f32_f16 v124, v4, v32, v124
	;;#ASMEND
	s_nop 0
	;;#ASMSTART
	v_dot2_f32_f16 v124, v5, v33, v124
	;;#ASMEND
	s_nop 0
	;;#ASMSTART
	v_dot2_f32_f16 v124, v6, v34, v124
	;;#ASMEND
	s_nop 0
	;;#ASMSTART
	v_dot2_f32_f16 v124, v7, v35, v124
	;;#ASMEND
	;;#ASMSTART
	v_dot2_f32_f16 v125, v4, v128, v125
	;;#ASMEND
	s_nop 0
	;;#ASMSTART
	v_dot2_f32_f16 v125, v5, v129, v125
	;;#ASMEND
	s_nop 0
	;;#ASMSTART
	v_dot2_f32_f16 v125, v6, v130, v125
	;;#ASMEND
	s_nop 0
	;;#ASMSTART
	v_dot2_f32_f16 v125, v7, v131, v125
	;;#ASMEND
	ds_read_b128 v[0:3], v76 offset:16
	ds_read_b128 v[4:7], v76 offset:2576
	;; [unrolled: 1-line block ×10, first 2 shown]
	s_waitcnt lgkmcnt(7)
	;;#ASMSTART
	v_dot2_f32_f16 v110, v0, v8, v110
	;;#ASMEND
	s_nop 0
	;;#ASMSTART
	v_dot2_f32_f16 v110, v1, v9, v110
	;;#ASMEND
	s_nop 0
	;;#ASMSTART
	v_dot2_f32_f16 v110, v2, v10, v110
	;;#ASMEND
	s_nop 0
	;;#ASMSTART
	v_dot2_f32_f16 v110, v3, v11, v110
	;;#ASMEND
	s_waitcnt lgkmcnt(6)
	;;#ASMSTART
	v_dot2_f32_f16 v111, v0, v12, v111
	;;#ASMEND
	s_nop 0
	;;#ASMSTART
	v_dot2_f32_f16 v111, v1, v13, v111
	;;#ASMEND
	s_nop 0
	;;#ASMSTART
	v_dot2_f32_f16 v111, v2, v14, v111
	;;#ASMEND
	s_nop 0
	;;#ASMSTART
	v_dot2_f32_f16 v111, v3, v15, v111
	;;#ASMEND
	;; [unrolled: 16-line block ×8, first 2 shown]
	;;#ASMSTART
	v_dot2_f32_f16 v118, v4, v8, v118
	;;#ASMEND
	s_nop 0
	;;#ASMSTART
	v_dot2_f32_f16 v118, v5, v9, v118
	;;#ASMEND
	s_nop 0
	;;#ASMSTART
	v_dot2_f32_f16 v118, v6, v10, v118
	;;#ASMEND
	s_nop 0
	;;#ASMSTART
	v_dot2_f32_f16 v118, v7, v11, v118
	;;#ASMEND
	;;#ASMSTART
	v_dot2_f32_f16 v119, v4, v12, v119
	;;#ASMEND
	s_nop 0
	;;#ASMSTART
	v_dot2_f32_f16 v119, v5, v13, v119
	;;#ASMEND
	s_nop 0
	;;#ASMSTART
	v_dot2_f32_f16 v119, v6, v14, v119
	;;#ASMEND
	s_nop 0
	;;#ASMSTART
	v_dot2_f32_f16 v119, v7, v15, v119
	;;#ASMEND
	;; [unrolled: 15-line block ×8, first 2 shown]
	ds_read_b128 v[0:3], v76 offset:32
	ds_read_b128 v[4:7], v76 offset:2592
	;; [unrolled: 1-line block ×10, first 2 shown]
	s_waitcnt lgkmcnt(7)
	;;#ASMSTART
	v_dot2_f32_f16 v110, v0, v8, v110
	;;#ASMEND
	s_nop 0
	;;#ASMSTART
	v_dot2_f32_f16 v110, v1, v9, v110
	;;#ASMEND
	s_nop 0
	;;#ASMSTART
	v_dot2_f32_f16 v110, v2, v10, v110
	;;#ASMEND
	s_nop 0
	;;#ASMSTART
	v_dot2_f32_f16 v110, v3, v11, v110
	;;#ASMEND
	s_waitcnt lgkmcnt(6)
	;;#ASMSTART
	v_dot2_f32_f16 v111, v0, v12, v111
	;;#ASMEND
	s_nop 0
	;;#ASMSTART
	v_dot2_f32_f16 v111, v1, v13, v111
	;;#ASMEND
	s_nop 0
	;;#ASMSTART
	v_dot2_f32_f16 v111, v2, v14, v111
	;;#ASMEND
	s_nop 0
	;;#ASMSTART
	v_dot2_f32_f16 v111, v3, v15, v111
	;;#ASMEND
	;; [unrolled: 16-line block ×8, first 2 shown]
	;;#ASMSTART
	v_dot2_f32_f16 v118, v4, v8, v118
	;;#ASMEND
	s_nop 0
	;;#ASMSTART
	v_dot2_f32_f16 v118, v5, v9, v118
	;;#ASMEND
	s_nop 0
	;;#ASMSTART
	v_dot2_f32_f16 v118, v6, v10, v118
	;;#ASMEND
	s_nop 0
	;;#ASMSTART
	v_dot2_f32_f16 v118, v7, v11, v118
	;;#ASMEND
	;;#ASMSTART
	v_dot2_f32_f16 v119, v4, v12, v119
	;;#ASMEND
	s_nop 0
	;;#ASMSTART
	v_dot2_f32_f16 v119, v5, v13, v119
	;;#ASMEND
	s_nop 0
	;;#ASMSTART
	v_dot2_f32_f16 v119, v6, v14, v119
	;;#ASMEND
	s_nop 0
	;;#ASMSTART
	v_dot2_f32_f16 v119, v7, v15, v119
	;;#ASMEND
	;; [unrolled: 15-line block ×8, first 2 shown]
	ds_read_b128 v[0:3], v76 offset:48
	ds_read_b128 v[4:7], v76 offset:2608
	;; [unrolled: 1-line block ×10, first 2 shown]
	s_waitcnt lgkmcnt(7)
	;;#ASMSTART
	v_dot2_f32_f16 v110, v0, v8, v110
	;;#ASMEND
	s_nop 0
	;;#ASMSTART
	v_dot2_f32_f16 v110, v1, v9, v110
	;;#ASMEND
	s_nop 0
	;;#ASMSTART
	v_dot2_f32_f16 v110, v2, v10, v110
	;;#ASMEND
	s_nop 0
	;;#ASMSTART
	v_dot2_f32_f16 v110, v3, v11, v110
	;;#ASMEND
	s_waitcnt lgkmcnt(6)
	;;#ASMSTART
	v_dot2_f32_f16 v111, v0, v12, v111
	;;#ASMEND
	s_nop 0
	;;#ASMSTART
	v_dot2_f32_f16 v111, v1, v13, v111
	;;#ASMEND
	s_nop 0
	;;#ASMSTART
	v_dot2_f32_f16 v111, v2, v14, v111
	;;#ASMEND
	s_nop 0
	;;#ASMSTART
	v_dot2_f32_f16 v111, v3, v15, v111
	;;#ASMEND
	;; [unrolled: 16-line block ×8, first 2 shown]
	;;#ASMSTART
	v_dot2_f32_f16 v118, v4, v8, v118
	;;#ASMEND
	s_nop 0
	;;#ASMSTART
	v_dot2_f32_f16 v118, v5, v9, v118
	;;#ASMEND
	s_nop 0
	;;#ASMSTART
	v_dot2_f32_f16 v118, v6, v10, v118
	;;#ASMEND
	s_nop 0
	;;#ASMSTART
	v_dot2_f32_f16 v118, v7, v11, v118
	;;#ASMEND
	;;#ASMSTART
	v_dot2_f32_f16 v119, v4, v12, v119
	;;#ASMEND
	s_nop 0
	;;#ASMSTART
	v_dot2_f32_f16 v119, v5, v13, v119
	;;#ASMEND
	s_nop 0
	;;#ASMSTART
	v_dot2_f32_f16 v119, v6, v14, v119
	;;#ASMEND
	s_nop 0
	;;#ASMSTART
	v_dot2_f32_f16 v119, v7, v15, v119
	;;#ASMEND
	;; [unrolled: 15-line block ×8, first 2 shown]
	s_barrier
	global_load_dwordx4 v[0:3], v[50:51], off offset:128
	s_waitcnt vmcnt(0)
	ds_write_b128 v75, v[0:3]
	s_waitcnt lgkmcnt(0)
	s_barrier
	ds_read_b128 v[0:3], v76
	ds_read_b128 v[4:7], v76 offset:2560
	ds_read_b128 v[8:11], v68 offset:128
	;; [unrolled: 1-line block ×9, first 2 shown]
	s_waitcnt lgkmcnt(7)
	;;#ASMSTART
	v_dot2_f32_f16 v110, v0, v8, v110
	;;#ASMEND
	s_nop 0
	;;#ASMSTART
	v_dot2_f32_f16 v110, v1, v9, v110
	;;#ASMEND
	s_nop 0
	;;#ASMSTART
	v_dot2_f32_f16 v110, v2, v10, v110
	;;#ASMEND
	s_nop 0
	;;#ASMSTART
	v_dot2_f32_f16 v110, v3, v11, v110
	;;#ASMEND
	s_waitcnt lgkmcnt(6)
	;;#ASMSTART
	v_dot2_f32_f16 v111, v0, v12, v111
	;;#ASMEND
	s_nop 0
	;;#ASMSTART
	v_dot2_f32_f16 v111, v1, v13, v111
	;;#ASMEND
	s_nop 0
	;;#ASMSTART
	v_dot2_f32_f16 v111, v2, v14, v111
	;;#ASMEND
	s_nop 0
	;;#ASMSTART
	v_dot2_f32_f16 v111, v3, v15, v111
	;;#ASMEND
	;; [unrolled: 16-line block ×8, first 2 shown]
	;;#ASMSTART
	v_dot2_f32_f16 v118, v4, v8, v118
	;;#ASMEND
	s_nop 0
	;;#ASMSTART
	v_dot2_f32_f16 v118, v5, v9, v118
	;;#ASMEND
	s_nop 0
	;;#ASMSTART
	v_dot2_f32_f16 v118, v6, v10, v118
	;;#ASMEND
	s_nop 0
	;;#ASMSTART
	v_dot2_f32_f16 v118, v7, v11, v118
	;;#ASMEND
	;;#ASMSTART
	v_dot2_f32_f16 v119, v4, v12, v119
	;;#ASMEND
	s_nop 0
	;;#ASMSTART
	v_dot2_f32_f16 v119, v5, v13, v119
	;;#ASMEND
	s_nop 0
	;;#ASMSTART
	v_dot2_f32_f16 v119, v6, v14, v119
	;;#ASMEND
	s_nop 0
	;;#ASMSTART
	v_dot2_f32_f16 v119, v7, v15, v119
	;;#ASMEND
	;; [unrolled: 15-line block ×8, first 2 shown]
	ds_read_b128 v[0:3], v76 offset:16
	ds_read_b128 v[4:7], v76 offset:2576
	;; [unrolled: 1-line block ×10, first 2 shown]
	s_waitcnt lgkmcnt(7)
	;;#ASMSTART
	v_dot2_f32_f16 v110, v0, v8, v110
	;;#ASMEND
	s_nop 0
	;;#ASMSTART
	v_dot2_f32_f16 v110, v1, v9, v110
	;;#ASMEND
	s_nop 0
	;;#ASMSTART
	v_dot2_f32_f16 v110, v2, v10, v110
	;;#ASMEND
	s_nop 0
	;;#ASMSTART
	v_dot2_f32_f16 v110, v3, v11, v110
	;;#ASMEND
	s_waitcnt lgkmcnt(6)
	;;#ASMSTART
	v_dot2_f32_f16 v111, v0, v12, v111
	;;#ASMEND
	s_nop 0
	;;#ASMSTART
	v_dot2_f32_f16 v111, v1, v13, v111
	;;#ASMEND
	s_nop 0
	;;#ASMSTART
	v_dot2_f32_f16 v111, v2, v14, v111
	;;#ASMEND
	s_nop 0
	;;#ASMSTART
	v_dot2_f32_f16 v111, v3, v15, v111
	;;#ASMEND
	;; [unrolled: 16-line block ×8, first 2 shown]
	;;#ASMSTART
	v_dot2_f32_f16 v118, v4, v8, v118
	;;#ASMEND
	s_nop 0
	;;#ASMSTART
	v_dot2_f32_f16 v118, v5, v9, v118
	;;#ASMEND
	s_nop 0
	;;#ASMSTART
	v_dot2_f32_f16 v118, v6, v10, v118
	;;#ASMEND
	s_nop 0
	;;#ASMSTART
	v_dot2_f32_f16 v118, v7, v11, v118
	;;#ASMEND
	;;#ASMSTART
	v_dot2_f32_f16 v119, v4, v12, v119
	;;#ASMEND
	s_nop 0
	;;#ASMSTART
	v_dot2_f32_f16 v119, v5, v13, v119
	;;#ASMEND
	s_nop 0
	;;#ASMSTART
	v_dot2_f32_f16 v119, v6, v14, v119
	;;#ASMEND
	s_nop 0
	;;#ASMSTART
	v_dot2_f32_f16 v119, v7, v15, v119
	;;#ASMEND
	;; [unrolled: 15-line block ×8, first 2 shown]
	ds_read_b128 v[0:3], v76 offset:32
	ds_read_b128 v[4:7], v76 offset:2592
	;; [unrolled: 1-line block ×10, first 2 shown]
	s_waitcnt lgkmcnt(7)
	;;#ASMSTART
	v_dot2_f32_f16 v110, v0, v8, v110
	;;#ASMEND
	s_nop 0
	;;#ASMSTART
	v_dot2_f32_f16 v110, v1, v9, v110
	;;#ASMEND
	s_nop 0
	;;#ASMSTART
	v_dot2_f32_f16 v110, v2, v10, v110
	;;#ASMEND
	s_nop 0
	;;#ASMSTART
	v_dot2_f32_f16 v110, v3, v11, v110
	;;#ASMEND
	s_waitcnt lgkmcnt(6)
	;;#ASMSTART
	v_dot2_f32_f16 v111, v0, v12, v111
	;;#ASMEND
	s_nop 0
	;;#ASMSTART
	v_dot2_f32_f16 v111, v1, v13, v111
	;;#ASMEND
	s_nop 0
	;;#ASMSTART
	v_dot2_f32_f16 v111, v2, v14, v111
	;;#ASMEND
	s_nop 0
	;;#ASMSTART
	v_dot2_f32_f16 v111, v3, v15, v111
	;;#ASMEND
	s_waitcnt lgkmcnt(5)
	;;#ASMSTART
	v_dot2_f32_f16 v112, v0, v16, v112
	;;#ASMEND
	s_nop 0
	;;#ASMSTART
	v_dot2_f32_f16 v112, v1, v17, v112
	;;#ASMEND
	s_nop 0
	;;#ASMSTART
	v_dot2_f32_f16 v112, v2, v18, v112
	;;#ASMEND
	s_nop 0
	;;#ASMSTART
	v_dot2_f32_f16 v112, v3, v19, v112
	;;#ASMEND
	s_waitcnt lgkmcnt(4)
	;;#ASMSTART
	v_dot2_f32_f16 v113, v0, v20, v113
	;;#ASMEND
	s_nop 0
	;;#ASMSTART
	v_dot2_f32_f16 v113, v1, v21, v113
	;;#ASMEND
	s_nop 0
	;;#ASMSTART
	v_dot2_f32_f16 v113, v2, v22, v113
	;;#ASMEND
	s_nop 0
	;;#ASMSTART
	v_dot2_f32_f16 v113, v3, v23, v113
	;;#ASMEND
	s_waitcnt lgkmcnt(3)
	;;#ASMSTART
	v_dot2_f32_f16 v114, v0, v24, v114
	;;#ASMEND
	s_nop 0
	;;#ASMSTART
	v_dot2_f32_f16 v114, v1, v25, v114
	;;#ASMEND
	s_nop 0
	;;#ASMSTART
	v_dot2_f32_f16 v114, v2, v26, v114
	;;#ASMEND
	s_nop 0
	;;#ASMSTART
	v_dot2_f32_f16 v114, v3, v27, v114
	;;#ASMEND
	s_waitcnt lgkmcnt(2)
	;;#ASMSTART
	v_dot2_f32_f16 v115, v0, v28, v115
	;;#ASMEND
	s_nop 0
	;;#ASMSTART
	v_dot2_f32_f16 v115, v1, v29, v115
	;;#ASMEND
	s_nop 0
	;;#ASMSTART
	v_dot2_f32_f16 v115, v2, v30, v115
	;;#ASMEND
	s_nop 0
	;;#ASMSTART
	v_dot2_f32_f16 v115, v3, v31, v115
	;;#ASMEND
	s_waitcnt lgkmcnt(1)
	;;#ASMSTART
	v_dot2_f32_f16 v116, v0, v32, v116
	;;#ASMEND
	s_nop 0
	;;#ASMSTART
	v_dot2_f32_f16 v116, v1, v33, v116
	;;#ASMEND
	s_nop 0
	;;#ASMSTART
	v_dot2_f32_f16 v116, v2, v34, v116
	;;#ASMEND
	s_nop 0
	;;#ASMSTART
	v_dot2_f32_f16 v116, v3, v35, v116
	;;#ASMEND
	s_waitcnt lgkmcnt(0)
	;;#ASMSTART
	v_dot2_f32_f16 v117, v0, v128, v117
	;;#ASMEND
	s_nop 0
	;;#ASMSTART
	v_dot2_f32_f16 v117, v1, v129, v117
	;;#ASMEND
	s_nop 0
	;;#ASMSTART
	v_dot2_f32_f16 v117, v2, v130, v117
	;;#ASMEND
	s_nop 0
	;;#ASMSTART
	v_dot2_f32_f16 v117, v3, v131, v117
	;;#ASMEND
	;;#ASMSTART
	v_dot2_f32_f16 v118, v4, v8, v118
	;;#ASMEND
	s_nop 0
	;;#ASMSTART
	v_dot2_f32_f16 v118, v5, v9, v118
	;;#ASMEND
	s_nop 0
	;;#ASMSTART
	v_dot2_f32_f16 v118, v6, v10, v118
	;;#ASMEND
	s_nop 0
	;;#ASMSTART
	v_dot2_f32_f16 v118, v7, v11, v118
	;;#ASMEND
	;;#ASMSTART
	v_dot2_f32_f16 v119, v4, v12, v119
	;;#ASMEND
	s_nop 0
	;;#ASMSTART
	v_dot2_f32_f16 v119, v5, v13, v119
	;;#ASMEND
	s_nop 0
	;;#ASMSTART
	v_dot2_f32_f16 v119, v6, v14, v119
	;;#ASMEND
	s_nop 0
	;;#ASMSTART
	v_dot2_f32_f16 v119, v7, v15, v119
	;;#ASMEND
	;; [unrolled: 15-line block ×8, first 2 shown]
	ds_read_b128 v[128:131], v76 offset:48
	ds_read_b128 v[0:3], v76 offset:2608
	;; [unrolled: 1-line block ×10, first 2 shown]
	s_waitcnt lgkmcnt(7)
	;;#ASMSTART
	v_dot2_f32_f16 v110, v128, v32, v110
	;;#ASMEND
	s_nop 0
	;;#ASMSTART
	v_dot2_f32_f16 v110, v129, v33, v110
	;;#ASMEND
	s_nop 0
	;;#ASMSTART
	v_dot2_f32_f16 v110, v130, v34, v110
	;;#ASMEND
	s_nop 0
	;;#ASMSTART
	v_dot2_f32_f16 v110, v131, v35, v110
	;;#ASMEND
	s_waitcnt lgkmcnt(6)
	;;#ASMSTART
	v_dot2_f32_f16 v111, v128, v28, v111
	;;#ASMEND
	s_nop 0
	;;#ASMSTART
	v_dot2_f32_f16 v111, v129, v29, v111
	;;#ASMEND
	s_nop 0
	;;#ASMSTART
	v_dot2_f32_f16 v111, v130, v30, v111
	;;#ASMEND
	s_nop 0
	;;#ASMSTART
	v_dot2_f32_f16 v111, v131, v31, v111
	;;#ASMEND
	;; [unrolled: 16-line block ×7, first 2 shown]
	s_waitcnt lgkmcnt(0)
	;;#ASMSTART
	v_dot2_f32_f16 v117, v128, v4, v117
	;;#ASMEND
	v_cndmask_b32_e64 v128, v48, v74, s[6:7]
	;;#ASMSTART
	v_dot2_f32_f16 v117, v129, v5, v117
	;;#ASMEND
	v_lshlrev_b32_e32 v129, 2, v128
	;;#ASMSTART
	v_dot2_f32_f16 v117, v130, v6, v117
	;;#ASMEND
	s_nop 0
	;;#ASMSTART
	v_dot2_f32_f16 v117, v131, v7, v117
	;;#ASMEND
	;;#ASMSTART
	v_dot2_f32_f16 v118, v0, v32, v118
	;;#ASMEND
	s_nop 0
	;;#ASMSTART
	v_dot2_f32_f16 v118, v1, v33, v118
	;;#ASMEND
	s_nop 0
	;;#ASMSTART
	v_dot2_f32_f16 v118, v2, v34, v118
	;;#ASMEND
	s_nop 0
	;;#ASMSTART
	v_dot2_f32_f16 v118, v3, v35, v118
	;;#ASMEND
	;;#ASMSTART
	v_dot2_f32_f16 v119, v0, v28, v119
	;;#ASMEND
	s_nop 0
	;;#ASMSTART
	v_dot2_f32_f16 v119, v1, v29, v119
	;;#ASMEND
	s_nop 0
	;; [unrolled: 15-line block ×8, first 2 shown]
	;;#ASMSTART
	v_dot2_f32_f16 v125, v2, v6, v125
	;;#ASMEND
	s_nop 0
	;;#ASMSTART
	v_dot2_f32_f16 v125, v3, v7, v125
	;;#ASMEND
	s_barrier
	global_load_dwordx4 v[0:3], v[50:51], off offset:192
	v_cndmask_b32_e64 v51, v48, v72, s[4:5]
	v_add_u32_e32 v50, v126, v79
	v_lshlrev_b32_e32 v128, 2, v51
	v_ashrrev_i32_e32 v51, 31, v50
	s_waitcnt vmcnt(0)
	ds_write_b128 v75, v[0:3]
	s_waitcnt lgkmcnt(0)
	s_barrier
	ds_read_b128 v[0:3], v76
	ds_read_b128 v[4:7], v76 offset:2560
	ds_read_b128 v[8:11], v68 offset:192
	;; [unrolled: 1-line block ×9, first 2 shown]
	s_waitcnt lgkmcnt(7)
	;;#ASMSTART
	v_dot2_f32_f16 v110, v0, v8, v110
	;;#ASMEND
	s_nop 0
	;;#ASMSTART
	v_dot2_f32_f16 v110, v1, v9, v110
	;;#ASMEND
	s_nop 0
	;;#ASMSTART
	v_dot2_f32_f16 v110, v2, v10, v110
	;;#ASMEND
	s_nop 0
	;;#ASMSTART
	v_dot2_f32_f16 v110, v3, v11, v110
	;;#ASMEND
	s_waitcnt lgkmcnt(6)
	;;#ASMSTART
	v_dot2_f32_f16 v111, v0, v12, v111
	;;#ASMEND
	s_nop 0
	;;#ASMSTART
	v_dot2_f32_f16 v111, v1, v13, v111
	;;#ASMEND
	s_nop 0
	;;#ASMSTART
	v_dot2_f32_f16 v111, v2, v14, v111
	;;#ASMEND
	s_nop 0
	;;#ASMSTART
	v_dot2_f32_f16 v111, v3, v15, v111
	;;#ASMEND
	;; [unrolled: 16-line block ×8, first 2 shown]
	;;#ASMSTART
	v_dot2_f32_f16 v118, v4, v8, v118
	;;#ASMEND
	s_nop 0
	;;#ASMSTART
	v_dot2_f32_f16 v118, v5, v9, v118
	;;#ASMEND
	s_nop 0
	;;#ASMSTART
	v_dot2_f32_f16 v118, v6, v10, v118
	;;#ASMEND
	s_nop 0
	;;#ASMSTART
	v_dot2_f32_f16 v118, v7, v11, v118
	;;#ASMEND
	;;#ASMSTART
	v_dot2_f32_f16 v119, v4, v12, v119
	;;#ASMEND
	s_nop 0
	;;#ASMSTART
	v_dot2_f32_f16 v119, v5, v13, v119
	;;#ASMEND
	s_nop 0
	;;#ASMSTART
	v_dot2_f32_f16 v119, v6, v14, v119
	;;#ASMEND
	s_nop 0
	;;#ASMSTART
	v_dot2_f32_f16 v119, v7, v15, v119
	;;#ASMEND
	;; [unrolled: 15-line block ×8, first 2 shown]
	ds_read_b128 v[0:3], v76 offset:16
	ds_read_b128 v[4:7], v76 offset:2576
	;; [unrolled: 1-line block ×10, first 2 shown]
	s_waitcnt lgkmcnt(7)
	;;#ASMSTART
	v_dot2_f32_f16 v110, v0, v8, v110
	;;#ASMEND
	s_nop 0
	;;#ASMSTART
	v_dot2_f32_f16 v110, v1, v9, v110
	;;#ASMEND
	s_nop 0
	;;#ASMSTART
	v_dot2_f32_f16 v110, v2, v10, v110
	;;#ASMEND
	s_nop 0
	;;#ASMSTART
	v_dot2_f32_f16 v110, v3, v11, v110
	;;#ASMEND
	s_waitcnt lgkmcnt(6)
	;;#ASMSTART
	v_dot2_f32_f16 v111, v0, v12, v111
	;;#ASMEND
	s_nop 0
	;;#ASMSTART
	v_dot2_f32_f16 v111, v1, v13, v111
	;;#ASMEND
	s_nop 0
	;;#ASMSTART
	v_dot2_f32_f16 v111, v2, v14, v111
	;;#ASMEND
	s_nop 0
	;;#ASMSTART
	v_dot2_f32_f16 v111, v3, v15, v111
	;;#ASMEND
	s_waitcnt lgkmcnt(5)
	;;#ASMSTART
	v_dot2_f32_f16 v112, v0, v16, v112
	;;#ASMEND
	s_nop 0
	;;#ASMSTART
	v_dot2_f32_f16 v112, v1, v17, v112
	;;#ASMEND
	s_nop 0
	;;#ASMSTART
	v_dot2_f32_f16 v112, v2, v18, v112
	;;#ASMEND
	s_nop 0
	;;#ASMSTART
	v_dot2_f32_f16 v112, v3, v19, v112
	;;#ASMEND
	s_waitcnt lgkmcnt(4)
	;;#ASMSTART
	v_dot2_f32_f16 v113, v0, v20, v113
	;;#ASMEND
	s_nop 0
	;;#ASMSTART
	v_dot2_f32_f16 v113, v1, v21, v113
	;;#ASMEND
	s_nop 0
	;;#ASMSTART
	v_dot2_f32_f16 v113, v2, v22, v113
	;;#ASMEND
	s_nop 0
	;;#ASMSTART
	v_dot2_f32_f16 v113, v3, v23, v113
	;;#ASMEND
	s_waitcnt lgkmcnt(3)
	;;#ASMSTART
	v_dot2_f32_f16 v114, v0, v24, v114
	;;#ASMEND
	s_nop 0
	;;#ASMSTART
	v_dot2_f32_f16 v114, v1, v25, v114
	;;#ASMEND
	s_nop 0
	;;#ASMSTART
	v_dot2_f32_f16 v114, v2, v26, v114
	;;#ASMEND
	s_nop 0
	;;#ASMSTART
	v_dot2_f32_f16 v114, v3, v27, v114
	;;#ASMEND
	s_waitcnt lgkmcnt(2)
	;;#ASMSTART
	v_dot2_f32_f16 v115, v0, v28, v115
	;;#ASMEND
	s_nop 0
	;;#ASMSTART
	v_dot2_f32_f16 v115, v1, v29, v115
	;;#ASMEND
	s_nop 0
	;;#ASMSTART
	v_dot2_f32_f16 v115, v2, v30, v115
	;;#ASMEND
	s_nop 0
	;;#ASMSTART
	v_dot2_f32_f16 v115, v3, v31, v115
	;;#ASMEND
	s_waitcnt lgkmcnt(1)
	;;#ASMSTART
	v_dot2_f32_f16 v116, v0, v32, v116
	;;#ASMEND
	s_nop 0
	;;#ASMSTART
	v_dot2_f32_f16 v116, v1, v33, v116
	;;#ASMEND
	s_nop 0
	;;#ASMSTART
	v_dot2_f32_f16 v116, v2, v34, v116
	;;#ASMEND
	s_nop 0
	;;#ASMSTART
	v_dot2_f32_f16 v116, v3, v35, v116
	;;#ASMEND
	s_waitcnt lgkmcnt(0)
	;;#ASMSTART
	v_dot2_f32_f16 v117, v0, v130, v117
	;;#ASMEND
	s_nop 0
	;;#ASMSTART
	v_dot2_f32_f16 v117, v1, v131, v117
	;;#ASMEND
	s_nop 0
	;;#ASMSTART
	v_dot2_f32_f16 v117, v2, v132, v117
	;;#ASMEND
	s_nop 0
	;;#ASMSTART
	v_dot2_f32_f16 v117, v3, v133, v117
	;;#ASMEND
	;;#ASMSTART
	v_dot2_f32_f16 v118, v4, v8, v118
	;;#ASMEND
	s_nop 0
	;;#ASMSTART
	v_dot2_f32_f16 v118, v5, v9, v118
	;;#ASMEND
	s_nop 0
	;;#ASMSTART
	v_dot2_f32_f16 v118, v6, v10, v118
	;;#ASMEND
	s_nop 0
	;;#ASMSTART
	v_dot2_f32_f16 v118, v7, v11, v118
	;;#ASMEND
	;;#ASMSTART
	v_dot2_f32_f16 v119, v4, v12, v119
	;;#ASMEND
	s_nop 0
	;;#ASMSTART
	v_dot2_f32_f16 v119, v5, v13, v119
	;;#ASMEND
	s_nop 0
	;;#ASMSTART
	v_dot2_f32_f16 v119, v6, v14, v119
	;;#ASMEND
	s_nop 0
	;;#ASMSTART
	v_dot2_f32_f16 v119, v7, v15, v119
	;;#ASMEND
	;;#ASMSTART
	v_dot2_f32_f16 v120, v4, v16, v120
	;;#ASMEND
	s_nop 0
	;;#ASMSTART
	v_dot2_f32_f16 v120, v5, v17, v120
	;;#ASMEND
	s_nop 0
	;;#ASMSTART
	v_dot2_f32_f16 v120, v6, v18, v120
	;;#ASMEND
	s_nop 0
	;;#ASMSTART
	v_dot2_f32_f16 v120, v7, v19, v120
	;;#ASMEND
	;;#ASMSTART
	v_dot2_f32_f16 v121, v4, v20, v121
	;;#ASMEND
	s_nop 0
	;;#ASMSTART
	v_dot2_f32_f16 v121, v5, v21, v121
	;;#ASMEND
	s_nop 0
	;;#ASMSTART
	v_dot2_f32_f16 v121, v6, v22, v121
	;;#ASMEND
	s_nop 0
	;;#ASMSTART
	v_dot2_f32_f16 v121, v7, v23, v121
	;;#ASMEND
	;;#ASMSTART
	v_dot2_f32_f16 v122, v4, v24, v122
	;;#ASMEND
	s_nop 0
	;;#ASMSTART
	v_dot2_f32_f16 v122, v5, v25, v122
	;;#ASMEND
	s_nop 0
	;;#ASMSTART
	v_dot2_f32_f16 v122, v6, v26, v122
	;;#ASMEND
	s_nop 0
	;;#ASMSTART
	v_dot2_f32_f16 v122, v7, v27, v122
	;;#ASMEND
	;;#ASMSTART
	v_dot2_f32_f16 v123, v4, v28, v123
	;;#ASMEND
	s_nop 0
	;;#ASMSTART
	v_dot2_f32_f16 v123, v5, v29, v123
	;;#ASMEND
	s_nop 0
	;;#ASMSTART
	v_dot2_f32_f16 v123, v6, v30, v123
	;;#ASMEND
	s_nop 0
	;;#ASMSTART
	v_dot2_f32_f16 v123, v7, v31, v123
	;;#ASMEND
	;;#ASMSTART
	v_dot2_f32_f16 v124, v4, v32, v124
	;;#ASMEND
	s_nop 0
	;;#ASMSTART
	v_dot2_f32_f16 v124, v5, v33, v124
	;;#ASMEND
	s_nop 0
	;;#ASMSTART
	v_dot2_f32_f16 v124, v6, v34, v124
	;;#ASMEND
	s_nop 0
	;;#ASMSTART
	v_dot2_f32_f16 v124, v7, v35, v124
	;;#ASMEND
	;;#ASMSTART
	v_dot2_f32_f16 v125, v4, v130, v125
	;;#ASMEND
	s_nop 0
	;;#ASMSTART
	v_dot2_f32_f16 v125, v5, v131, v125
	;;#ASMEND
	s_nop 0
	;;#ASMSTART
	v_dot2_f32_f16 v125, v6, v132, v125
	;;#ASMEND
	s_nop 0
	;;#ASMSTART
	v_dot2_f32_f16 v125, v7, v133, v125
	;;#ASMEND
	ds_read_b128 v[0:3], v76 offset:32
	ds_read_b128 v[4:7], v76 offset:2592
	ds_read_b128 v[8:11], v68 offset:224
	ds_read_b128 v[12:15], v68 offset:480
	ds_read_b128 v[16:19], v68 offset:736
	ds_read_b128 v[20:23], v68 offset:992
	ds_read_b128 v[24:27], v68 offset:1248
	ds_read_b128 v[28:31], v68 offset:1504
	ds_read_b128 v[32:35], v68 offset:1760
	ds_read_b128 v[130:133], v68 offset:2016
	s_waitcnt lgkmcnt(7)
	;;#ASMSTART
	v_dot2_f32_f16 v110, v0, v8, v110
	;;#ASMEND
	s_nop 0
	;;#ASMSTART
	v_dot2_f32_f16 v110, v1, v9, v110
	;;#ASMEND
	s_nop 0
	;;#ASMSTART
	v_dot2_f32_f16 v110, v2, v10, v110
	;;#ASMEND
	s_nop 0
	;;#ASMSTART
	v_dot2_f32_f16 v110, v3, v11, v110
	;;#ASMEND
	s_waitcnt lgkmcnt(6)
	;;#ASMSTART
	v_dot2_f32_f16 v111, v0, v12, v111
	;;#ASMEND
	s_nop 0
	;;#ASMSTART
	v_dot2_f32_f16 v111, v1, v13, v111
	;;#ASMEND
	s_nop 0
	;;#ASMSTART
	v_dot2_f32_f16 v111, v2, v14, v111
	;;#ASMEND
	s_nop 0
	;;#ASMSTART
	v_dot2_f32_f16 v111, v3, v15, v111
	;;#ASMEND
	;; [unrolled: 16-line block ×8, first 2 shown]
	;;#ASMSTART
	v_dot2_f32_f16 v118, v4, v8, v118
	;;#ASMEND
	s_nop 0
	;;#ASMSTART
	v_dot2_f32_f16 v118, v5, v9, v118
	;;#ASMEND
	s_nop 0
	;;#ASMSTART
	v_dot2_f32_f16 v118, v6, v10, v118
	;;#ASMEND
	s_nop 0
	;;#ASMSTART
	v_dot2_f32_f16 v118, v7, v11, v118
	;;#ASMEND
	;;#ASMSTART
	v_dot2_f32_f16 v119, v4, v12, v119
	;;#ASMEND
	s_nop 0
	;;#ASMSTART
	v_dot2_f32_f16 v119, v5, v13, v119
	;;#ASMEND
	s_nop 0
	;;#ASMSTART
	v_dot2_f32_f16 v119, v6, v14, v119
	;;#ASMEND
	s_nop 0
	;;#ASMSTART
	v_dot2_f32_f16 v119, v7, v15, v119
	;;#ASMEND
	;; [unrolled: 15-line block ×8, first 2 shown]
	ds_read_b128 v[130:133], v76 offset:48
	ds_read_b128 v[0:3], v76 offset:2608
	;; [unrolled: 1-line block ×10, first 2 shown]
	s_waitcnt lgkmcnt(7)
	;;#ASMSTART
	v_dot2_f32_f16 v110, v130, v32, v110
	;;#ASMEND
	s_nop 0
	;;#ASMSTART
	v_dot2_f32_f16 v110, v131, v33, v110
	;;#ASMEND
	s_nop 0
	;;#ASMSTART
	v_dot2_f32_f16 v110, v132, v34, v110
	;;#ASMEND
	s_nop 0
	;;#ASMSTART
	v_dot2_f32_f16 v110, v133, v35, v110
	;;#ASMEND
	s_waitcnt lgkmcnt(6)
	;;#ASMSTART
	v_dot2_f32_f16 v111, v130, v28, v111
	;;#ASMEND
	s_nop 0
	;;#ASMSTART
	v_dot2_f32_f16 v111, v131, v29, v111
	;;#ASMEND
	s_nop 0
	;;#ASMSTART
	v_dot2_f32_f16 v111, v132, v30, v111
	;;#ASMEND
	s_nop 0
	;;#ASMSTART
	v_dot2_f32_f16 v111, v133, v31, v111
	;;#ASMEND
	;; [unrolled: 16-line block ×7, first 2 shown]
	s_waitcnt lgkmcnt(0)
	;;#ASMSTART
	v_dot2_f32_f16 v117, v130, v4, v117
	;;#ASMEND
	v_lshlrev_b32_e32 v130, 2, v127
	;;#ASMSTART
	v_dot2_f32_f16 v117, v131, v5, v117
	;;#ASMEND
	v_cndmask_b32_e64 v131, v48, v71, s[10:11]
	;;#ASMSTART
	v_dot2_f32_f16 v117, v132, v6, v117
	;;#ASMEND
	v_add_u32_e32 v132, v126, v80
	;;#ASMSTART
	v_dot2_f32_f16 v117, v133, v7, v117
	;;#ASMEND
	;;#ASMSTART
	v_dot2_f32_f16 v118, v0, v32, v118
	;;#ASMEND
	v_add_u32_e32 v32, v126, v77
	;;#ASMSTART
	v_dot2_f32_f16 v118, v1, v33, v118
	;;#ASMEND
	v_cndmask_b32_e32 v133, v48, v70, vcc
	;;#ASMSTART
	v_dot2_f32_f16 v118, v2, v34, v118
	;;#ASMEND
	v_add_u32_e32 v34, v126, v78
	;;#ASMSTART
	v_dot2_f32_f16 v118, v3, v35, v118
	;;#ASMEND
	;;#ASMSTART
	v_dot2_f32_f16 v119, v0, v28, v119
	;;#ASMEND
	v_ashrrev_i32_e32 v33, 31, v32
	;;#ASMSTART
	v_dot2_f32_f16 v119, v1, v29, v119
	;;#ASMEND
	v_lshlrev_b32_e32 v126, 2, v133
	;;#ASMSTART
	v_dot2_f32_f16 v119, v2, v30, v119
	;;#ASMEND
	v_ashrrev_i32_e32 v35, 31, v34
	;;#ASMSTART
	v_dot2_f32_f16 v119, v3, v31, v119
	;;#ASMEND
	;;#ASMSTART
	v_dot2_f32_f16 v120, v0, v24, v120
	;;#ASMEND
	v_ashrrev_i32_e32 v133, 31, v132
	;;#ASMSTART
	v_dot2_f32_f16 v120, v1, v25, v120
	;;#ASMEND
	v_lshl_add_u64 v[30:31], v[32:33], 1, s[84:85]
	;;#ASMSTART
	v_dot2_f32_f16 v120, v2, v26, v120
	;;#ASMEND
	v_lshl_add_u64 v[32:33], v[34:35], 1, s[84:85]
	;;#ASMSTART
	v_dot2_f32_f16 v120, v3, v27, v120
	;;#ASMEND
	;;#ASMSTART
	v_dot2_f32_f16 v121, v0, v20, v121
	;;#ASMEND
	v_lshl_add_u64 v[34:35], v[50:51], 1, s[84:85]
	;;#ASMSTART
	v_dot2_f32_f16 v121, v1, v21, v121
	;;#ASMEND
	v_lshl_add_u64 v[50:51], v[132:133], 1, s[84:85]
	;; [unrolled: 4-line block ×3, first 2 shown]
	;;#ASMSTART
	v_dot2_f32_f16 v121, v3, v23, v121
	;;#ASMEND
	;;#ASMSTART
	v_dot2_f32_f16 v122, v0, v16, v122
	;;#ASMEND
	v_lshlrev_b32_e32 v127, 2, v131
	;;#ASMSTART
	v_dot2_f32_f16 v122, v1, v17, v122
	;;#ASMEND
	s_nop 0
	;;#ASMSTART
	v_dot2_f32_f16 v122, v2, v18, v122
	;;#ASMEND
	s_nop 0
	;;#ASMSTART
	v_dot2_f32_f16 v122, v3, v19, v122
	;;#ASMEND
	;;#ASMSTART
	v_dot2_f32_f16 v123, v0, v12, v123
	;;#ASMEND
	s_nop 0
	;;#ASMSTART
	v_dot2_f32_f16 v123, v1, v13, v123
	;;#ASMEND
	s_nop 0
	;;#ASMSTART
	v_dot2_f32_f16 v123, v2, v14, v123
	;;#ASMEND
	s_nop 0
	;;#ASMSTART
	v_dot2_f32_f16 v123, v3, v15, v123
	;;#ASMEND
	;;#ASMSTART
	v_dot2_f32_f16 v124, v0, v8, v124
	;;#ASMEND
	s_nop 0
	;; [unrolled: 15-line block ×3, first 2 shown]
	;;#ASMSTART
	v_dot2_f32_f16 v125, v1, v5, v125
	;;#ASMEND
	s_nop 0
	;;#ASMSTART
	v_dot2_f32_f16 v125, v2, v6, v125
	;;#ASMEND
	s_nop 0
	;;#ASMSTART
	v_dot2_f32_f16 v125, v3, v7, v125
	;;#ASMEND
	global_load_ushort v0, v[30:31], off
	global_load_ushort v1, v[30:31], off offset:64
	global_load_ushort v2, v[32:33], off
	global_load_ushort v3, v[32:33], off offset:64
	;; [unrolled: 2-line block ×4, first 2 shown]
	s_barrier
	global_load_dwordx4 v[8:11], v[28:29], off
	s_waitcnt vmcnt(8)
	v_cvt_f32_f16_e32 v0, v0
	s_waitcnt vmcnt(7)
	v_cvt_f32_f16_e32 v1, v1
	s_waitcnt vmcnt(6)
	v_cvt_f32_f16_e32 v2, v2
	s_waitcnt vmcnt(5)
	v_cvt_f32_f16_e32 v3, v3
	s_waitcnt vmcnt(4)
	v_cvt_f32_f16_e32 v4, v4
	s_waitcnt vmcnt(3)
	v_cvt_f32_f16_e32 v5, v5
	s_waitcnt vmcnt(2)
	v_cvt_f32_f16_e32 v6, v6
	s_waitcnt vmcnt(1)
	v_cvt_f32_f16_e32 v7, v7
	v_add_f32_e32 v12, v110, v0
	v_add_f32_e32 v13, v118, v1
	;; [unrolled: 1-line block ×26, first 2 shown]
	v_max3_f32 v0, v103, v0, v1
	v_max3_f32 v1, v102, v2, v3
	;; [unrolled: 1-line block ×3, first 2 shown]
	v_add_f32_e32 v32, 0x40051340, v24
	v_add_f32_e32 v33, 0x40051340, v25
	;; [unrolled: 1-line block ×4, first 2 shown]
	v_max3_f32 v2, v105, v4, v5
	v_max3_f32 v5, v106, v30, v31
	ds_bpermute_b32 v31, v130, v3
	v_add_f32_e32 v28, 0x40051340, v20
	v_add_f32_e32 v29, 0x40051340, v21
	v_max3_f32 v6, v109, v32, v33
	v_max3_f32 v7, v108, v34, v35
	ds_bpermute_b32 v33, v130, v5
	v_max3_f32 v4, v107, v28, v29
	ds_bpermute_b32 v29, v130, v1
	ds_bpermute_b32 v34, v130, v6
	ds_bpermute_b32 v35, v130, v7
	ds_bpermute_b32 v28, v130, v0
	ds_bpermute_b32 v30, v130, v2
	ds_bpermute_b32 v32, v130, v4
	s_waitcnt lgkmcnt(7)
	v_max_f32_e32 v31, v31, v31
	s_waitcnt lgkmcnt(6)
	v_max_f32_e32 v33, v33, v33
	v_max_f32_e32 v3, v3, v31
	s_waitcnt lgkmcnt(5)
	v_max_f32_e32 v29, v29, v29
	s_waitcnt lgkmcnt(4)
	v_max_f32_e32 v34, v34, v34
	s_waitcnt lgkmcnt(3)
	v_max_f32_e32 v35, v35, v35
	v_max_f32_e32 v5, v5, v33
	ds_bpermute_b32 v31, v129, v3
	s_waitcnt lgkmcnt(3)
	v_max_f32_e32 v28, v28, v28
	s_waitcnt lgkmcnt(2)
	v_max_f32_e32 v30, v30, v30
	s_waitcnt lgkmcnt(1)
	v_max_f32_e32 v32, v32, v32
	v_max_f32_e32 v1, v1, v29
	v_max_f32_e32 v6, v6, v34
	v_max_f32_e32 v7, v7, v35
	ds_bpermute_b32 v33, v129, v5
	v_max_f32_e32 v0, v0, v28
	v_max_f32_e32 v2, v2, v30
	v_max_f32_e32 v4, v4, v32
	ds_bpermute_b32 v29, v129, v1
	ds_bpermute_b32 v34, v129, v6
	ds_bpermute_b32 v35, v129, v7
	ds_bpermute_b32 v28, v129, v0
	ds_bpermute_b32 v30, v129, v2
	ds_bpermute_b32 v32, v129, v4
	s_waitcnt lgkmcnt(7)
	v_max_f32_e32 v31, v31, v31
	s_waitcnt lgkmcnt(6)
	v_max_f32_e32 v33, v33, v33
	v_max_f32_e32 v3, v3, v31
	s_waitcnt lgkmcnt(5)
	v_max_f32_e32 v29, v29, v29
	s_waitcnt lgkmcnt(4)
	v_max_f32_e32 v34, v34, v34
	s_waitcnt lgkmcnt(3)
	v_max_f32_e32 v35, v35, v35
	v_max_f32_e32 v5, v5, v33
	ds_bpermute_b32 v31, v128, v3
	s_waitcnt lgkmcnt(3)
	v_max_f32_e32 v28, v28, v28
	s_waitcnt lgkmcnt(2)
	v_max_f32_e32 v30, v30, v30
	s_waitcnt lgkmcnt(1)
	v_max_f32_e32 v32, v32, v32
	v_max_f32_e32 v1, v1, v29
	v_max_f32_e32 v6, v6, v34
	v_max_f32_e32 v7, v7, v35
	ds_bpermute_b32 v33, v128, v5
	v_max_f32_e32 v0, v0, v28
	v_max_f32_e32 v2, v2, v30
	v_max_f32_e32 v4, v4, v32
	;; [unrolled: 32-line block ×4, first 2 shown]
	ds_bpermute_b32 v29, v126, v1
	ds_bpermute_b32 v34, v126, v6
	ds_bpermute_b32 v35, v126, v7
	ds_bpermute_b32 v28, v126, v0
	ds_bpermute_b32 v30, v126, v2
	ds_bpermute_b32 v32, v126, v4
	s_waitcnt lgkmcnt(7)
	v_max_f32_e32 v31, v31, v31
	s_waitcnt lgkmcnt(6)
	v_max_f32_e32 v33, v33, v33
	v_max_f32_e32 v3, v3, v31
	s_waitcnt lgkmcnt(5)
	v_max_f32_e32 v29, v29, v29
	s_waitcnt lgkmcnt(4)
	;; [unrolled: 2-line block ×3, first 2 shown]
	v_max_f32_e32 v35, v35, v35
	v_max_f32_e32 v5, v5, v33
	v_sub_f32_e32 v19, v19, v3
	s_waitcnt lgkmcnt(2)
	v_max_f32_e32 v28, v28, v28
	s_waitcnt lgkmcnt(1)
	v_max_f32_e32 v30, v30, v30
	;; [unrolled: 2-line block ×3, first 2 shown]
	v_max_f32_e32 v1, v1, v29
	v_max_f32_e32 v6, v6, v34
	;; [unrolled: 1-line block ×3, first 2 shown]
	v_sub_f32_e32 v23, v23, v5
	v_mul_f32_e32 v35, 0x3fb8aa3b, v19
	v_max_f32_e32 v0, v0, v28
	v_max_f32_e32 v2, v2, v30
	v_max_f32_e32 v4, v4, v32
	v_sub_f32_e32 v15, v15, v1
	v_sub_f32_e32 v25, v25, v6
	v_mul_f32_e32 v111, 0x3fb8aa3b, v23
	v_fma_f32 v130, v19, s76, -v35
	v_sub_f32_e32 v12, v12, v0
	v_sub_f32_e32 v13, v13, v0
	;; [unrolled: 1-line block ×5, first 2 shown]
	v_mul_f32_e32 v31, 0x3fb8aa3b, v15
	v_mul_f32_e32 v113, 0x3fb8aa3b, v25
	v_cmp_ngt_f32_e64 s[60:61], s77, v19
	v_cmp_nlt_f32_e64 s[12:13], s87, v19
	v_fmac_f32_e32 v130, 0x32a5705f, v19
	v_fma_f32 v19, v23, s76, -v111
	v_sub_f32_e32 v14, v14, v1
	v_sub_f32_e32 v16, v16, v2
	;; [unrolled: 1-line block ×7, first 2 shown]
	v_mul_f32_e32 v28, 0x3fb8aa3b, v12
	v_mul_f32_e32 v29, 0x3fb8aa3b, v13
	;; [unrolled: 1-line block ×5, first 2 shown]
	v_cmp_ngt_f32_e64 s[46:47], s77, v23
	v_cmp_nlt_f32_e64 s[20:21], s87, v23
	v_fma_f32 v122, v15, s76, -v31
	v_fmac_f32_e32 v19, 0x32a5705f, v23
	v_fma_f32 v23, v25, s76, -v113
	v_mul_f32_e32 v30, 0x3fb8aa3b, v14
	v_mul_f32_e32 v32, 0x3fb8aa3b, v16
	;; [unrolled: 1-line block ×7, first 2 shown]
	v_cmp_ngt_f32_e64 s[52:53], s77, v15
	v_cmp_nlt_f32_e64 s[4:5], s87, v15
	v_cmp_ngt_f32_e64 s[36:37], s77, v25
	v_cmp_nlt_f32_e64 s[24:25], s87, v25
	v_fma_f32 v116, v12, s76, -v28
	v_rndne_f32_e32 v117, v28
	v_fma_f32 v118, v13, s76, -v29
	v_fma_f32 v126, v17, s76, -v33
	v_fmac_f32_e32 v122, 0x32a5705f, v15
	v_fma_f32 v15, v21, s76, -v51
	v_fmac_f32_e32 v23, 0x32a5705f, v25
	v_fma_f32 v25, v26, s76, -v114
	v_cmp_ngt_f32_e64 s[48:49], s77, v13
	v_cmp_nlt_f32_e32 vcc, s87, v13
	v_cmp_ngt_f32_e64 s[56:57], s77, v17
	v_cmp_nlt_f32_e64 s[8:9], s87, v17
	v_cmp_ngt_f32_e64 s[62:63], s77, v21
	v_cmp_nlt_f32_e64 s[16:17], s87, v21
	v_cmp_ngt_f32_e64 s[34:35], s77, v26
	v_cmp_nlt_f32_e64 s[26:27], s87, v26
	v_fma_f32 v120, v14, s76, -v30
	v_fma_f32 v124, v16, s76, -v32
	;; [unrolled: 1-line block ×3, first 2 shown]
	v_fmac_f32_e32 v116, 0x32a5705f, v12
	v_fmac_f32_e32 v118, 0x32a5705f, v13
	v_fma_f32 v13, v20, s76, -v50
	v_fmac_f32_e32 v126, 0x32a5705f, v17
	v_fma_f32 v17, v22, s76, -v110
	;; [unrolled: 2-line block ×4, first 2 shown]
	v_sub_f32_e32 v28, v28, v117
	v_cmp_ngt_f32_e64 s[50:51], s77, v14
	v_cmp_nlt_f32_e64 s[66:67], s87, v14
	v_cmp_ngt_f32_e64 s[54:55], s77, v16
	v_cmp_nlt_f32_e64 s[6:7], s87, v16
	;; [unrolled: 2-line block ×5, first 2 shown]
	v_cmp_ngt_f32_e64 s[40:41], s77, v24
	v_cmp_ngt_f32_e64 s[30:31], s77, v27
	;; [unrolled: 1-line block ×3, first 2 shown]
	v_cmp_nlt_f32_e64 s[22:23], s87, v24
	v_cmp_nlt_f32_e64 s[28:29], s87, v27
	;; [unrolled: 1-line block ×3, first 2 shown]
	v_rndne_f32_e32 v119, v29
	v_rndne_f32_e32 v121, v30
	;; [unrolled: 1-line block ×7, first 2 shown]
	v_fmac_f32_e32 v120, 0x32a5705f, v14
	v_rndne_f32_e32 v14, v50
	v_fmac_f32_e32 v124, 0x32a5705f, v16
	v_rndne_f32_e32 v16, v51
	;; [unrolled: 2-line block ×7, first 2 shown]
	v_add_f32_e32 v28, v28, v116
	v_rndne_f32_e32 v116, v115
	v_sub_f32_e32 v29, v29, v119
	v_sub_f32_e32 v30, v30, v121
	;; [unrolled: 1-line block ×15, first 2 shown]
	v_add_f32_e32 v29, v29, v118
	v_add_f32_e32 v30, v30, v120
	;; [unrolled: 1-line block ×15, first 2 shown]
	v_cvt_i32_f32_e32 v117, v117
	v_cvt_i32_f32_e32 v119, v119
	;; [unrolled: 1-line block ×16, first 2 shown]
	v_exp_f32_e32 v28, v28
	v_exp_f32_e32 v29, v29
	;; [unrolled: 1-line block ×16, first 2 shown]
	v_ldexp_f32 v28, v28, v117
	v_ldexp_f32 v29, v29, v119
	;; [unrolled: 1-line block ×16, first 2 shown]
	v_cndmask_b32_e64 v21, 0, v29, s[48:49]
	v_cndmask_b32_e64 v22, 0, v30, s[50:51]
	v_cndmask_b32_e64 v23, 0, v31, s[52:53]
	v_cndmask_b32_e64 v24, 0, v32, s[54:55]
	v_cndmask_b32_e64 v25, 0, v33, s[56:57]
	v_cndmask_b32_e64 v26, 0, v34, s[58:59]
	v_cndmask_b32_e64 v27, 0, v12, s[60:61]
	v_cndmask_b32_e64 v29, 0, v13, s[42:43]
	v_cndmask_b32_e64 v30, 0, v14, s[62:63]
	v_cndmask_b32_e64 v31, 0, v15, s[44:45]
	v_cndmask_b32_e64 v12, 0, v28, s[64:65]
	v_cndmask_b32_e64 v28, 0, v16, s[46:47]
	v_cndmask_b32_e64 v32, 0, v17, s[40:41]
	v_cndmask_b32_e64 v33, 0, v18, s[36:37]
	v_cndmask_b32_e64 v34, 0, v19, s[34:35]
	v_cndmask_b32_e64 v35, 0, v20, s[30:31]
	v_cndmask_b32_e64 v12, v84, v12, s[38:39]
	v_cndmask_b32_e32 v14, v84, v21, vcc
	v_cndmask_b32_e64 v13, v84, v22, s[66:67]
	v_cndmask_b32_e64 v15, v84, v23, s[4:5]
	v_cndmask_b32_e64 v16, v84, v24, s[6:7]
	v_cndmask_b32_e64 v18, v84, v25, s[8:9]
	v_cndmask_b32_e64 v17, v84, v26, s[10:11]
	v_cndmask_b32_e64 v19, v84, v27, s[12:13]
	v_cndmask_b32_e64 v20, v84, v29, s[14:15]
	v_cndmask_b32_e64 v22, v84, v30, s[16:17]
	v_cndmask_b32_e64 v21, v84, v31, s[18:19]
	v_cndmask_b32_e64 v23, v84, v28, s[20:21]
	v_cndmask_b32_e64 v24, v84, v32, s[22:23]
	v_cndmask_b32_e64 v26, v84, v33, s[24:25]
	v_cndmask_b32_e64 v25, v84, v34, s[26:27]
	v_cndmask_b32_e64 v27, v84, v35, s[28:29]
	v_cvt_pk_f16_f32 v31, v24, v25
	v_cvt_pk_f16_f32 v30, v20, v21
	;; [unrolled: 1-line block ×8, first 2 shown]
	ds_write_b128 v85, v[28:31]
	ds_write_b128 v85, v[32:35] offset:512
	s_waitcnt vmcnt(0)
	ds_write_b128 v82, v[8:11]
	s_waitcnt lgkmcnt(0)
	s_barrier
	ds_read_b128 v[8:11], v81
	ds_read_b128 v[28:31], v81 offset:16
	ds_read_b128 v[32:35], v81 offset:32
	;; [unrolled: 1-line block ×3, first 2 shown]
	s_waitcnt lgkmcnt(3)
	v_mul_u32_u24_sdwa v163, v8, s88 dst_sel:DWORD dst_unused:UNUSED_PAD src0_sel:WORD_0 src1_sel:DWORD
	v_mul_u32_u24_sdwa v162, v8, s88 dst_sel:DWORD dst_unused:UNUSED_PAD src0_sel:WORD_1 src1_sel:DWORD
	v_mul_u32_u24_sdwa v161, v9, s88 dst_sel:DWORD dst_unused:UNUSED_PAD src0_sel:WORD_0 src1_sel:DWORD
	v_mul_u32_u24_sdwa v160, v9, s88 dst_sel:DWORD dst_unused:UNUSED_PAD src0_sel:WORD_1 src1_sel:DWORD
	v_mul_u32_u24_sdwa v159, v10, s88 dst_sel:DWORD dst_unused:UNUSED_PAD src0_sel:WORD_0 src1_sel:DWORD
	v_mul_u32_u24_sdwa v158, v10, s88 dst_sel:DWORD dst_unused:UNUSED_PAD src0_sel:WORD_1 src1_sel:DWORD
	v_mul_u32_u24_sdwa v157, v11, s88 dst_sel:DWORD dst_unused:UNUSED_PAD src0_sel:WORD_0 src1_sel:DWORD
	v_mul_u32_u24_sdwa v156, v11, s88 dst_sel:DWORD dst_unused:UNUSED_PAD src0_sel:WORD_1 src1_sel:DWORD
	ds_read_b128 v[8:11], v81 offset:64
	s_waitcnt lgkmcnt(1)
	v_mul_u32_u24_sdwa v127, v110, s88 dst_sel:DWORD dst_unused:UNUSED_PAD src0_sel:WORD_0 src1_sel:DWORD
	v_mul_u32_u24_sdwa v126, v110, s88 dst_sel:DWORD dst_unused:UNUSED_PAD src0_sel:WORD_1 src1_sel:DWORD
	v_mul_u32_u24_sdwa v125, v111, s88 dst_sel:DWORD dst_unused:UNUSED_PAD src0_sel:WORD_0 src1_sel:DWORD
	v_mul_u32_u24_sdwa v124, v111, s88 dst_sel:DWORD dst_unused:UNUSED_PAD src0_sel:WORD_1 src1_sel:DWORD
	;; [unrolled: 2-line block ×4, first 2 shown]
	s_waitcnt lgkmcnt(0)
	v_mul_u32_u24_sdwa v115, v8, s88 dst_sel:DWORD dst_unused:UNUSED_PAD src0_sel:WORD_0 src1_sel:DWORD
	v_mul_u32_u24_sdwa v114, v8, s88 dst_sel:DWORD dst_unused:UNUSED_PAD src0_sel:WORD_1 src1_sel:DWORD
	v_mul_u32_u24_sdwa v113, v9, s88 dst_sel:DWORD dst_unused:UNUSED_PAD src0_sel:WORD_0 src1_sel:DWORD
	v_mul_u32_u24_sdwa v112, v9, s88 dst_sel:DWORD dst_unused:UNUSED_PAD src0_sel:WORD_1 src1_sel:DWORD
	;; [unrolled: 2-line block ×4, first 2 shown]
	ds_read_b128 v[8:11], v81 offset:80
	v_mul_u32_u24_sdwa v135, v32, s88 dst_sel:DWORD dst_unused:UNUSED_PAD src0_sel:WORD_0 src1_sel:DWORD
	v_mul_u32_u24_sdwa v134, v32, s88 dst_sel:DWORD dst_unused:UNUSED_PAD src0_sel:WORD_1 src1_sel:DWORD
	v_mul_u32_u24_sdwa v133, v33, s88 dst_sel:DWORD dst_unused:UNUSED_PAD src0_sel:WORD_0 src1_sel:DWORD
	v_mul_u32_u24_sdwa v132, v33, s88 dst_sel:DWORD dst_unused:UNUSED_PAD src0_sel:WORD_1 src1_sel:DWORD
	;; [unrolled: 2-line block ×4, first 2 shown]
	s_waitcnt lgkmcnt(0)
	v_mul_u32_u24_sdwa v123, v8, s88 dst_sel:DWORD dst_unused:UNUSED_PAD src0_sel:WORD_0 src1_sel:DWORD
	v_mul_u32_u24_sdwa v122, v8, s88 dst_sel:DWORD dst_unused:UNUSED_PAD src0_sel:WORD_1 src1_sel:DWORD
	v_mul_u32_u24_sdwa v121, v9, s88 dst_sel:DWORD dst_unused:UNUSED_PAD src0_sel:WORD_0 src1_sel:DWORD
	v_mul_u32_u24_sdwa v120, v9, s88 dst_sel:DWORD dst_unused:UNUSED_PAD src0_sel:WORD_1 src1_sel:DWORD
	v_mul_u32_u24_sdwa v35, v10, s88 dst_sel:DWORD dst_unused:UNUSED_PAD src0_sel:WORD_0 src1_sel:DWORD
	v_mul_u32_u24_sdwa v34, v10, s88 dst_sel:DWORD dst_unused:UNUSED_PAD src0_sel:WORD_1 src1_sel:DWORD
	v_mul_u32_u24_sdwa v33, v11, s88 dst_sel:DWORD dst_unused:UNUSED_PAD src0_sel:WORD_0 src1_sel:DWORD
	v_mul_u32_u24_sdwa v32, v11, s88 dst_sel:DWORD dst_unused:UNUSED_PAD src0_sel:WORD_1 src1_sel:DWORD
	ds_read_b128 v[8:11], v81 offset:96
	v_mul_u32_u24_sdwa v155, v28, s88 dst_sel:DWORD dst_unused:UNUSED_PAD src0_sel:WORD_0 src1_sel:DWORD
	v_mul_u32_u24_sdwa v154, v28, s88 dst_sel:DWORD dst_unused:UNUSED_PAD src0_sel:WORD_1 src1_sel:DWORD
	v_mul_u32_u24_sdwa v153, v29, s88 dst_sel:DWORD dst_unused:UNUSED_PAD src0_sel:WORD_0 src1_sel:DWORD
	v_mul_u32_u24_sdwa v152, v29, s88 dst_sel:DWORD dst_unused:UNUSED_PAD src0_sel:WORD_1 src1_sel:DWORD
	s_waitcnt lgkmcnt(0)
	v_mul_u32_u24_sdwa v143, v8, s88 dst_sel:DWORD dst_unused:UNUSED_PAD src0_sel:WORD_0 src1_sel:DWORD
	v_mul_u32_u24_sdwa v142, v8, s88 dst_sel:DWORD dst_unused:UNUSED_PAD src0_sel:WORD_1 src1_sel:DWORD
	v_mul_u32_u24_sdwa v141, v9, s88 dst_sel:DWORD dst_unused:UNUSED_PAD src0_sel:WORD_0 src1_sel:DWORD
	v_mul_u32_u24_sdwa v140, v9, s88 dst_sel:DWORD dst_unused:UNUSED_PAD src0_sel:WORD_1 src1_sel:DWORD
	;; [unrolled: 2-line block ×4, first 2 shown]
	ds_read_b128 v[8:11], v81 offset:112
	v_mul_u32_u24_sdwa v151, v30, s88 dst_sel:DWORD dst_unused:UNUSED_PAD src0_sel:WORD_0 src1_sel:DWORD
	v_mul_u32_u24_sdwa v150, v30, s88 dst_sel:DWORD dst_unused:UNUSED_PAD src0_sel:WORD_1 src1_sel:DWORD
	v_mul_u32_u24_sdwa v149, v31, s88 dst_sel:DWORD dst_unused:UNUSED_PAD src0_sel:WORD_0 src1_sel:DWORD
	v_mul_u32_u24_sdwa v148, v31, s88 dst_sel:DWORD dst_unused:UNUSED_PAD src0_sel:WORD_1 src1_sel:DWORD
	s_waitcnt lgkmcnt(0)
	v_mul_u32_u24_sdwa v31, v10, s88 dst_sel:DWORD dst_unused:UNUSED_PAD src0_sel:WORD_0 src1_sel:DWORD
	v_mul_u32_u24_sdwa v30, v10, s88 dst_sel:DWORD dst_unused:UNUSED_PAD src0_sel:WORD_1 src1_sel:DWORD
	v_mul_u32_u24_sdwa v29, v11, s88 dst_sel:DWORD dst_unused:UNUSED_PAD src0_sel:WORD_0 src1_sel:DWORD
	v_mul_u32_u24_sdwa v28, v11, s88 dst_sel:DWORD dst_unused:UNUSED_PAD src0_sel:WORD_1 src1_sel:DWORD
	v_pk_add_f32 v[10:11], v[16:17], v[18:19]
	v_sub_f32_e32 v16, v109, v6
	v_mul_f32_e32 v17, 0x3fb8aa3b, v16
	v_fma_f32 v18, v16, s76, -v17
	v_cmp_ngt_f32_e32 vcc, s77, v16
	v_cmp_nlt_f32_e64 s[4:5], s87, v16
	v_fmac_f32_e32 v18, 0x32a5705f, v16
	v_sub_f32_e32 v16, v108, v7
	v_mul_f32_e32 v19, 0x3fb8aa3b, v16
	v_mul_u32_u24_sdwa v147, v8, s88 dst_sel:DWORD dst_unused:UNUSED_PAD src0_sel:WORD_0 src1_sel:DWORD
	v_mul_u32_u24_sdwa v146, v8, s88 dst_sel:DWORD dst_unused:UNUSED_PAD src0_sel:WORD_1 src1_sel:DWORD
	v_mul_u32_u24_sdwa v145, v9, s88 dst_sel:DWORD dst_unused:UNUSED_PAD src0_sel:WORD_0 src1_sel:DWORD
	v_mul_u32_u24_sdwa v144, v9, s88 dst_sel:DWORD dst_unused:UNUSED_PAD src0_sel:WORD_1 src1_sel:DWORD
	v_pk_add_f32 v[8:9], v[12:13], v[14:15]
	v_pk_add_f32 v[12:13], v[20:21], v[22:23]
	v_fma_f32 v20, v16, s76, -v19
	v_cmp_ngt_f32_e64 s[6:7], s77, v16
	v_cmp_nlt_f32_e64 s[8:9], s87, v16
	v_fmac_f32_e32 v20, 0x32a5705f, v16
	v_rndne_f32_e32 v16, v17
	v_sub_f32_e32 v17, v17, v16
	v_add_f32_e32 v17, v17, v18
	v_cvt_i32_f32_e32 v16, v16
	v_exp_f32_e32 v17, v17
	v_rndne_f32_e32 v18, v19
	v_sub_f32_e32 v19, v19, v18
	v_add_f32_e32 v19, v19, v20
	v_ldexp_f32 v16, v17, v16
	v_cvt_i32_f32_e32 v17, v18
	v_exp_f32_e32 v18, v19
	v_cndmask_b32_e32 v16, 0, v16, vcc
	v_pk_add_f32 v[14:15], v[24:25], v[26:27]
	v_cndmask_b32_e64 v16, v84, v16, s[4:5]
	v_ldexp_f32 v17, v18, v17
	v_cndmask_b32_e64 v17, 0, v17, s[6:7]
	v_cndmask_b32_e64 v17, v84, v17, s[8:9]
	v_pk_fma_f32 v[36:37], v[36:37], v[16:17], v[14:15]
	v_sub_f32_e32 v14, v107, v4
	v_mul_f32_e32 v15, 0x3fb8aa3b, v14
	v_fma_f32 v18, v14, s76, -v15
	v_cmp_ngt_f32_e32 vcc, s77, v14
	v_cmp_nlt_f32_e64 s[4:5], s87, v14
	v_fmac_f32_e32 v18, 0x32a5705f, v14
	v_sub_f32_e32 v14, v106, v5
	v_mul_f32_e32 v19, 0x3fb8aa3b, v14
	v_fma_f32 v20, v14, s76, -v19
	v_cmp_ngt_f32_e64 s[6:7], s77, v14
	v_cmp_nlt_f32_e64 s[8:9], s87, v14
	v_fmac_f32_e32 v20, 0x32a5705f, v14
	v_rndne_f32_e32 v14, v15
	v_sub_f32_e32 v15, v15, v14
	v_add_f32_e32 v15, v15, v18
	v_cvt_i32_f32_e32 v14, v14
	v_exp_f32_e32 v15, v15
	v_rndne_f32_e32 v18, v19
	v_sub_f32_e32 v19, v19, v18
	v_add_f32_e32 v19, v19, v20
	v_ldexp_f32 v14, v15, v14
	v_cvt_i32_f32_e32 v15, v18
	v_exp_f32_e32 v18, v19
	v_cndmask_b32_e32 v14, 0, v14, vcc
	v_cndmask_b32_e64 v14, v84, v14, s[4:5]
	v_ldexp_f32 v15, v18, v15
	v_cndmask_b32_e64 v15, 0, v15, s[6:7]
	v_cndmask_b32_e64 v15, v84, v15, s[8:9]
	v_pk_fma_f32 v[38:39], v[38:39], v[14:15], v[12:13]
	v_sub_f32_e32 v12, v105, v2
	v_mul_f32_e32 v13, 0x3fb8aa3b, v12
	v_fma_f32 v18, v12, s76, -v13
	v_cmp_ngt_f32_e32 vcc, s77, v12
	v_cmp_nlt_f32_e64 s[4:5], s87, v12
	v_fmac_f32_e32 v18, 0x32a5705f, v12
	v_sub_f32_e32 v12, v104, v3
	v_mul_f32_e32 v19, 0x3fb8aa3b, v12
	v_fma_f32 v20, v12, s76, -v19
	v_cmp_ngt_f32_e64 s[6:7], s77, v12
	v_cmp_nlt_f32_e64 s[8:9], s87, v12
	v_fmac_f32_e32 v20, 0x32a5705f, v12
	v_rndne_f32_e32 v12, v13
	v_sub_f32_e32 v13, v13, v12
	v_add_f32_e32 v13, v13, v18
	v_cvt_i32_f32_e32 v12, v12
	v_exp_f32_e32 v13, v13
	v_rndne_f32_e32 v18, v19
	v_sub_f32_e32 v19, v19, v18
	v_add_f32_e32 v19, v19, v20
	v_ldexp_f32 v12, v13, v12
	v_cvt_i32_f32_e32 v13, v18
	v_exp_f32_e32 v18, v19
	v_cndmask_b32_e32 v12, 0, v12, vcc
	;; [unrolled: 29-line block ×3, first 2 shown]
	v_cndmask_b32_e64 v10, v84, v10, s[4:5]
	s_or_b32 s4, s2, 16
	v_ldexp_f32 v11, v18, v11
	v_cndmask_b32_e64 v11, 0, v11, s[6:7]
	v_cndmask_b32_e64 v11, v84, v11, s[8:9]
	v_pk_fma_f32 v[42:43], v[42:43], v[10:11], v[8:9]
	v_cvt_f16_f32_e32 v8, v10
	v_cvt_f16_f32_e32 v9, v11
	;; [unrolled: 1-line block ×5, first 2 shown]
	v_mul_u32_u24_e32 v8, 0x10001, v8
	v_cvt_f16_f32_e32 v13, v15
	v_cvt_f16_f32_e32 v14, v16
	;; [unrolled: 1-line block ×3, first 2 shown]
	v_pk_mul_f16 v16, v100, v8
	v_pk_mul_f16 v17, v101, v8
	v_mul_u32_u24_e32 v8, 0x10001, v9
	v_pk_mul_f16 v18, v98, v8
	v_pk_mul_f16 v19, v99, v8
	v_mul_u32_u24_e32 v8, 0x10001, v10
	;; [unrolled: 3-line block ×7, first 2 shown]
	v_pk_mul_f16 v15, v49, v8
	v_pk_mul_f16 v27, v87, v8
	ds_read2_b64 v[8:11], v83 offset1:32
	s_mul_hi_i32 s5, s4, s81
	s_mul_i32 s4, s4, s81
	s_waitcnt lgkmcnt(0)
	v_pk_fma_f16 v17, v9, v163, v17
	v_pk_fma_f16 v19, v9, v162, v19
	v_pk_fma_f16 v21, v9, v161, v21
	v_pk_fma_f16 v23, v9, v160, v23
	v_pk_fma_f16 v49, v8, v159, v12
	v_pk_fma_f16 v24, v9, v159, v24
	v_pk_fma_f16 v87, v8, v158, v13
	v_pk_fma_f16 v25, v9, v158, v25
	v_pk_fma_f16 v88, v8, v157, v14
	v_pk_fma_f16 v26, v9, v157, v26
	v_pk_fma_f16 v9, v9, v156, v15
	ds_read_b128 v[12:15], v81 offset:128
	v_pk_fma_f16 v16, v8, v163, v16
	v_pk_fma_f16 v18, v8, v162, v18
	v_pk_fma_f16 v20, v8, v161, v20
	v_pk_fma_f16 v22, v8, v160, v22
	v_pk_fma_f16 v8, v8, v156, v27
	v_pk_fma_f16 v92, v10, v155, v16
	v_pk_fma_f16 v93, v11, v155, v17
	v_pk_fma_f16 v18, v10, v154, v18
	v_pk_fma_f16 v19, v11, v154, v19
	v_pk_fma_f16 v20, v10, v153, v20
	v_pk_fma_f16 v21, v11, v153, v21
	v_pk_fma_f16 v22, v10, v152, v22
	v_pk_fma_f16 v23, v11, v152, v23
	v_pk_fma_f16 v100, v10, v151, v49
	v_pk_fma_f16 v24, v11, v151, v24
	s_waitcnt lgkmcnt(0)
	v_mul_u32_u24_sdwa v27, v12, s88 dst_sel:DWORD dst_unused:UNUSED_PAD src0_sel:WORD_0 src1_sel:DWORD
	v_pk_fma_f16 v101, v10, v150, v87
	v_pk_fma_f16 v25, v11, v150, v25
	v_mul_u32_u24_sdwa v87, v12, s88 dst_sel:DWORD dst_unused:UNUSED_PAD src0_sel:WORD_1 src1_sel:DWORD
	v_pk_fma_f16 v12, v10, v149, v88
	v_pk_fma_f16 v102, v11, v149, v26
	;; [unrolled: 1-line block ×4, first 2 shown]
	ds_read_b128 v[8:11], v81 offset:144
	v_mul_u32_u24_sdwa v89, v13, s88 dst_sel:DWORD dst_unused:UNUSED_PAD src0_sel:WORD_0 src1_sel:DWORD
	v_mul_u32_u24_sdwa v91, v13, s88 dst_sel:DWORD dst_unused:UNUSED_PAD src0_sel:WORD_1 src1_sel:DWORD
	v_mul_u32_u24_sdwa v90, v14, s88 dst_sel:DWORD dst_unused:UNUSED_PAD src0_sel:WORD_0 src1_sel:DWORD
	v_mul_u32_u24_sdwa v88, v14, s88 dst_sel:DWORD dst_unused:UNUSED_PAD src0_sel:WORD_1 src1_sel:DWORD
	s_waitcnt lgkmcnt(0)
	v_mul_u32_u24_sdwa v98, v8, s88 dst_sel:DWORD dst_unused:UNUSED_PAD src0_sel:WORD_0 src1_sel:DWORD
	v_mul_u32_u24_sdwa v99, v8, s88 dst_sel:DWORD dst_unused:UNUSED_PAD src0_sel:WORD_1 src1_sel:DWORD
	v_mul_u32_u24_sdwa v97, v9, s88 dst_sel:DWORD dst_unused:UNUSED_PAD src0_sel:WORD_0 src1_sel:DWORD
	v_mul_u32_u24_sdwa v96, v9, s88 dst_sel:DWORD dst_unused:UNUSED_PAD src0_sel:WORD_1 src1_sel:DWORD
	;; [unrolled: 2-line block ×4, first 2 shown]
	ds_read2_b64 v[8:11], v83 offset0:64 offset1:96
	v_mul_u32_u24_sdwa v49, v15, s88 dst_sel:DWORD dst_unused:UNUSED_PAD src0_sel:WORD_0 src1_sel:DWORD
	v_mul_u32_u24_sdwa v26, v15, s88 dst_sel:DWORD dst_unused:UNUSED_PAD src0_sel:WORD_1 src1_sel:DWORD
	s_waitcnt lgkmcnt(0)
	v_pk_fma_f16 v13, v8, v135, v92
	v_pk_fma_f16 v14, v9, v135, v93
	v_pk_fma_f16 v15, v8, v134, v18
	v_pk_fma_f16 v18, v9, v134, v19
	v_pk_fma_f16 v19, v8, v133, v20
	v_pk_fma_f16 v20, v9, v133, v21
	v_pk_fma_f16 v21, v8, v132, v22
	v_pk_fma_f16 v22, v9, v132, v23
	v_pk_fma_f16 v23, v8, v131, v100
	v_pk_fma_f16 v24, v9, v131, v24
	v_pk_fma_f16 v92, v8, v130, v101
	v_pk_fma_f16 v25, v9, v130, v25
	v_pk_fma_f16 v12, v8, v129, v12
	v_pk_fma_f16 v93, v9, v129, v102
	v_pk_fma_f16 v8, v8, v128, v103
	v_pk_fma_f16 v9, v9, v128, v104
	v_pk_fma_f16 v102, v10, v127, v13
	v_pk_fma_f16 v103, v11, v127, v14
	v_pk_fma_f16 v104, v10, v126, v15
	v_pk_fma_f16 v105, v11, v126, v18
	v_pk_fma_f16 v106, v10, v125, v19
	v_pk_fma_f16 v107, v11, v125, v20
	v_pk_fma_f16 v108, v10, v124, v21
	v_pk_fma_f16 v109, v11, v124, v22
	ds_read_b128 v[18:21], v81 offset:160
	v_pk_fma_f16 v124, v10, v119, v23
	v_pk_fma_f16 v119, v11, v119, v24
	;; [unrolled: 1-line block ×8, first 2 shown]
	ds_read_b128 v[8:11], v81 offset:176
	s_waitcnt lgkmcnt(1)
	v_mul_u32_u24_sdwa v100, v18, s88 dst_sel:DWORD dst_unused:UNUSED_PAD src0_sel:WORD_0 src1_sel:DWORD
	v_mul_u32_u24_sdwa v101, v18, s88 dst_sel:DWORD dst_unused:UNUSED_PAD src0_sel:WORD_1 src1_sel:DWORD
	v_mul_u32_u24_sdwa v92, v19, s88 dst_sel:DWORD dst_unused:UNUSED_PAD src0_sel:WORD_0 src1_sel:DWORD
	v_mul_u32_u24_sdwa v93, v19, s88 dst_sel:DWORD dst_unused:UNUSED_PAD src0_sel:WORD_1 src1_sel:DWORD
	;; [unrolled: 2-line block ×4, first 2 shown]
	s_waitcnt lgkmcnt(0)
	v_mul_u32_u24_sdwa v21, v8, s88 dst_sel:DWORD dst_unused:UNUSED_PAD src0_sel:WORD_0 src1_sel:DWORD
	v_mul_u32_u24_sdwa v23, v8, s88 dst_sel:DWORD dst_unused:UNUSED_PAD src0_sel:WORD_1 src1_sel:DWORD
	v_mul_u32_u24_sdwa v25, v9, s88 dst_sel:DWORD dst_unused:UNUSED_PAD src0_sel:WORD_0 src1_sel:DWORD
	v_mul_u32_u24_sdwa v24, v9, s88 dst_sel:DWORD dst_unused:UNUSED_PAD src0_sel:WORD_1 src1_sel:DWORD
	v_mul_u32_u24_sdwa v22, v10, s88 dst_sel:DWORD dst_unused:UNUSED_PAD src0_sel:WORD_0 src1_sel:DWORD
	v_mul_u32_u24_sdwa v20, v10, s88 dst_sel:DWORD dst_unused:UNUSED_PAD src0_sel:WORD_1 src1_sel:DWORD
	v_mul_u32_u24_sdwa v19, v11, s88 dst_sel:DWORD dst_unused:UNUSED_PAD src0_sel:WORD_0 src1_sel:DWORD
	v_mul_u32_u24_sdwa v18, v11, s88 dst_sel:DWORD dst_unused:UNUSED_PAD src0_sel:WORD_1 src1_sel:DWORD
	ds_read2_b64 v[8:11], v83 offset0:128 offset1:160
	s_waitcnt lgkmcnt(0)
	v_pk_fma_f16 v102, v8, v115, v102
	v_pk_fma_f16 v103, v9, v115, v103
	;; [unrolled: 1-line block ×24, first 2 shown]
	ds_read_b128 v[104:107], v81 offset:192
	v_pk_fma_f16 v112, v10, v35, v112
	v_pk_fma_f16 v123, v11, v35, v111
	v_pk_fma_f16 v113, v10, v34, v113
	v_pk_fma_f16 v124, v11, v34, v110
	v_pk_fma_f16 v114, v10, v33, v114
	v_pk_fma_f16 v125, v11, v33, v51
	v_pk_fma_f16 v126, v10, v32, v8
	v_pk_fma_f16 v127, v11, v32, v9
	ds_read_b128 v[8:11], v81 offset:208
	s_waitcnt lgkmcnt(1)
	v_mul_u32_u24_sdwa v35, v104, s88 dst_sel:DWORD dst_unused:UNUSED_PAD src0_sel:WORD_0 src1_sel:DWORD
	v_mul_u32_u24_sdwa v34, v104, s88 dst_sel:DWORD dst_unused:UNUSED_PAD src0_sel:WORD_1 src1_sel:DWORD
	v_mul_u32_u24_sdwa v103, v105, s88 dst_sel:DWORD dst_unused:UNUSED_PAD src0_sel:WORD_0 src1_sel:DWORD
	v_mul_u32_u24_sdwa v33, v105, s88 dst_sel:DWORD dst_unused:UNUSED_PAD src0_sel:WORD_1 src1_sel:DWORD
	;; [unrolled: 2-line block ×4, first 2 shown]
	s_waitcnt lgkmcnt(0)
	v_mul_u32_u24_sdwa v111, v8, s88 dst_sel:DWORD dst_unused:UNUSED_PAD src0_sel:WORD_0 src1_sel:DWORD
	v_mul_u32_u24_sdwa v104, v8, s88 dst_sel:DWORD dst_unused:UNUSED_PAD src0_sel:WORD_1 src1_sel:DWORD
	v_mul_u32_u24_sdwa v105, v9, s88 dst_sel:DWORD dst_unused:UNUSED_PAD src0_sel:WORD_0 src1_sel:DWORD
	v_mul_u32_u24_sdwa v106, v9, s88 dst_sel:DWORD dst_unused:UNUSED_PAD src0_sel:WORD_1 src1_sel:DWORD
	;; [unrolled: 2-line block ×4, first 2 shown]
	ds_read2_b64 v[8:11], v83 offset0:192 offset1:224
	s_waitcnt lgkmcnt(0)
	v_pk_fma_f16 v115, v8, v143, v115
	v_pk_fma_f16 v116, v9, v143, v116
	;; [unrolled: 1-line block ×24, first 2 shown]
	ds_read_b128 v[112:115], v81 offset:224
	v_pk_fma_f16 v127, v10, v31, v128
	v_pk_fma_f16 v31, v11, v31, v123
	;; [unrolled: 1-line block ×8, first 2 shown]
	ds_read_b128 v[8:11], v81 offset:240
	s_waitcnt lgkmcnt(1)
	v_mul_u32_u24_sdwa v123, v112, s88 dst_sel:DWORD dst_unused:UNUSED_PAD src0_sel:WORD_0 src1_sel:DWORD
	v_mul_u32_u24_sdwa v112, v112, s88 dst_sel:DWORD dst_unused:UNUSED_PAD src0_sel:WORD_1 src1_sel:DWORD
	v_mul_u32_u24_sdwa v125, v113, s88 dst_sel:DWORD dst_unused:UNUSED_PAD src0_sel:WORD_0 src1_sel:DWORD
	v_mul_u32_u24_sdwa v113, v113, s88 dst_sel:DWORD dst_unused:UNUSED_PAD src0_sel:WORD_1 src1_sel:DWORD
	s_waitcnt lgkmcnt(0)
	v_mul_u32_u24_sdwa v132, v8, s88 dst_sel:DWORD dst_unused:UNUSED_PAD src0_sel:WORD_0 src1_sel:DWORD
	v_mul_u32_u24_sdwa v133, v8, s88 dst_sel:DWORD dst_unused:UNUSED_PAD src0_sel:WORD_1 src1_sel:DWORD
	v_mul_u32_u24_sdwa v134, v9, s88 dst_sel:DWORD dst_unused:UNUSED_PAD src0_sel:WORD_0 src1_sel:DWORD
	v_mul_u32_u24_sdwa v135, v9, s88 dst_sel:DWORD dst_unused:UNUSED_PAD src0_sel:WORD_1 src1_sel:DWORD
	;; [unrolled: 2-line block ×4, first 2 shown]
	ds_read2_b64 v[8:11], v86 offset1:32
	v_mul_u32_u24_sdwa v130, v114, s88 dst_sel:DWORD dst_unused:UNUSED_PAD src0_sel:WORD_0 src1_sel:DWORD
	v_mul_u32_u24_sdwa v114, v114, s88 dst_sel:DWORD dst_unused:UNUSED_PAD src0_sel:WORD_1 src1_sel:DWORD
	v_mul_u32_u24_sdwa v131, v115, s88 dst_sel:DWORD dst_unused:UNUSED_PAD src0_sel:WORD_0 src1_sel:DWORD
	v_mul_u32_u24_sdwa v115, v115, s88 dst_sel:DWORD dst_unused:UNUSED_PAD src0_sel:WORD_1 src1_sel:DWORD
	s_waitcnt lgkmcnt(0)
	v_pk_fma_f16 v126, v8, v27, v126
	v_pk_fma_f16 v27, v9, v27, v116
	;; [unrolled: 1-line block ×18, first 2 shown]
	ds_read2_b64 v[26:29], v86 offset0:64 offset1:96
	v_pk_fma_f16 v116, v10, v99, v116
	v_pk_fma_f16 v87, v11, v99, v87
	v_lshl_add_u64 v[30:31], s[4:5], 2, v[46:47]
	v_pk_fma_f16 v99, v10, v97, v117
	v_pk_fma_f16 v97, v11, v97, v89
	;; [unrolled: 1-line block ×12, first 2 shown]
	ds_read2_b64 v[8:11], v86 offset0:128 offset1:160
	s_waitcnt lgkmcnt(1)
	v_pk_fma_f16 v122, v26, v100, v122
	v_pk_fma_f16 v98, v27, v100, v98
	v_pk_fma_f16 v100, v26, v101, v116
	v_pk_fma_f16 v87, v27, v101, v87
	ds_read2_b64 v[88:91], v86 offset0:192 offset1:224
	s_waitcnt lgkmcnt(0)
	s_barrier
	v_pk_fma_f16 v99, v26, v92, v99
	v_pk_fma_f16 v97, v27, v92, v97
	;; [unrolled: 1-line block ×4, first 2 shown]
	global_load_dwordx4 v[92:95], v[30:31], off
	v_pk_fma_f16 v30, v26, v15, v118
	v_pk_fma_f16 v15, v27, v15, v119
	;; [unrolled: 1-line block ×88, first 2 shown]
	s_waitcnt vmcnt(0)
	ds_write_b128 v82, v[92:95]
	s_waitcnt lgkmcnt(0)
	s_barrier
	ds_read_b128 v[8:11], v81 offset:256
	ds_read_b128 v[12:15], v81 offset:272
	;; [unrolled: 1-line block ×7, first 2 shown]
	s_waitcnt lgkmcnt(6)
	v_mul_u32_u24_sdwa v92, v8, s88 dst_sel:DWORD dst_unused:UNUSED_PAD src0_sel:WORD_0 src1_sel:DWORD
	v_mul_u32_u24_sdwa v93, v8, s88 dst_sel:DWORD dst_unused:UNUSED_PAD src0_sel:WORD_1 src1_sel:DWORD
	v_mul_u32_u24_sdwa v94, v9, s88 dst_sel:DWORD dst_unused:UNUSED_PAD src0_sel:WORD_0 src1_sel:DWORD
	v_mul_u32_u24_sdwa v95, v9, s88 dst_sel:DWORD dst_unused:UNUSED_PAD src0_sel:WORD_1 src1_sel:DWORD
	;; [unrolled: 2-line block ×4, first 2 shown]
	ds_read_b128 v[8:11], v81 offset:368
	s_waitcnt lgkmcnt(2)
	v_mul_u32_u24_sdwa v50, v30, s88 dst_sel:DWORD dst_unused:UNUSED_PAD src0_sel:WORD_0 src1_sel:DWORD
	v_mul_u32_u24_sdwa v51, v30, s88 dst_sel:DWORD dst_unused:UNUSED_PAD src0_sel:WORD_1 src1_sel:DWORD
	v_mul_u32_u24_sdwa v87, v31, s88 dst_sel:DWORD dst_unused:UNUSED_PAD src0_sel:WORD_0 src1_sel:DWORD
	v_mul_u32_u24_sdwa v49, v31, s88 dst_sel:DWORD dst_unused:UNUSED_PAD src0_sel:WORD_1 src1_sel:DWORD
	s_waitcnt lgkmcnt(1)
	v_mul_u32_u24_sdwa v115, v32, s88 dst_sel:DWORD dst_unused:UNUSED_PAD src0_sel:WORD_0 src1_sel:DWORD
	v_mul_u32_u24_sdwa v114, v32, s88 dst_sel:DWORD dst_unused:UNUSED_PAD src0_sel:WORD_1 src1_sel:DWORD
	v_mul_u32_u24_sdwa v113, v33, s88 dst_sel:DWORD dst_unused:UNUSED_PAD src0_sel:WORD_0 src1_sel:DWORD
	v_mul_u32_u24_sdwa v112, v33, s88 dst_sel:DWORD dst_unused:UNUSED_PAD src0_sel:WORD_1 src1_sel:DWORD
	;; [unrolled: 5-line block ×3, first 2 shown]
	v_mul_u32_u24_sdwa v33, v10, s88 dst_sel:DWORD dst_unused:UNUSED_PAD src0_sel:WORD_0 src1_sel:DWORD
	v_mul_u32_u24_sdwa v32, v10, s88 dst_sel:DWORD dst_unused:UNUSED_PAD src0_sel:WORD_1 src1_sel:DWORD
	v_mul_u32_u24_sdwa v31, v11, s88 dst_sel:DWORD dst_unused:UNUSED_PAD src0_sel:WORD_0 src1_sel:DWORD
	v_mul_u32_u24_sdwa v30, v11, s88 dst_sel:DWORD dst_unused:UNUSED_PAD src0_sel:WORD_1 src1_sel:DWORD
	ds_read2_b64 v[8:11], v83 offset1:32
	v_mul_u32_u24_sdwa v124, v12, s88 dst_sel:DWORD dst_unused:UNUSED_PAD src0_sel:WORD_0 src1_sel:DWORD
	v_mul_u32_u24_sdwa v12, v12, s88 dst_sel:DWORD dst_unused:UNUSED_PAD src0_sel:WORD_1 src1_sel:DWORD
	v_mul_u32_u24_sdwa v125, v13, s88 dst_sel:DWORD dst_unused:UNUSED_PAD src0_sel:WORD_0 src1_sel:DWORD
	v_mul_u32_u24_sdwa v13, v13, s88 dst_sel:DWORD dst_unused:UNUSED_PAD src0_sel:WORD_1 src1_sel:DWORD
	;; [unrolled: 2-line block ×14, first 2 shown]
	s_waitcnt lgkmcnt(0)
	v_pk_fma_f16 v14, v8, v92, v88
	v_pk_fma_f16 v15, v9, v92, v101
	;; [unrolled: 1-line block ×24, first 2 shown]
	ds_read_b128 v[12:15], v81 offset:384
	v_pk_fma_f16 v28, v10, v126, v28
	v_pk_fma_f16 v29, v11, v126, v29
	;; [unrolled: 1-line block ×8, first 2 shown]
	ds_read_b128 v[8:11], v81 offset:400
	s_waitcnt lgkmcnt(1)
	v_mul_u32_u24_sdwa v93, v12, s88 dst_sel:DWORD dst_unused:UNUSED_PAD src0_sel:WORD_0 src1_sel:DWORD
	v_mul_u32_u24_sdwa v95, v12, s88 dst_sel:DWORD dst_unused:UNUSED_PAD src0_sel:WORD_1 src1_sel:DWORD
	v_mul_u32_u24_sdwa v97, v13, s88 dst_sel:DWORD dst_unused:UNUSED_PAD src0_sel:WORD_0 src1_sel:DWORD
	v_mul_u32_u24_sdwa v99, v13, s88 dst_sel:DWORD dst_unused:UNUSED_PAD src0_sel:WORD_1 src1_sel:DWORD
	s_waitcnt lgkmcnt(0)
	v_mul_u32_u24_sdwa v27, v8, s88 dst_sel:DWORD dst_unused:UNUSED_PAD src0_sel:WORD_0 src1_sel:DWORD
	v_mul_u32_u24_sdwa v26, v8, s88 dst_sel:DWORD dst_unused:UNUSED_PAD src0_sel:WORD_1 src1_sel:DWORD
	v_mul_u32_u24_sdwa v25, v9, s88 dst_sel:DWORD dst_unused:UNUSED_PAD src0_sel:WORD_0 src1_sel:DWORD
	v_mul_u32_u24_sdwa v24, v9, s88 dst_sel:DWORD dst_unused:UNUSED_PAD src0_sel:WORD_1 src1_sel:DWORD
	;; [unrolled: 2-line block ×4, first 2 shown]
	ds_read2_b64 v[8:11], v83 offset0:64 offset1:96
	v_mul_u32_u24_sdwa v130, v16, s88 dst_sel:DWORD dst_unused:UNUSED_PAD src0_sel:WORD_0 src1_sel:DWORD
	v_mul_u32_u24_sdwa v16, v16, s88 dst_sel:DWORD dst_unused:UNUSED_PAD src0_sel:WORD_1 src1_sel:DWORD
	v_mul_u32_u24_sdwa v131, v17, s88 dst_sel:DWORD dst_unused:UNUSED_PAD src0_sel:WORD_0 src1_sel:DWORD
	v_mul_u32_u24_sdwa v17, v17, s88 dst_sel:DWORD dst_unused:UNUSED_PAD src0_sel:WORD_1 src1_sel:DWORD
	;; [unrolled: 2-line block ×8, first 2 shown]
	s_waitcnt lgkmcnt(0)
	v_pk_fma_f16 v14, v8, v130, v90
	v_pk_fma_f16 v15, v9, v130, v91
	;; [unrolled: 1-line block ×24, first 2 shown]
	ds_read_b128 v[14:17], v81 offset:416
	v_pk_fma_f16 v126, v10, v137, v102
	v_pk_fma_f16 v128, v10, v138, v88
	;; [unrolled: 1-line block ×3, first 2 shown]
	ds_read_b128 v[88:91], v81 offset:432
	ds_read2_b64 v[100:103], v83 offset0:128 offset1:160
	v_pk_fma_f16 v124, v10, v136, v28
	v_pk_fma_f16 v125, v11, v136, v29
	;; [unrolled: 1-line block ×3, first 2 shown]
	s_waitcnt lgkmcnt(2)
	v_mul_u32_u24_sdwa v34, v14, s88 dst_sel:DWORD dst_unused:UNUSED_PAD src0_sel:WORD_0 src1_sel:DWORD
	v_mul_u32_u24_sdwa v35, v14, s88 dst_sel:DWORD dst_unused:UNUSED_PAD src0_sel:WORD_1 src1_sel:DWORD
	v_mul_u32_u24_sdwa v28, v15, s88 dst_sel:DWORD dst_unused:UNUSED_PAD src0_sel:WORD_0 src1_sel:DWORD
	v_pk_fma_f16 v130, v10, v139, v8
	v_pk_fma_f16 v131, v11, v139, v9
	v_mul_u32_u24_sdwa v29, v15, s88 dst_sel:DWORD dst_unused:UNUSED_PAD src0_sel:WORD_1 src1_sel:DWORD
	v_mul_u32_u24_sdwa v11, v16, s88 dst_sel:DWORD dst_unused:UNUSED_PAD src0_sel:WORD_0 src1_sel:DWORD
	v_mul_u32_u24_sdwa v10, v16, s88 dst_sel:DWORD dst_unused:UNUSED_PAD src0_sel:WORD_1 src1_sel:DWORD
	v_mul_u32_u24_sdwa v9, v17, s88 dst_sel:DWORD dst_unused:UNUSED_PAD src0_sel:WORD_0 src1_sel:DWORD
	v_mul_u32_u24_sdwa v8, v17, s88 dst_sel:DWORD dst_unused:UNUSED_PAD src0_sel:WORD_1 src1_sel:DWORD
	s_waitcnt lgkmcnt(1)
	v_mul_u32_u24_sdwa v21, v88, s88 dst_sel:DWORD dst_unused:UNUSED_PAD src0_sel:WORD_0 src1_sel:DWORD
	v_mul_u32_u24_sdwa v20, v88, s88 dst_sel:DWORD dst_unused:UNUSED_PAD src0_sel:WORD_1 src1_sel:DWORD
	v_mul_u32_u24_sdwa v19, v89, s88 dst_sel:DWORD dst_unused:UNUSED_PAD src0_sel:WORD_0 src1_sel:DWORD
	v_mul_u32_u24_sdwa v18, v89, s88 dst_sel:DWORD dst_unused:UNUSED_PAD src0_sel:WORD_1 src1_sel:DWORD
	;; [unrolled: 2-line block ×4, first 2 shown]
	s_waitcnt lgkmcnt(0)
	v_pk_fma_f16 v88, v100, v140, v104
	v_pk_fma_f16 v89, v101, v140, v105
	;; [unrolled: 1-line block ×20, first 2 shown]
	ds_read_b128 v[104:107], v81 offset:448
	v_pk_fma_f16 v134, v102, v50, v120
	v_pk_fma_f16 v135, v103, v50, v121
	;; [unrolled: 1-line block ×4, first 2 shown]
	ds_read_b128 v[120:123], v81 offset:464
	v_pk_fma_f16 v126, v102, v148, v88
	v_pk_fma_f16 v127, v103, v148, v89
	;; [unrolled: 1-line block ×4, first 2 shown]
	s_waitcnt lgkmcnt(1)
	v_mul_u32_u24_sdwa v50, v104, s88 dst_sel:DWORD dst_unused:UNUSED_PAD src0_sel:WORD_0 src1_sel:DWORD
	v_mul_u32_u24_sdwa v51, v104, s88 dst_sel:DWORD dst_unused:UNUSED_PAD src0_sel:WORD_1 src1_sel:DWORD
	v_pk_fma_f16 v124, v102, v87, v124
	v_pk_fma_f16 v125, v103, v87, v125
	v_mul_u32_u24_sdwa v91, v105, s88 dst_sel:DWORD dst_unused:UNUSED_PAD src0_sel:WORD_0 src1_sel:DWORD
	v_pk_fma_f16 v138, v102, v49, v100
	v_pk_fma_f16 v139, v103, v49, v101
	v_mul_u32_u24_sdwa v87, v105, s88 dst_sel:DWORD dst_unused:UNUSED_PAD src0_sel:WORD_1 src1_sel:DWORD
	v_mul_u32_u24_sdwa v88, v106, s88 dst_sel:DWORD dst_unused:UNUSED_PAD src0_sel:WORD_0 src1_sel:DWORD
	v_mul_u32_u24_sdwa v89, v106, s88 dst_sel:DWORD dst_unused:UNUSED_PAD src0_sel:WORD_1 src1_sel:DWORD
	v_mul_u32_u24_sdwa v90, v107, s88 dst_sel:DWORD dst_unused:UNUSED_PAD src0_sel:WORD_0 src1_sel:DWORD
	v_mul_u32_u24_sdwa v49, v107, s88 dst_sel:DWORD dst_unused:UNUSED_PAD src0_sel:WORD_1 src1_sel:DWORD
	s_waitcnt lgkmcnt(0)
	v_mul_u32_u24_sdwa v107, v120, s88 dst_sel:DWORD dst_unused:UNUSED_PAD src0_sel:WORD_0 src1_sel:DWORD
	v_mul_u32_u24_sdwa v100, v120, s88 dst_sel:DWORD dst_unused:UNUSED_PAD src0_sel:WORD_1 src1_sel:DWORD
	v_mul_u32_u24_sdwa v101, v121, s88 dst_sel:DWORD dst_unused:UNUSED_PAD src0_sel:WORD_0 src1_sel:DWORD
	v_mul_u32_u24_sdwa v102, v121, s88 dst_sel:DWORD dst_unused:UNUSED_PAD src0_sel:WORD_1 src1_sel:DWORD
	;; [unrolled: 2-line block ×4, first 2 shown]
	ds_read2_b64 v[120:123], v83 offset0:192 offset1:224
	s_or_b32 s4, s2, 32
	s_mul_hi_i32 s5, s4, s81
	s_mul_i32 s4, s4, s81
	s_waitcnt lgkmcnt(0)
	v_pk_fma_f16 v126, v120, v115, v126
	v_pk_fma_f16 v115, v121, v115, v127
	;; [unrolled: 1-line block ×24, first 2 shown]
	ds_read_b128 v[108:111], v81 offset:480
	v_pk_fma_f16 v116, v122, v33, v130
	v_pk_fma_f16 v127, v123, v33, v131
	;; [unrolled: 1-line block ×8, first 2 shown]
	ds_read_b128 v[30:33], v81 offset:496
	s_waitcnt lgkmcnt(1)
	v_mul_u32_u24_sdwa v128, v108, s88 dst_sel:DWORD dst_unused:UNUSED_PAD src0_sel:WORD_0 src1_sel:DWORD
	v_mul_u32_u24_sdwa v108, v108, s88 dst_sel:DWORD dst_unused:UNUSED_PAD src0_sel:WORD_1 src1_sel:DWORD
	v_mul_u32_u24_sdwa v131, v109, s88 dst_sel:DWORD dst_unused:UNUSED_PAD src0_sel:WORD_0 src1_sel:DWORD
	v_mul_u32_u24_sdwa v109, v109, s88 dst_sel:DWORD dst_unused:UNUSED_PAD src0_sel:WORD_1 src1_sel:DWORD
	s_waitcnt lgkmcnt(0)
	v_mul_u32_u24_sdwa v132, v30, s88 dst_sel:DWORD dst_unused:UNUSED_PAD src0_sel:WORD_0 src1_sel:DWORD
	v_mul_u32_u24_sdwa v133, v30, s88 dst_sel:DWORD dst_unused:UNUSED_PAD src0_sel:WORD_1 src1_sel:DWORD
	v_mul_u32_u24_sdwa v134, v31, s88 dst_sel:DWORD dst_unused:UNUSED_PAD src0_sel:WORD_0 src1_sel:DWORD
	v_mul_u32_u24_sdwa v135, v31, s88 dst_sel:DWORD dst_unused:UNUSED_PAD src0_sel:WORD_1 src1_sel:DWORD
	v_mul_u32_u24_sdwa v136, v32, s88 dst_sel:DWORD dst_unused:UNUSED_PAD src0_sel:WORD_0 src1_sel:DWORD
	v_mul_u32_u24_sdwa v137, v32, s88 dst_sel:DWORD dst_unused:UNUSED_PAD src0_sel:WORD_1 src1_sel:DWORD
	v_mul_u32_u24_sdwa v138, v33, s88 dst_sel:DWORD dst_unused:UNUSED_PAD src0_sel:WORD_0 src1_sel:DWORD
	v_mul_u32_u24_sdwa v139, v33, s88 dst_sel:DWORD dst_unused:UNUSED_PAD src0_sel:WORD_1 src1_sel:DWORD
	ds_read2_b64 v[30:33], v86 offset1:32
	v_mul_u32_u24_sdwa v122, v110, s88 dst_sel:DWORD dst_unused:UNUSED_PAD src0_sel:WORD_0 src1_sel:DWORD
	v_mul_u32_u24_sdwa v110, v110, s88 dst_sel:DWORD dst_unused:UNUSED_PAD src0_sel:WORD_1 src1_sel:DWORD
	v_mul_u32_u24_sdwa v123, v111, s88 dst_sel:DWORD dst_unused:UNUSED_PAD src0_sel:WORD_0 src1_sel:DWORD
	v_mul_u32_u24_sdwa v111, v111, s88 dst_sel:DWORD dst_unused:UNUSED_PAD src0_sel:WORD_1 src1_sel:DWORD
	s_waitcnt lgkmcnt(0)
	v_pk_fma_f16 v126, v30, v93, v126
	v_pk_fma_f16 v93, v31, v93, v115
	;; [unrolled: 1-line block ×20, first 2 shown]
	ds_read2_b64 v[22:25], v86 offset0:64 offset1:96
	v_pk_fma_f16 v117, v30, v94, v124
	v_pk_fma_f16 v94, v31, v94, v125
	;; [unrolled: 1-line block ×8, first 2 shown]
	v_lshl_add_u64 v[26:27], s[4:5], 2, v[46:47]
	v_pk_fma_f16 v117, v32, v13, v117
	v_pk_fma_f16 v13, v33, v13, v94
	;; [unrolled: 1-line block ×4, first 2 shown]
	ds_read2_b64 v[30:33], v86 offset0:128 offset1:160
	s_waitcnt lgkmcnt(1)
	v_pk_fma_f16 v119, v22, v34, v92
	v_pk_fma_f16 v34, v23, v34, v93
	;; [unrolled: 1-line block ×4, first 2 shown]
	ds_read2_b64 v[92:95], v86 offset0:192 offset1:224
	s_waitcnt lgkmcnt(0)
	s_barrier
	v_pk_fma_f16 v114, v22, v28, v114
	v_pk_fma_f16 v97, v23, v28, v97
	;; [unrolled: 1-line block ×4, first 2 shown]
	global_load_dwordx4 v[26:29], v[26:27], off
	v_pk_fma_f16 v112, v22, v11, v112
	v_pk_fma_f16 v11, v23, v11, v98
	;; [unrolled: 1-line block ×88, first 2 shown]
	s_waitcnt vmcnt(0)
	ds_write_b128 v82, v[26:29]
	s_waitcnt lgkmcnt(0)
	s_barrier
	ds_read_b128 v[8:11], v81 offset:512
	ds_read_b128 v[12:15], v81 offset:528
	;; [unrolled: 1-line block ×7, first 2 shown]
	s_waitcnt lgkmcnt(6)
	v_mul_u32_u24_sdwa v104, v8, s88 dst_sel:DWORD dst_unused:UNUSED_PAD src0_sel:WORD_0 src1_sel:DWORD
	v_mul_u32_u24_sdwa v105, v8, s88 dst_sel:DWORD dst_unused:UNUSED_PAD src0_sel:WORD_1 src1_sel:DWORD
	v_mul_u32_u24_sdwa v106, v9, s88 dst_sel:DWORD dst_unused:UNUSED_PAD src0_sel:WORD_0 src1_sel:DWORD
	v_mul_u32_u24_sdwa v107, v9, s88 dst_sel:DWORD dst_unused:UNUSED_PAD src0_sel:WORD_1 src1_sel:DWORD
	v_mul_u32_u24_sdwa v120, v10, s88 dst_sel:DWORD dst_unused:UNUSED_PAD src0_sel:WORD_0 src1_sel:DWORD
	v_mul_u32_u24_sdwa v121, v10, s88 dst_sel:DWORD dst_unused:UNUSED_PAD src0_sel:WORD_1 src1_sel:DWORD
	v_mul_u32_u24_sdwa v122, v11, s88 dst_sel:DWORD dst_unused:UNUSED_PAD src0_sel:WORD_0 src1_sel:DWORD
	v_mul_u32_u24_sdwa v123, v11, s88 dst_sel:DWORD dst_unused:UNUSED_PAD src0_sel:WORD_1 src1_sel:DWORD
	ds_read_b128 v[8:11], v81 offset:624
	s_waitcnt lgkmcnt(2)
	v_mul_u32_u24_sdwa v50, v30, s88 dst_sel:DWORD dst_unused:UNUSED_PAD src0_sel:WORD_0 src1_sel:DWORD
	v_mul_u32_u24_sdwa v51, v30, s88 dst_sel:DWORD dst_unused:UNUSED_PAD src0_sel:WORD_1 src1_sel:DWORD
	v_mul_u32_u24_sdwa v87, v31, s88 dst_sel:DWORD dst_unused:UNUSED_PAD src0_sel:WORD_0 src1_sel:DWORD
	v_mul_u32_u24_sdwa v49, v31, s88 dst_sel:DWORD dst_unused:UNUSED_PAD src0_sel:WORD_1 src1_sel:DWORD
	s_waitcnt lgkmcnt(1)
	v_mul_u32_u24_sdwa v115, v32, s88 dst_sel:DWORD dst_unused:UNUSED_PAD src0_sel:WORD_0 src1_sel:DWORD
	v_mul_u32_u24_sdwa v114, v32, s88 dst_sel:DWORD dst_unused:UNUSED_PAD src0_sel:WORD_1 src1_sel:DWORD
	v_mul_u32_u24_sdwa v113, v33, s88 dst_sel:DWORD dst_unused:UNUSED_PAD src0_sel:WORD_0 src1_sel:DWORD
	v_mul_u32_u24_sdwa v112, v33, s88 dst_sel:DWORD dst_unused:UNUSED_PAD src0_sel:WORD_1 src1_sel:DWORD
	;; [unrolled: 5-line block ×3, first 2 shown]
	v_mul_u32_u24_sdwa v33, v10, s88 dst_sel:DWORD dst_unused:UNUSED_PAD src0_sel:WORD_0 src1_sel:DWORD
	v_mul_u32_u24_sdwa v32, v10, s88 dst_sel:DWORD dst_unused:UNUSED_PAD src0_sel:WORD_1 src1_sel:DWORD
	v_mul_u32_u24_sdwa v31, v11, s88 dst_sel:DWORD dst_unused:UNUSED_PAD src0_sel:WORD_0 src1_sel:DWORD
	v_mul_u32_u24_sdwa v30, v11, s88 dst_sel:DWORD dst_unused:UNUSED_PAD src0_sel:WORD_1 src1_sel:DWORD
	ds_read2_b64 v[8:11], v83 offset1:32
	v_mul_u32_u24_sdwa v124, v12, s88 dst_sel:DWORD dst_unused:UNUSED_PAD src0_sel:WORD_0 src1_sel:DWORD
	v_mul_u32_u24_sdwa v12, v12, s88 dst_sel:DWORD dst_unused:UNUSED_PAD src0_sel:WORD_1 src1_sel:DWORD
	v_mul_u32_u24_sdwa v125, v13, s88 dst_sel:DWORD dst_unused:UNUSED_PAD src0_sel:WORD_0 src1_sel:DWORD
	v_mul_u32_u24_sdwa v13, v13, s88 dst_sel:DWORD dst_unused:UNUSED_PAD src0_sel:WORD_1 src1_sel:DWORD
	;; [unrolled: 2-line block ×14, first 2 shown]
	s_waitcnt lgkmcnt(0)
	v_pk_fma_f16 v14, v8, v104, v88
	v_pk_fma_f16 v15, v9, v104, v97
	;; [unrolled: 1-line block ×24, first 2 shown]
	ds_read_b128 v[12:15], v81 offset:640
	v_pk_fma_f16 v28, v10, v126, v28
	v_pk_fma_f16 v29, v11, v126, v29
	;; [unrolled: 1-line block ×8, first 2 shown]
	ds_read_b128 v[8:11], v81 offset:656
	s_waitcnt lgkmcnt(1)
	v_mul_u32_u24_sdwa v93, v12, s88 dst_sel:DWORD dst_unused:UNUSED_PAD src0_sel:WORD_0 src1_sel:DWORD
	v_mul_u32_u24_sdwa v95, v12, s88 dst_sel:DWORD dst_unused:UNUSED_PAD src0_sel:WORD_1 src1_sel:DWORD
	v_mul_u32_u24_sdwa v97, v13, s88 dst_sel:DWORD dst_unused:UNUSED_PAD src0_sel:WORD_0 src1_sel:DWORD
	v_mul_u32_u24_sdwa v99, v13, s88 dst_sel:DWORD dst_unused:UNUSED_PAD src0_sel:WORD_1 src1_sel:DWORD
	s_waitcnt lgkmcnt(0)
	v_mul_u32_u24_sdwa v27, v8, s88 dst_sel:DWORD dst_unused:UNUSED_PAD src0_sel:WORD_0 src1_sel:DWORD
	v_mul_u32_u24_sdwa v26, v8, s88 dst_sel:DWORD dst_unused:UNUSED_PAD src0_sel:WORD_1 src1_sel:DWORD
	v_mul_u32_u24_sdwa v25, v9, s88 dst_sel:DWORD dst_unused:UNUSED_PAD src0_sel:WORD_0 src1_sel:DWORD
	v_mul_u32_u24_sdwa v24, v9, s88 dst_sel:DWORD dst_unused:UNUSED_PAD src0_sel:WORD_1 src1_sel:DWORD
	;; [unrolled: 2-line block ×4, first 2 shown]
	ds_read2_b64 v[8:11], v83 offset0:64 offset1:96
	v_mul_u32_u24_sdwa v130, v16, s88 dst_sel:DWORD dst_unused:UNUSED_PAD src0_sel:WORD_0 src1_sel:DWORD
	v_mul_u32_u24_sdwa v16, v16, s88 dst_sel:DWORD dst_unused:UNUSED_PAD src0_sel:WORD_1 src1_sel:DWORD
	v_mul_u32_u24_sdwa v131, v17, s88 dst_sel:DWORD dst_unused:UNUSED_PAD src0_sel:WORD_0 src1_sel:DWORD
	v_mul_u32_u24_sdwa v17, v17, s88 dst_sel:DWORD dst_unused:UNUSED_PAD src0_sel:WORD_1 src1_sel:DWORD
	;; [unrolled: 2-line block ×8, first 2 shown]
	s_waitcnt lgkmcnt(0)
	v_pk_fma_f16 v14, v8, v130, v90
	v_pk_fma_f16 v15, v9, v130, v91
	v_pk_fma_f16 v90, v8, v16, v100
	v_pk_fma_f16 v16, v9, v16, v101
	v_pk_fma_f16 v91, v8, v131, v102
	v_pk_fma_f16 v100, v9, v131, v103
	v_pk_fma_f16 v101, v8, v17, v104
	v_pk_fma_f16 v17, v9, v17, v105
	v_pk_fma_f16 v102, v8, v18, v34
	v_pk_fma_f16 v88, v8, v133, v88
	v_pk_fma_f16 v89, v9, v133, v89
	v_pk_fma_f16 v28, v8, v132, v28
	v_pk_fma_f16 v29, v9, v132, v29
	v_pk_fma_f16 v18, v9, v18, v35
	v_pk_fma_f16 v8, v8, v19, v106
	v_pk_fma_f16 v9, v9, v19, v107
	v_pk_fma_f16 v104, v10, v134, v14
	v_pk_fma_f16 v105, v11, v134, v15
	v_pk_fma_f16 v106, v10, v20, v90
	v_pk_fma_f16 v107, v11, v20, v16
	v_pk_fma_f16 v120, v10, v135, v91
	v_pk_fma_f16 v121, v11, v135, v100
	v_pk_fma_f16 v122, v10, v21, v101
	v_pk_fma_f16 v123, v11, v21, v17
	ds_read_b128 v[14:17], v81 offset:672
	v_pk_fma_f16 v126, v10, v137, v102
	v_pk_fma_f16 v128, v10, v138, v88
	;; [unrolled: 1-line block ×3, first 2 shown]
	ds_read_b128 v[88:91], v81 offset:688
	ds_read2_b64 v[100:103], v83 offset0:128 offset1:160
	v_pk_fma_f16 v124, v10, v136, v28
	v_pk_fma_f16 v125, v11, v136, v29
	v_pk_fma_f16 v127, v11, v137, v18
	s_waitcnt lgkmcnt(2)
	v_mul_u32_u24_sdwa v34, v14, s88 dst_sel:DWORD dst_unused:UNUSED_PAD src0_sel:WORD_0 src1_sel:DWORD
	v_mul_u32_u24_sdwa v35, v14, s88 dst_sel:DWORD dst_unused:UNUSED_PAD src0_sel:WORD_1 src1_sel:DWORD
	v_mul_u32_u24_sdwa v28, v15, s88 dst_sel:DWORD dst_unused:UNUSED_PAD src0_sel:WORD_0 src1_sel:DWORD
	v_pk_fma_f16 v130, v10, v139, v8
	v_pk_fma_f16 v131, v11, v139, v9
	v_mul_u32_u24_sdwa v29, v15, s88 dst_sel:DWORD dst_unused:UNUSED_PAD src0_sel:WORD_1 src1_sel:DWORD
	v_mul_u32_u24_sdwa v11, v16, s88 dst_sel:DWORD dst_unused:UNUSED_PAD src0_sel:WORD_0 src1_sel:DWORD
	v_mul_u32_u24_sdwa v10, v16, s88 dst_sel:DWORD dst_unused:UNUSED_PAD src0_sel:WORD_1 src1_sel:DWORD
	v_mul_u32_u24_sdwa v9, v17, s88 dst_sel:DWORD dst_unused:UNUSED_PAD src0_sel:WORD_0 src1_sel:DWORD
	v_mul_u32_u24_sdwa v8, v17, s88 dst_sel:DWORD dst_unused:UNUSED_PAD src0_sel:WORD_1 src1_sel:DWORD
	s_waitcnt lgkmcnt(1)
	v_mul_u32_u24_sdwa v21, v88, s88 dst_sel:DWORD dst_unused:UNUSED_PAD src0_sel:WORD_0 src1_sel:DWORD
	v_mul_u32_u24_sdwa v20, v88, s88 dst_sel:DWORD dst_unused:UNUSED_PAD src0_sel:WORD_1 src1_sel:DWORD
	v_mul_u32_u24_sdwa v19, v89, s88 dst_sel:DWORD dst_unused:UNUSED_PAD src0_sel:WORD_0 src1_sel:DWORD
	v_mul_u32_u24_sdwa v18, v89, s88 dst_sel:DWORD dst_unused:UNUSED_PAD src0_sel:WORD_1 src1_sel:DWORD
	;; [unrolled: 2-line block ×4, first 2 shown]
	s_waitcnt lgkmcnt(0)
	v_pk_fma_f16 v88, v100, v140, v104
	v_pk_fma_f16 v89, v101, v140, v105
	;; [unrolled: 1-line block ×20, first 2 shown]
	ds_read_b128 v[104:107], v81 offset:704
	v_pk_fma_f16 v134, v102, v50, v120
	v_pk_fma_f16 v135, v103, v50, v121
	;; [unrolled: 1-line block ×4, first 2 shown]
	ds_read_b128 v[120:123], v81 offset:720
	v_pk_fma_f16 v126, v102, v148, v88
	v_pk_fma_f16 v127, v103, v148, v89
	;; [unrolled: 1-line block ×4, first 2 shown]
	s_waitcnt lgkmcnt(1)
	v_mul_u32_u24_sdwa v50, v104, s88 dst_sel:DWORD dst_unused:UNUSED_PAD src0_sel:WORD_0 src1_sel:DWORD
	v_mul_u32_u24_sdwa v51, v104, s88 dst_sel:DWORD dst_unused:UNUSED_PAD src0_sel:WORD_1 src1_sel:DWORD
	v_pk_fma_f16 v124, v102, v87, v124
	v_pk_fma_f16 v125, v103, v87, v125
	v_mul_u32_u24_sdwa v91, v105, s88 dst_sel:DWORD dst_unused:UNUSED_PAD src0_sel:WORD_0 src1_sel:DWORD
	v_pk_fma_f16 v138, v102, v49, v100
	v_pk_fma_f16 v139, v103, v49, v101
	v_mul_u32_u24_sdwa v87, v105, s88 dst_sel:DWORD dst_unused:UNUSED_PAD src0_sel:WORD_1 src1_sel:DWORD
	v_mul_u32_u24_sdwa v88, v106, s88 dst_sel:DWORD dst_unused:UNUSED_PAD src0_sel:WORD_0 src1_sel:DWORD
	v_mul_u32_u24_sdwa v89, v106, s88 dst_sel:DWORD dst_unused:UNUSED_PAD src0_sel:WORD_1 src1_sel:DWORD
	v_mul_u32_u24_sdwa v90, v107, s88 dst_sel:DWORD dst_unused:UNUSED_PAD src0_sel:WORD_0 src1_sel:DWORD
	v_mul_u32_u24_sdwa v49, v107, s88 dst_sel:DWORD dst_unused:UNUSED_PAD src0_sel:WORD_1 src1_sel:DWORD
	s_waitcnt lgkmcnt(0)
	v_mul_u32_u24_sdwa v107, v120, s88 dst_sel:DWORD dst_unused:UNUSED_PAD src0_sel:WORD_0 src1_sel:DWORD
	v_mul_u32_u24_sdwa v100, v120, s88 dst_sel:DWORD dst_unused:UNUSED_PAD src0_sel:WORD_1 src1_sel:DWORD
	v_mul_u32_u24_sdwa v101, v121, s88 dst_sel:DWORD dst_unused:UNUSED_PAD src0_sel:WORD_0 src1_sel:DWORD
	v_mul_u32_u24_sdwa v102, v121, s88 dst_sel:DWORD dst_unused:UNUSED_PAD src0_sel:WORD_1 src1_sel:DWORD
	;; [unrolled: 2-line block ×4, first 2 shown]
	ds_read2_b64 v[120:123], v83 offset0:192 offset1:224
	s_or_b32 s4, s2, 48
	s_mul_hi_i32 s5, s4, s81
	s_mul_i32 s4, s4, s81
	s_waitcnt lgkmcnt(0)
	v_pk_fma_f16 v126, v120, v115, v126
	v_pk_fma_f16 v115, v121, v115, v127
	;; [unrolled: 1-line block ×24, first 2 shown]
	ds_read_b128 v[108:111], v81 offset:736
	v_pk_fma_f16 v116, v122, v33, v130
	v_pk_fma_f16 v127, v123, v33, v131
	v_pk_fma_f16 v129, v122, v32, v132
	v_pk_fma_f16 v130, v123, v32, v133
	v_pk_fma_f16 v124, v122, v31, v124
	v_pk_fma_f16 v125, v123, v31, v125
	v_pk_fma_f16 v120, v122, v30, v120
	v_pk_fma_f16 v121, v123, v30, v121
	ds_read_b128 v[30:33], v81 offset:752
	s_waitcnt lgkmcnt(1)
	v_mul_u32_u24_sdwa v128, v108, s88 dst_sel:DWORD dst_unused:UNUSED_PAD src0_sel:WORD_0 src1_sel:DWORD
	v_mul_u32_u24_sdwa v108, v108, s88 dst_sel:DWORD dst_unused:UNUSED_PAD src0_sel:WORD_1 src1_sel:DWORD
	v_mul_u32_u24_sdwa v131, v109, s88 dst_sel:DWORD dst_unused:UNUSED_PAD src0_sel:WORD_0 src1_sel:DWORD
	v_mul_u32_u24_sdwa v109, v109, s88 dst_sel:DWORD dst_unused:UNUSED_PAD src0_sel:WORD_1 src1_sel:DWORD
	s_waitcnt lgkmcnt(0)
	v_mul_u32_u24_sdwa v132, v30, s88 dst_sel:DWORD dst_unused:UNUSED_PAD src0_sel:WORD_0 src1_sel:DWORD
	v_mul_u32_u24_sdwa v133, v30, s88 dst_sel:DWORD dst_unused:UNUSED_PAD src0_sel:WORD_1 src1_sel:DWORD
	v_mul_u32_u24_sdwa v134, v31, s88 dst_sel:DWORD dst_unused:UNUSED_PAD src0_sel:WORD_0 src1_sel:DWORD
	v_mul_u32_u24_sdwa v135, v31, s88 dst_sel:DWORD dst_unused:UNUSED_PAD src0_sel:WORD_1 src1_sel:DWORD
	;; [unrolled: 2-line block ×4, first 2 shown]
	ds_read2_b64 v[30:33], v86 offset1:32
	v_mul_u32_u24_sdwa v122, v110, s88 dst_sel:DWORD dst_unused:UNUSED_PAD src0_sel:WORD_0 src1_sel:DWORD
	v_mul_u32_u24_sdwa v110, v110, s88 dst_sel:DWORD dst_unused:UNUSED_PAD src0_sel:WORD_1 src1_sel:DWORD
	v_mul_u32_u24_sdwa v123, v111, s88 dst_sel:DWORD dst_unused:UNUSED_PAD src0_sel:WORD_0 src1_sel:DWORD
	v_mul_u32_u24_sdwa v111, v111, s88 dst_sel:DWORD dst_unused:UNUSED_PAD src0_sel:WORD_1 src1_sel:DWORD
	s_waitcnt lgkmcnt(0)
	v_pk_fma_f16 v126, v30, v93, v126
	v_pk_fma_f16 v93, v31, v93, v115
	;; [unrolled: 1-line block ×20, first 2 shown]
	ds_read2_b64 v[22:25], v86 offset0:64 offset1:96
	v_pk_fma_f16 v117, v30, v94, v124
	v_pk_fma_f16 v94, v31, v94, v125
	;; [unrolled: 1-line block ×8, first 2 shown]
	v_lshl_add_u64 v[26:27], s[4:5], 2, v[46:47]
	v_pk_fma_f16 v117, v32, v13, v117
	v_pk_fma_f16 v13, v33, v13, v94
	v_pk_fma_f16 v118, v32, v12, v30
	v_pk_fma_f16 v12, v33, v12, v31
	ds_read2_b64 v[30:33], v86 offset0:128 offset1:160
	s_waitcnt lgkmcnt(1)
	v_pk_fma_f16 v119, v22, v34, v92
	v_pk_fma_f16 v34, v23, v34, v93
	;; [unrolled: 1-line block ×4, first 2 shown]
	ds_read2_b64 v[92:95], v86 offset0:192 offset1:224
	s_waitcnt lgkmcnt(0)
	s_barrier
	v_pk_fma_f16 v114, v22, v28, v114
	v_pk_fma_f16 v97, v23, v28, v97
	;; [unrolled: 1-line block ×4, first 2 shown]
	global_load_dwordx4 v[26:29], v[26:27], off
	v_pk_fma_f16 v112, v22, v11, v112
	v_pk_fma_f16 v11, v23, v11, v98
	;; [unrolled: 1-line block ×88, first 2 shown]
	s_waitcnt vmcnt(0)
	ds_write_b128 v82, v[26:29]
	s_waitcnt lgkmcnt(0)
	s_barrier
	ds_read_b128 v[8:11], v81 offset:768
	ds_read_b128 v[12:15], v81 offset:784
	;; [unrolled: 1-line block ×7, first 2 shown]
	s_waitcnt lgkmcnt(6)
	v_mul_u32_u24_sdwa v120, v10, s88 dst_sel:DWORD dst_unused:UNUSED_PAD src0_sel:WORD_0 src1_sel:DWORD
	v_mul_u32_u24_sdwa v121, v10, s88 dst_sel:DWORD dst_unused:UNUSED_PAD src0_sel:WORD_1 src1_sel:DWORD
	v_mul_u32_u24_sdwa v122, v11, s88 dst_sel:DWORD dst_unused:UNUSED_PAD src0_sel:WORD_0 src1_sel:DWORD
	v_mul_u32_u24_sdwa v123, v11, s88 dst_sel:DWORD dst_unused:UNUSED_PAD src0_sel:WORD_1 src1_sel:DWORD
	s_waitcnt lgkmcnt(5)
	v_mul_u32_u24_sdwa v124, v12, s88 dst_sel:DWORD dst_unused:UNUSED_PAD src0_sel:WORD_0 src1_sel:DWORD
	v_mul_u32_u24_sdwa v125, v12, s88 dst_sel:DWORD dst_unused:UNUSED_PAD src0_sel:WORD_1 src1_sel:DWORD
	v_mul_u32_u24_sdwa v126, v13, s88 dst_sel:DWORD dst_unused:UNUSED_PAD src0_sel:WORD_0 src1_sel:DWORD
	v_mul_u32_u24_sdwa v127, v13, s88 dst_sel:DWORD dst_unused:UNUSED_PAD src0_sel:WORD_1 src1_sel:DWORD
	ds_read_b128 v[10:13], v81 offset:880
	v_mul_u32_u24_sdwa v104, v8, s88 dst_sel:DWORD dst_unused:UNUSED_PAD src0_sel:WORD_0 src1_sel:DWORD
	v_mul_u32_u24_sdwa v105, v8, s88 dst_sel:DWORD dst_unused:UNUSED_PAD src0_sel:WORD_1 src1_sel:DWORD
	v_mul_u32_u24_sdwa v106, v9, s88 dst_sel:DWORD dst_unused:UNUSED_PAD src0_sel:WORD_0 src1_sel:DWORD
	v_mul_u32_u24_sdwa v107, v9, s88 dst_sel:DWORD dst_unused:UNUSED_PAD src0_sel:WORD_1 src1_sel:DWORD
	;; [unrolled: 2-line block ×4, first 2 shown]
	s_waitcnt lgkmcnt(0)
	v_mul_u32_u24_sdwa v119, v10, s88 dst_sel:DWORD dst_unused:UNUSED_PAD src0_sel:WORD_0 src1_sel:DWORD
	v_mul_u32_u24_sdwa v118, v10, s88 dst_sel:DWORD dst_unused:UNUSED_PAD src0_sel:WORD_1 src1_sel:DWORD
	v_mul_u32_u24_sdwa v117, v11, s88 dst_sel:DWORD dst_unused:UNUSED_PAD src0_sel:WORD_0 src1_sel:DWORD
	v_mul_u32_u24_sdwa v116, v11, s88 dst_sel:DWORD dst_unused:UNUSED_PAD src0_sel:WORD_1 src1_sel:DWORD
	;; [unrolled: 2-line block ×4, first 2 shown]
	ds_read2_b64 v[12:15], v83 offset1:32
	v_mul_u32_u24_sdwa v132, v16, s88 dst_sel:DWORD dst_unused:UNUSED_PAD src0_sel:WORD_0 src1_sel:DWORD
	v_mul_u32_u24_sdwa v133, v16, s88 dst_sel:DWORD dst_unused:UNUSED_PAD src0_sel:WORD_1 src1_sel:DWORD
	v_mul_u32_u24_sdwa v134, v17, s88 dst_sel:DWORD dst_unused:UNUSED_PAD src0_sel:WORD_0 src1_sel:DWORD
	v_mul_u32_u24_sdwa v135, v17, s88 dst_sel:DWORD dst_unused:UNUSED_PAD src0_sel:WORD_1 src1_sel:DWORD
	;; [unrolled: 2-line block ×4, first 2 shown]
	s_waitcnt lgkmcnt(0)
	v_pk_fma_f16 v16, v12, v104, v32
	v_pk_fma_f16 v17, v13, v104, v97
	;; [unrolled: 1-line block ×4, first 2 shown]
	v_mul_u32_u24_sdwa v140, v20, s88 dst_sel:DWORD dst_unused:UNUSED_PAD src0_sel:WORD_0 src1_sel:DWORD
	v_mul_u32_u24_sdwa v141, v20, s88 dst_sel:DWORD dst_unused:UNUSED_PAD src0_sel:WORD_1 src1_sel:DWORD
	v_mul_u32_u24_sdwa v51, v30, s88 dst_sel:DWORD dst_unused:UNUSED_PAD src0_sel:WORD_0 src1_sel:DWORD
	v_mul_u32_u24_sdwa v35, v30, s88 dst_sel:DWORD dst_unused:UNUSED_PAD src0_sel:WORD_1 src1_sel:DWORD
	;; [unrolled: 2-line block ×3, first 2 shown]
	v_pk_fma_f16 v20, v12, v106, v34
	v_pk_fma_f16 v30, v14, v124, v16
	;; [unrolled: 1-line block ×5, first 2 shown]
	ds_read_b128 v[16:19], v81 offset:896
	v_mul_u32_u24_sdwa v142, v21, s88 dst_sel:DWORD dst_unused:UNUSED_PAD src0_sel:WORD_0 src1_sel:DWORD
	v_mul_u32_u24_sdwa v143, v21, s88 dst_sel:DWORD dst_unused:UNUSED_PAD src0_sel:WORD_1 src1_sel:DWORD
	v_mul_u32_u24_sdwa v144, v22, s88 dst_sel:DWORD dst_unused:UNUSED_PAD src0_sel:WORD_0 src1_sel:DWORD
	v_mul_u32_u24_sdwa v145, v22, s88 dst_sel:DWORD dst_unused:UNUSED_PAD src0_sel:WORD_1 src1_sel:DWORD
	;; [unrolled: 2-line block ×9, first 2 shown]
	v_pk_fma_f16 v21, v13, v106, v99
	v_pk_fma_f16 v22, v12, v107, v87
	;; [unrolled: 1-line block ×11, first 2 shown]
	v_mul_u32_u24_sdwa v115, v88, s88 dst_sel:DWORD dst_unused:UNUSED_PAD src0_sel:WORD_0 src1_sel:DWORD
	v_mul_u32_u24_sdwa v114, v88, s88 dst_sel:DWORD dst_unused:UNUSED_PAD src0_sel:WORD_1 src1_sel:DWORD
	v_mul_u32_u24_sdwa v113, v89, s88 dst_sel:DWORD dst_unused:UNUSED_PAD src0_sel:WORD_0 src1_sel:DWORD
	v_mul_u32_u24_sdwa v112, v89, s88 dst_sel:DWORD dst_unused:UNUSED_PAD src0_sel:WORD_1 src1_sel:DWORD
	;; [unrolled: 2-line block ×3, first 2 shown]
	v_pk_fma_f16 v87, v14, v126, v20
	v_pk_fma_f16 v88, v15, v126, v21
	;; [unrolled: 1-line block ×6, first 2 shown]
	s_waitcnt lgkmcnt(0)
	v_mul_u32_u24_sdwa v104, v16, s88 dst_sel:DWORD dst_unused:UNUSED_PAD src0_sel:WORD_0 src1_sel:DWORD
	v_pk_fma_f16 v97, v14, v129, v26
	v_pk_fma_f16 v27, v15, v129, v27
	v_mul_u32_u24_sdwa v105, v16, s88 dst_sel:DWORD dst_unused:UNUSED_PAD src0_sel:WORD_1 src1_sel:DWORD
	v_pk_fma_f16 v28, v14, v130, v28
	v_pk_fma_f16 v29, v15, v130, v29
	v_mul_u32_u24_sdwa v106, v17, s88 dst_sel:DWORD dst_unused:UNUSED_PAD src0_sel:WORD_0 src1_sel:DWORD
	v_pk_fma_f16 v98, v14, v131, v12
	v_pk_fma_f16 v99, v15, v131, v13
	v_mul_u32_u24_sdwa v107, v17, s88 dst_sel:DWORD dst_unused:UNUSED_PAD src0_sel:WORD_1 src1_sel:DWORD
	v_mul_u32_u24_sdwa v15, v18, s88 dst_sel:DWORD dst_unused:UNUSED_PAD src0_sel:WORD_0 src1_sel:DWORD
	v_mul_u32_u24_sdwa v14, v18, s88 dst_sel:DWORD dst_unused:UNUSED_PAD src0_sel:WORD_1 src1_sel:DWORD
	v_mul_u32_u24_sdwa v13, v19, s88 dst_sel:DWORD dst_unused:UNUSED_PAD src0_sel:WORD_0 src1_sel:DWORD
	v_mul_u32_u24_sdwa v12, v19, s88 dst_sel:DWORD dst_unused:UNUSED_PAD src0_sel:WORD_1 src1_sel:DWORD
	ds_read_b128 v[16:19], v81 offset:912
	ds_read2_b64 v[20:23], v83 offset0:64 offset1:96
	v_mul_u32_u24_sdwa v109, v91, s88 dst_sel:DWORD dst_unused:UNUSED_PAD src0_sel:WORD_0 src1_sel:DWORD
	v_mul_u32_u24_sdwa v108, v91, s88 dst_sel:DWORD dst_unused:UNUSED_PAD src0_sel:WORD_1 src1_sel:DWORD
	s_waitcnt lgkmcnt(1)
	v_mul_u32_u24_sdwa v95, v16, s88 dst_sel:DWORD dst_unused:UNUSED_PAD src0_sel:WORD_0 src1_sel:DWORD
	v_mul_u32_u24_sdwa v94, v16, s88 dst_sel:DWORD dst_unused:UNUSED_PAD src0_sel:WORD_1 src1_sel:DWORD
	v_mul_u32_u24_sdwa v93, v17, s88 dst_sel:DWORD dst_unused:UNUSED_PAD src0_sel:WORD_0 src1_sel:DWORD
	v_mul_u32_u24_sdwa v92, v17, s88 dst_sel:DWORD dst_unused:UNUSED_PAD src0_sel:WORD_1 src1_sel:DWORD
	s_waitcnt lgkmcnt(0)
	v_pk_fma_f16 v16, v20, v132, v30
	v_pk_fma_f16 v17, v21, v132, v31
	;; [unrolled: 1-line block ×6, first 2 shown]
	v_mul_u32_u24_sdwa v91, v18, s88 dst_sel:DWORD dst_unused:UNUSED_PAD src0_sel:WORD_0 src1_sel:DWORD
	v_mul_u32_u24_sdwa v33, v18, s88 dst_sel:DWORD dst_unused:UNUSED_PAD src0_sel:WORD_1 src1_sel:DWORD
	v_mul_u32_u24_sdwa v26, v19, s88 dst_sel:DWORD dst_unused:UNUSED_PAD src0_sel:WORD_0 src1_sel:DWORD
	v_mul_u32_u24_sdwa v24, v19, s88 dst_sel:DWORD dst_unused:UNUSED_PAD src0_sel:WORD_1 src1_sel:DWORD
	v_pk_fma_f16 v18, v20, v133, v32
	v_pk_fma_f16 v19, v21, v133, v34
	;; [unrolled: 1-line block ×10, first 2 shown]
	ds_read_b128 v[28:31], v81 offset:928
	v_pk_fma_f16 v127, v23, v147, v96
	ds_read_b128 v[96:99], v81 offset:944
	v_pk_fma_f16 v25, v21, v136, v25
	v_pk_fma_f16 v27, v21, v137, v27
	v_pk_fma_f16 v100, v22, v140, v16
	v_pk_fma_f16 v101, v23, v140, v17
	v_pk_fma_f16 v102, v22, v141, v18
	v_pk_fma_f16 v103, v23, v141, v19
	v_pk_fma_f16 v122, v22, v143, v32
	v_pk_fma_f16 v123, v23, v143, v34
	v_pk_fma_f16 v87, v22, v144, v87
	v_pk_fma_f16 v124, v23, v144, v25
	s_waitcnt lgkmcnt(1)
	v_mul_u32_u24_sdwa v17, v28, s88 dst_sel:DWORD dst_unused:UNUSED_PAD src0_sel:WORD_0 src1_sel:DWORD
	v_pk_fma_f16 v88, v22, v145, v88
	v_pk_fma_f16 v125, v23, v145, v27
	v_mul_u32_u24_sdwa v19, v28, s88 dst_sel:DWORD dst_unused:UNUSED_PAD src0_sel:WORD_1 src1_sel:DWORD
	v_pk_fma_f16 v89, v22, v146, v89
	v_pk_fma_f16 v90, v23, v146, v90
	v_mul_u32_u24_sdwa v21, v29, s88 dst_sel:DWORD dst_unused:UNUSED_PAD src0_sel:WORD_0 src1_sel:DWORD
	v_pk_fma_f16 v126, v22, v147, v20
	v_mul_u32_u24_sdwa v23, v29, s88 dst_sel:DWORD dst_unused:UNUSED_PAD src0_sel:WORD_1 src1_sel:DWORD
	v_mul_u32_u24_sdwa v22, v30, s88 dst_sel:DWORD dst_unused:UNUSED_PAD src0_sel:WORD_0 src1_sel:DWORD
	v_mul_u32_u24_sdwa v20, v30, s88 dst_sel:DWORD dst_unused:UNUSED_PAD src0_sel:WORD_1 src1_sel:DWORD
	v_mul_u32_u24_sdwa v18, v31, s88 dst_sel:DWORD dst_unused:UNUSED_PAD src0_sel:WORD_0 src1_sel:DWORD
	v_mul_u32_u24_sdwa v16, v31, s88 dst_sel:DWORD dst_unused:UNUSED_PAD src0_sel:WORD_1 src1_sel:DWORD
	s_waitcnt lgkmcnt(0)
	v_mul_u32_u24_sdwa v34, v96, s88 dst_sel:DWORD dst_unused:UNUSED_PAD src0_sel:WORD_0 src1_sel:DWORD
	v_mul_u32_u24_sdwa v32, v96, s88 dst_sel:DWORD dst_unused:UNUSED_PAD src0_sel:WORD_1 src1_sel:DWORD
	v_mul_u32_u24_sdwa v31, v97, s88 dst_sel:DWORD dst_unused:UNUSED_PAD src0_sel:WORD_0 src1_sel:DWORD
	v_mul_u32_u24_sdwa v30, v97, s88 dst_sel:DWORD dst_unused:UNUSED_PAD src0_sel:WORD_1 src1_sel:DWORD
	;; [unrolled: 2-line block ×4, first 2 shown]
	ds_read2_b64 v[96:99], v83 offset0:128 offset1:160
	s_waitcnt lgkmcnt(0)
	v_pk_fma_f16 v120, v96, v150, v120
	v_pk_fma_f16 v121, v97, v150, v121
	;; [unrolled: 1-line block ×8, first 2 shown]
	ds_read2_b64 v[120:123], v83 offset0:192 offset1:224
	v_pk_fma_f16 v100, v96, v148, v100
	v_pk_fma_f16 v101, v97, v148, v101
	;; [unrolled: 1-line block ×24, first 2 shown]
	ds_read_b128 v[100:103], v81 offset:960
	s_waitcnt lgkmcnt(1)
	v_pk_fma_f16 v126, v120, v115, v126
	v_pk_fma_f16 v115, v121, v115, v127
	;; [unrolled: 1-line block ×16, first 2 shown]
	ds_read_b128 v[108:111], v81 offset:992
	v_pk_fma_f16 v126, v122, v119, v126
	v_pk_fma_f16 v115, v123, v119, v115
	;; [unrolled: 1-line block ×10, first 2 shown]
	s_waitcnt lgkmcnt(0)
	v_mul_u32_u24_sdwa v124, v108, s88 dst_sel:DWORD dst_unused:UNUSED_PAD src0_sel:WORD_0 src1_sel:DWORD
	v_pk_fma_f16 v127, v122, v10, v131
	v_pk_fma_f16 v10, v123, v10, v125
	v_mul_u32_u24_sdwa v125, v108, s88 dst_sel:DWORD dst_unused:UNUSED_PAD src0_sel:WORD_1 src1_sel:DWORD
	v_pk_fma_f16 v128, v122, v9, v132
	v_pk_fma_f16 v9, v123, v9, v133
	v_mul_u32_u24_sdwa v129, v109, s88 dst_sel:DWORD dst_unused:UNUSED_PAD src0_sel:WORD_0 src1_sel:DWORD
	v_pk_fma_f16 v120, v122, v8, v120
	v_pk_fma_f16 v8, v123, v8, v121
	v_mul_u32_u24_sdwa v121, v109, s88 dst_sel:DWORD dst_unused:UNUSED_PAD src0_sel:WORD_1 src1_sel:DWORD
	v_mul_u32_u24_sdwa v122, v110, s88 dst_sel:DWORD dst_unused:UNUSED_PAD src0_sel:WORD_0 src1_sel:DWORD
	v_mul_u32_u24_sdwa v123, v110, s88 dst_sel:DWORD dst_unused:UNUSED_PAD src0_sel:WORD_1 src1_sel:DWORD
	v_mul_u32_u24_sdwa v130, v111, s88 dst_sel:DWORD dst_unused:UNUSED_PAD src0_sel:WORD_0 src1_sel:DWORD
	v_mul_u32_u24_sdwa v131, v111, s88 dst_sel:DWORD dst_unused:UNUSED_PAD src0_sel:WORD_1 src1_sel:DWORD
	ds_read2_b64 v[108:111], v86 offset1:32
	v_mul_u32_u24_sdwa v87, v100, s88 dst_sel:DWORD dst_unused:UNUSED_PAD src0_sel:WORD_0 src1_sel:DWORD
	v_mul_u32_u24_sdwa v35, v100, s88 dst_sel:DWORD dst_unused:UNUSED_PAD src0_sel:WORD_1 src1_sel:DWORD
	v_mul_u32_u24_sdwa v88, v101, s88 dst_sel:DWORD dst_unused:UNUSED_PAD src0_sel:WORD_0 src1_sel:DWORD
	v_mul_u32_u24_sdwa v89, v101, s88 dst_sel:DWORD dst_unused:UNUSED_PAD src0_sel:WORD_1 src1_sel:DWORD
	;; [unrolled: 2-line block ×4, first 2 shown]
	ds_read_b128 v[100:103], v81 offset:976
	s_waitcnt lgkmcnt(1)
	v_pk_fma_f16 v126, v108, v104, v126
	v_pk_fma_f16 v115, v109, v104, v115
	;; [unrolled: 1-line block ×8, first 2 shown]
	ds_read_b128 v[104:107], v81 offset:1008
	v_pk_fma_f16 v116, v108, v15, v116
	v_pk_fma_f16 v132, v109, v15, v11
	;; [unrolled: 1-line block ×8, first 2 shown]
	ds_read2_b64 v[12:15], v86 offset0:64 offset1:96
	ds_read2_b64 v[8:11], v86 offset0:128 offset1:160
	v_pk_fma_f16 v120, v110, v95, v126
	v_pk_fma_f16 v95, v111, v95, v115
	v_pk_fma_f16 v115, v110, v94, v119
	v_pk_fma_f16 v94, v111, v94, v114
	v_pk_fma_f16 v114, v110, v93, v118
	v_pk_fma_f16 v93, v111, v93, v113
	v_pk_fma_f16 v113, v110, v92, v117
	v_pk_fma_f16 v92, v111, v92, v112
	v_pk_fma_f16 v112, v110, v91, v116
	v_pk_fma_f16 v91, v111, v91, v132
	s_waitcnt lgkmcnt(2)
	v_mul_u32_u24_sdwa v116, v104, s88 dst_sel:DWORD dst_unused:UNUSED_PAD src0_sel:WORD_0 src1_sel:DWORD
	v_pk_fma_f16 v117, v110, v33, v127
	v_pk_fma_f16 v33, v111, v33, v133
	v_mul_u32_u24_sdwa v118, v104, s88 dst_sel:DWORD dst_unused:UNUSED_PAD src0_sel:WORD_1 src1_sel:DWORD
	v_pk_fma_f16 v119, v110, v26, v128
	v_pk_fma_f16 v26, v111, v26, v134
	v_mul_u32_u24_sdwa v126, v105, s88 dst_sel:DWORD dst_unused:UNUSED_PAD src0_sel:WORD_0 src1_sel:DWORD
	v_pk_fma_f16 v108, v110, v24, v108
	v_pk_fma_f16 v24, v111, v24, v109
	v_mul_u32_u24_sdwa v109, v105, s88 dst_sel:DWORD dst_unused:UNUSED_PAD src0_sel:WORD_1 src1_sel:DWORD
	v_mul_u32_u24_sdwa v110, v106, s88 dst_sel:DWORD dst_unused:UNUSED_PAD src0_sel:WORD_0 src1_sel:DWORD
	v_mul_u32_u24_sdwa v111, v106, s88 dst_sel:DWORD dst_unused:UNUSED_PAD src0_sel:WORD_1 src1_sel:DWORD
	v_mul_u32_u24_sdwa v127, v107, s88 dst_sel:DWORD dst_unused:UNUSED_PAD src0_sel:WORD_0 src1_sel:DWORD
	v_mul_u32_u24_sdwa v128, v107, s88 dst_sel:DWORD dst_unused:UNUSED_PAD src0_sel:WORD_1 src1_sel:DWORD
	ds_read2_b64 v[104:107], v86 offset0:192 offset1:224
	s_waitcnt lgkmcnt(0)
	s_barrier
	s_load_dword s4, s[70:71], 0x4
	v_pk_fma_f16 v120, v12, v17, v120
	v_pk_fma_f16 v17, v13, v17, v95
	;; [unrolled: 1-line block ×32, first 2 shown]
	v_mul_u32_u24_sdwa v96, v100, s88 dst_sel:DWORD dst_unused:UNUSED_PAD src0_sel:WORD_0 src1_sel:DWORD
	v_mul_u32_u24_sdwa v97, v100, s88 dst_sel:DWORD dst_unused:UNUSED_PAD src0_sel:WORD_1 src1_sel:DWORD
	v_mul_u32_u24_sdwa v98, v101, s88 dst_sel:DWORD dst_unused:UNUSED_PAD src0_sel:WORD_0 src1_sel:DWORD
	v_mul_u32_u24_sdwa v99, v101, s88 dst_sel:DWORD dst_unused:UNUSED_PAD src0_sel:WORD_1 src1_sel:DWORD
	;; [unrolled: 2-line block ×4, first 2 shown]
	v_pk_fma_f16 v14, v8, v87, v16
	v_pk_fma_f16 v15, v9, v87, v17
	;; [unrolled: 1-line block ×16, first 2 shown]
	s_waitcnt lgkmcnt(0)
	s_lshl_b32 s4, s4, 6
	v_pk_fma_f16 v13, v10, v96, v14
	v_pk_fma_f16 v14, v10, v97, v16
	;; [unrolled: 1-line block ×16, first 2 shown]
	s_add_i32 s2, s4, s2
	v_pk_fma_f16 v11, v104, v124, v13
	v_pk_fma_f16 v13, v104, v125, v14
	;; [unrolled: 1-line block ×16, first 2 shown]
	s_cmp_ge_i32 s2, s82
	v_pk_fma_f16 v100, v106, v116, v11
	v_pk_fma_f16 v98, v106, v118, v13
	;; [unrolled: 1-line block ×16, first 2 shown]
	s_cbranch_scc0 .LBB33_9
.LBB33_10:
	v_cmp_lt_i32_e32 vcc, v73, v69
	s_cmp_lg_u64 s[68:69], 0
	s_cselect_b64 s[4:5], -1, 0
	v_cndmask_b32_e32 v8, v48, v73, vcc
	v_lshlrev_b32_e32 v17, 2, v8
	ds_bpermute_b32 v12, v17, v40
	ds_bpermute_b32 v13, v17, v41
	v_cmp_lt_i32_e32 vcc, v74, v69
	ds_bpermute_b32 v8, v17, v42
	ds_bpermute_b32 v9, v17, v43
	v_cndmask_b32_e32 v10, v48, v74, vcc
	v_cmp_lt_i32_e32 vcc, v72, v69
	v_lshlrev_b32_e32 v23, 2, v10
	s_waitcnt lgkmcnt(2)
	v_pk_add_f32 v[12:13], v[40:41], v[12:13]
	v_cndmask_b32_e32 v10, v48, v72, vcc
	v_cmp_lt_i32_e32 vcc, v71, v69
	ds_bpermute_b32 v15, v23, v13
	v_lshlrev_b32_e32 v24, 2, v10
	v_cndmask_b32_e32 v14, v48, v71, vcc
	v_lshlrev_b32_e32 v25, 2, v14
	ds_bpermute_b32 v14, v23, v12
	ds_bpermute_b32 v18, v17, v36
	ds_bpermute_b32 v19, v17, v37
	s_waitcnt lgkmcnt(4)
	v_pk_add_f32 v[8:9], v[42:43], v[8:9]
	v_cmp_lt_i32_e32 vcc, v70, v69
	s_waitcnt lgkmcnt(2)
	v_pk_add_f32 v[12:13], v[12:13], v[14:15]
	ds_bpermute_b32 v14, v24, v12
	ds_bpermute_b32 v15, v24, v13
	s_waitcnt lgkmcnt(2)
	v_pk_add_f32 v[18:19], v[36:37], v[18:19]
	ds_bpermute_b32 v10, v23, v8
	ds_bpermute_b32 v11, v23, v9
	v_cndmask_b32_e32 v16, v48, v70, vcc
	s_waitcnt lgkmcnt(2)
	v_pk_add_f32 v[12:13], v[12:13], v[14:15]
	ds_bpermute_b32 v14, v17, v38
	ds_bpermute_b32 v15, v17, v39
	;; [unrolled: 1-line block ×3, first 2 shown]
	v_lshlrev_b32_e32 v29, 2, v16
	ds_bpermute_b32 v16, v25, v12
	ds_bpermute_b32 v17, v25, v13
	s_waitcnt lgkmcnt(3)
	v_pk_add_f32 v[14:15], v[38:39], v[14:15]
	ds_bpermute_b32 v20, v23, v14
	ds_bpermute_b32 v21, v23, v15
	;; [unrolled: 1-line block ×3, first 2 shown]
	v_pk_add_f32 v[8:9], v[8:9], v[10:11]
	ds_bpermute_b32 v10, v24, v8
	ds_bpermute_b32 v11, v24, v9
	s_waitcnt lgkmcnt(3)
	v_pk_add_f32 v[14:15], v[14:15], v[20:21]
	s_waitcnt lgkmcnt(2)
	v_pk_add_f32 v[18:19], v[18:19], v[22:23]
	v_pk_add_f32 v[12:13], v[12:13], v[16:17]
	ds_bpermute_b32 v16, v24, v14
	ds_bpermute_b32 v17, v24, v15
	;; [unrolled: 1-line block ×4, first 2 shown]
	s_waitcnt lgkmcnt(4)
	v_pk_add_f32 v[8:9], v[8:9], v[10:11]
	ds_bpermute_b32 v10, v25, v8
	s_waitcnt lgkmcnt(3)
	v_pk_add_f32 v[14:15], v[14:15], v[16:17]
	ds_bpermute_b32 v11, v25, v9
	s_waitcnt lgkmcnt(2)
	v_pk_add_f32 v[18:19], v[18:19], v[20:21]
	ds_bpermute_b32 v16, v25, v14
	ds_bpermute_b32 v17, v25, v15
	ds_bpermute_b32 v20, v25, v18
	;; [unrolled: 1-line block ×3, first 2 shown]
	s_waitcnt lgkmcnt(4)
	v_pk_add_f32 v[8:9], v[8:9], v[10:11]
	ds_bpermute_b32 v10, v29, v8
	s_waitcnt lgkmcnt(3)
	v_pk_add_f32 v[14:15], v[14:15], v[16:17]
	ds_bpermute_b32 v11, v29, v9
	;; [unrolled: 3-line block ×3, first 2 shown]
	ds_bpermute_b32 v25, v29, v13
	ds_bpermute_b32 v16, v29, v14
	;; [unrolled: 1-line block ×5, first 2 shown]
	s_cmp_eq_u32 s3, 0
	s_cselect_b64 s[6:7], -1, 0
	s_and_b64 s[4:5], s[6:7], s[4:5]
	s_waitcnt lgkmcnt(6)
	v_pk_add_f32 v[22:23], v[8:9], v[10:11]
	s_waitcnt lgkmcnt(4)
	v_pk_add_f32 v[20:21], v[12:13], v[24:25]
	;; [unrolled: 2-line block ×4, first 2 shown]
	s_and_b64 vcc, exec, s[4:5]
	s_cbranch_vccz .LBB33_12
; %bb.11:
	s_ashr_i32 s81, s80, 31
	s_lshl_b64 s[4:5], s[80:81], 2
	s_add_u32 s4, s68, s4
	s_addc_u32 s5, s69, s5
	v_mov_b32_e32 v8, 0
	global_load_dwordx2 v[24:25], v8, s[4:5]
	v_max_f32_e32 v8, v0, v0
	v_max_f32_e32 v9, v1, v1
	s_mov_b32 s5, 0x3fb8aa3b
	v_max_f32_e32 v10, v2, v2
	s_mov_b32 s2, 0xc2ce8ed0
	s_mov_b32 s4, 0x42b17218
	v_mov_b32_e32 v32, 0x7f800000
	s_waitcnt vmcnt(0)
	v_max_f32_e32 v14, v24, v24
	v_max_f32_e32 v8, v8, v14
	;; [unrolled: 1-line block ×3, first 2 shown]
	v_sub_f32_e32 v0, v0, v8
	v_max_f32_e32 v9, v9, v15
	v_sub_f32_e32 v11, v24, v8
	v_mul_f32_e32 v26, 0x3fb8aa3b, v0
	v_sub_f32_e32 v1, v1, v9
	v_mul_f32_e32 v27, 0x3fb8aa3b, v11
	v_fma_f32 v33, v0, s5, -v26
	v_rndne_f32_e32 v34, v26
	v_max_f32_e32 v10, v10, v14
	v_sub_f32_e32 v12, v25, v9
	v_mul_f32_e32 v28, 0x3fb8aa3b, v1
	v_fma_f32 v35, v11, s5, -v27
	v_rndne_f32_e32 v36, v27
	v_fmac_f32_e32 v33, 0x32a5705f, v0
	v_sub_f32_e32 v26, v26, v34
	v_sub_f32_e32 v2, v2, v10
	v_mul_f32_e32 v29, 0x3fb8aa3b, v12
	v_fma_f32 v37, v1, s5, -v28
	v_rndne_f32_e32 v38, v28
	v_fmac_f32_e32 v35, 0x32a5705f, v11
	v_sub_f32_e32 v27, v27, v36
	v_add_f32_e32 v26, v26, v33
	v_mul_f32_e32 v30, 0x3fb8aa3b, v2
	v_fma_f32 v39, v12, s5, -v29
	v_rndne_f32_e32 v40, v29
	v_cvt_i32_f32_e32 v34, v34
	v_fmac_f32_e32 v37, 0x32a5705f, v1
	v_sub_f32_e32 v28, v28, v38
	v_add_f32_e32 v27, v27, v35
	v_exp_f32_e32 v26, v26
	v_fma_f32 v41, v2, s5, -v30
	v_rndne_f32_e32 v42, v30
	v_cvt_i32_f32_e32 v36, v36
	v_fmac_f32_e32 v39, 0x32a5705f, v12
	v_sub_f32_e32 v29, v29, v40
	v_add_f32_e32 v28, v28, v37
	v_exp_f32_e32 v27, v27
	v_cvt_i32_f32_e32 v38, v38
	v_fmac_f32_e32 v41, 0x32a5705f, v2
	v_sub_f32_e32 v30, v30, v42
	v_add_f32_e32 v29, v29, v39
	v_exp_f32_e32 v28, v28
	v_cvt_i32_f32_e32 v40, v40
	v_add_f32_e32 v30, v30, v41
	v_exp_f32_e32 v29, v29
	v_cvt_i32_f32_e32 v42, v42
	v_exp_f32_e32 v30, v30
	v_ldexp_f32 v26, v26, v34
	v_cmp_ngt_f32_e32 vcc, s2, v0
	v_ldexp_f32 v27, v27, v36
	v_ldexp_f32 v28, v28, v38
	v_cndmask_b32_e32 v26, 0, v26, vcc
	v_cmp_ngt_f32_e32 vcc, s2, v11
	v_sub_f32_e32 v13, v24, v10
	v_ldexp_f32 v29, v29, v40
	v_cndmask_b32_e32 v27, 0, v27, vcc
	v_cmp_ngt_f32_e32 vcc, s2, v1
	v_mul_f32_e32 v31, 0x3fb8aa3b, v13
	v_ldexp_f32 v30, v30, v42
	v_cndmask_b32_e32 v28, 0, v28, vcc
	v_cmp_ngt_f32_e32 vcc, s2, v12
	v_fma_f32 v43, v13, s5, -v31
	v_rndne_f32_e32 v44, v31
	v_cndmask_b32_e32 v29, 0, v29, vcc
	v_cmp_ngt_f32_e32 vcc, s2, v2
	v_fmac_f32_e32 v43, 0x32a5705f, v13
	v_sub_f32_e32 v31, v31, v44
	v_cndmask_b32_e32 v30, 0, v30, vcc
	v_cmp_nlt_f32_e32 vcc, s4, v0
	v_add_f32_e32 v31, v31, v43
	v_cvt_i32_f32_e32 v44, v44
	v_cndmask_b32_e32 v0, v32, v26, vcc
	v_cmp_nlt_f32_e32 vcc, s4, v11
	v_cvt_f16_f32_e32 v11, v0
	v_exp_f32_e32 v31, v31
	v_cndmask_b32_e32 v26, v32, v27, vcc
	v_cmp_nlt_f32_e32 vcc, s4, v1
	v_mul_u32_u24_e32 v11, 0x10001, v11
	v_pk_mul_f16 v100, v100, v11
	v_cndmask_b32_e32 v1, v32, v28, vcc
	v_cvt_f16_f32_e32 v28, v1
	v_cmp_nlt_f32_e32 vcc, s4, v12
	v_pk_mul_f16 v101, v101, v11
	v_ldexp_f32 v11, v31, v44
	v_cndmask_b32_e32 v27, v32, v29, vcc
	v_cmp_nlt_f32_e32 vcc, s4, v2
	v_mul_u32_u24_e32 v12, 0x10001, v28
	v_pk_mul_f16 v98, v98, v12
	v_cndmask_b32_e32 v2, v32, v30, vcc
	v_cmp_ngt_f32_e32 vcc, s2, v13
	v_pk_mul_f16 v99, v99, v12
	v_cvt_f16_f32_e32 v12, v2
	v_cndmask_b32_e32 v11, 0, v11, vcc
	v_cmp_nlt_f32_e32 vcc, s4, v13
	v_pk_fma_f32 v[22:23], v[22:23], v[0:1], v[26:27]
	v_mul_u32_u24_e32 v12, 0x10001, v12
	v_cndmask_b32_e32 v28, v32, v11, vcc
	v_max_f32_e32 v11, v3, v3
	v_max_f32_e32 v11, v11, v15
	v_sub_f32_e32 v3, v3, v11
	v_mul_f32_e32 v13, 0x3fb8aa3b, v3
	v_fma_f32 v29, v3, s5, -v13
	v_rndne_f32_e32 v30, v13
	v_fmac_f32_e32 v29, 0x32a5705f, v3
	v_sub_f32_e32 v13, v13, v30
	v_add_f32_e32 v13, v13, v29
	v_exp_f32_e32 v13, v13
	v_cvt_i32_f32_e32 v29, v30
	v_pk_mul_f16 v96, v96, v12
	v_pk_mul_f16 v97, v97, v12
	v_cmp_ngt_f32_e32 vcc, s2, v3
	v_ldexp_f32 v12, v13, v29
	v_sub_f32_e32 v13, v25, v11
	v_mul_f32_e32 v29, 0x3fb8aa3b, v13
	v_fma_f32 v30, v13, s5, -v29
	v_rndne_f32_e32 v31, v29
	v_fmac_f32_e32 v30, 0x32a5705f, v13
	v_sub_f32_e32 v29, v29, v31
	v_add_f32_e32 v29, v29, v30
	v_exp_f32_e32 v29, v29
	v_cvt_i32_f32_e32 v30, v31
	v_cndmask_b32_e32 v12, 0, v12, vcc
	v_cmp_nlt_f32_e32 vcc, s4, v3
	s_nop 1
	v_cndmask_b32_e32 v3, v32, v12, vcc
	v_ldexp_f32 v12, v29, v30
	v_cmp_ngt_f32_e32 vcc, s2, v13
	s_nop 1
	v_cndmask_b32_e32 v12, 0, v12, vcc
	v_cmp_nlt_f32_e32 vcc, s4, v13
	v_cvt_f16_f32_e32 v13, v3
	v_mul_u32_u24_e32 v13, 0x10001, v13
	v_cndmask_b32_e32 v29, v32, v12, vcc
	v_max_f32_e32 v12, v4, v4
	v_max_f32_e32 v12, v12, v14
	v_sub_f32_e32 v4, v4, v12
	v_mul_f32_e32 v30, 0x3fb8aa3b, v4
	v_fma_f32 v31, v4, s5, -v30
	v_rndne_f32_e32 v33, v30
	v_fmac_f32_e32 v31, 0x32a5705f, v4
	v_sub_f32_e32 v30, v30, v33
	v_add_f32_e32 v30, v30, v31
	v_exp_f32_e32 v30, v30
	v_cvt_i32_f32_e32 v31, v33
	v_pk_mul_f16 v94, v94, v13
	v_pk_mul_f16 v95, v95, v13
	v_cmp_ngt_f32_e32 vcc, s2, v4
	v_ldexp_f32 v13, v30, v31
	v_sub_f32_e32 v30, v24, v12
	v_mul_f32_e32 v31, 0x3fb8aa3b, v30
	v_fma_f32 v33, v30, s5, -v31
	v_rndne_f32_e32 v34, v31
	v_fmac_f32_e32 v33, 0x32a5705f, v30
	v_sub_f32_e32 v31, v31, v34
	v_add_f32_e32 v31, v31, v33
	v_exp_f32_e32 v31, v31
	v_cvt_i32_f32_e32 v33, v34
	v_cndmask_b32_e32 v13, 0, v13, vcc
	v_cmp_nlt_f32_e32 vcc, s4, v4
	v_pk_fma_f32 v[20:21], v[20:21], v[2:3], v[28:29]
	s_nop 0
	v_cndmask_b32_e32 v4, v32, v13, vcc
	v_ldexp_f32 v13, v31, v33
	v_cmp_ngt_f32_e32 vcc, s2, v30
	v_cvt_f16_f32_e32 v31, v4
	v_mul_u32_u24_e32 v31, 0x10001, v31
	v_cndmask_b32_e32 v13, 0, v13, vcc
	v_cmp_nlt_f32_e32 vcc, s4, v30
	v_pk_mul_f16 v92, v92, v31
	v_pk_mul_f16 v93, v93, v31
	v_cndmask_b32_e32 v30, v32, v13, vcc
	v_max_f32_e32 v13, v5, v5
	v_max_f32_e32 v13, v13, v15
	v_sub_f32_e32 v5, v5, v13
	v_mul_f32_e32 v33, 0x3fb8aa3b, v5
	v_fma_f32 v34, v5, s5, -v33
	v_rndne_f32_e32 v35, v33
	v_fmac_f32_e32 v34, 0x32a5705f, v5
	v_sub_f32_e32 v33, v33, v35
	v_add_f32_e32 v33, v33, v34
	v_exp_f32_e32 v33, v33
	v_cvt_i32_f32_e32 v34, v35
	v_cmp_ngt_f32_e32 vcc, s2, v5
	v_ldexp_f32 v31, v33, v34
	v_sub_f32_e32 v33, v25, v13
	v_mul_f32_e32 v34, 0x3fb8aa3b, v33
	v_fma_f32 v35, v33, s5, -v34
	v_rndne_f32_e32 v36, v34
	v_fmac_f32_e32 v35, 0x32a5705f, v33
	v_sub_f32_e32 v34, v34, v36
	v_add_f32_e32 v34, v34, v35
	v_exp_f32_e32 v34, v34
	v_cvt_i32_f32_e32 v35, v36
	v_cndmask_b32_e32 v31, 0, v31, vcc
	v_cmp_nlt_f32_e32 vcc, s4, v5
	s_nop 1
	v_cndmask_b32_e32 v5, v32, v31, vcc
	v_ldexp_f32 v31, v34, v35
	v_max_f32_e32 v34, v6, v6
	v_max_f32_e32 v14, v34, v14
	v_sub_f32_e32 v6, v6, v14
	v_mul_f32_e32 v34, 0x3fb8aa3b, v6
	v_fma_f32 v35, v6, s5, -v34
	v_rndne_f32_e32 v36, v34
	v_cmp_ngt_f32_e32 vcc, s2, v33
	v_fmac_f32_e32 v35, 0x32a5705f, v6
	v_sub_f32_e32 v34, v34, v36
	v_cndmask_b32_e32 v31, 0, v31, vcc
	v_cmp_nlt_f32_e32 vcc, s4, v33
	v_cvt_f16_f32_e32 v33, v5
	v_add_f32_e32 v34, v34, v35
	v_exp_f32_e32 v34, v34
	v_cvt_i32_f32_e32 v35, v36
	v_mul_u32_u24_e32 v33, 0x10001, v33
	v_sub_f32_e32 v24, v24, v14
	v_pk_mul_f16 v90, v90, v33
	v_pk_mul_f16 v91, v91, v33
	v_ldexp_f32 v33, v34, v35
	v_mul_f32_e32 v34, 0x3fb8aa3b, v24
	v_fma_f32 v35, v24, s5, -v34
	v_rndne_f32_e32 v36, v34
	v_fmac_f32_e32 v35, 0x32a5705f, v24
	v_sub_f32_e32 v34, v34, v36
	v_add_f32_e32 v34, v34, v35
	v_exp_f32_e32 v34, v34
	v_cvt_i32_f32_e32 v35, v36
	v_cndmask_b32_e32 v31, v32, v31, vcc
	v_cmp_ngt_f32_e32 vcc, s2, v6
	v_pk_fma_f32 v[18:19], v[18:19], v[4:5], v[30:31]
	s_nop 0
	v_cndmask_b32_e32 v33, 0, v33, vcc
	v_cmp_nlt_f32_e32 vcc, s4, v6
	s_nop 1
	v_cndmask_b32_e32 v6, v32, v33, vcc
	v_ldexp_f32 v33, v34, v35
	v_max_f32_e32 v34, v7, v7
	v_max_f32_e32 v15, v34, v15
	v_sub_f32_e32 v7, v7, v15
	v_mul_f32_e32 v34, 0x3fb8aa3b, v7
	v_cmp_ngt_f32_e32 vcc, s2, v24
	v_fma_f32 v35, v7, s5, -v34
	v_rndne_f32_e32 v36, v34
	v_cndmask_b32_e32 v33, 0, v33, vcc
	v_cmp_nlt_f32_e32 vcc, s4, v24
	v_fmac_f32_e32 v35, 0x32a5705f, v7
	v_sub_f32_e32 v34, v34, v36
	v_cndmask_b32_e32 v24, v32, v33, vcc
	v_cvt_f16_f32_e32 v33, v6
	v_add_f32_e32 v34, v34, v35
	v_exp_f32_e32 v34, v34
	v_cvt_i32_f32_e32 v35, v36
	v_mul_u32_u24_e32 v33, 0x10001, v33
	v_sub_f32_e32 v25, v25, v15
	v_pk_mul_f16 v88, v88, v33
	v_pk_mul_f16 v89, v89, v33
	v_ldexp_f32 v33, v34, v35
	v_mul_f32_e32 v34, 0x3fb8aa3b, v25
	v_fma_f32 v35, v25, s5, -v34
	v_rndne_f32_e32 v36, v34
	v_fmac_f32_e32 v35, 0x32a5705f, v25
	v_sub_f32_e32 v34, v34, v36
	v_add_f32_e32 v34, v34, v35
	v_exp_f32_e32 v34, v34
	v_cvt_i32_f32_e32 v35, v36
	v_cmp_ngt_f32_e32 vcc, s2, v7
	s_nop 1
	v_cndmask_b32_e32 v33, 0, v33, vcc
	v_cmp_nlt_f32_e32 vcc, s4, v7
	s_nop 1
	v_cndmask_b32_e32 v7, v32, v33, vcc
	v_ldexp_f32 v33, v34, v35
	v_cvt_f16_f32_e32 v34, v7
	v_cmp_ngt_f32_e32 vcc, s2, v25
	s_nop 1
	v_cndmask_b32_e32 v33, 0, v33, vcc
	v_cmp_nlt_f32_e32 vcc, s4, v25
	s_nop 1
	v_cndmask_b32_e32 v25, v32, v33, vcc
	v_mul_u32_u24_e32 v32, 0x10001, v34
	v_pk_fma_f32 v[16:17], v[16:17], v[6:7], v[24:25]
	v_mov_b64_e32 v[0:1], v[8:9]
	v_pk_mul_f16 v87, v87, v32
	v_pk_mul_f16 v49, v49, v32
	v_mov_b64_e32 v[2:3], v[10:11]
	v_mov_b64_e32 v[4:5], v[12:13]
	;; [unrolled: 1-line block ×3, first 2 shown]
.LBB33_12:
	v_cmp_gt_i32_e32 vcc, s78, v67
	s_and_saveexec_b64 s[4:5], vcc
	s_cbranch_execz .LBB33_51
; %bb.13:
	s_load_dword s2, s[0:1], 0xd4
	v_mov_b32_e32 v8, 1.0
	s_waitcnt lgkmcnt(0)
	s_cmp_lg_u32 s2, 1
	s_cselect_b64 s[0:1], -1, 0
	s_cmp_eq_u32 s2, 1
	s_cselect_b64 s[6:7], -1, 0
	s_and_b64 vcc, exec, s[0:1]
	s_cbranch_vccnz .LBB33_15
; %bb.14:
	v_div_scale_f32 v8, s[4:5], v22, v22, 1.0
	v_rcp_f32_e32 v9, v8
	v_div_scale_f32 v10, vcc, 1.0, v22, 1.0
	v_fma_f32 v11, -v8, v9, 1.0
	v_fmac_f32_e32 v9, v11, v9
	v_mul_f32_e32 v11, v10, v9
	v_fma_f32 v12, -v8, v11, v10
	v_fmac_f32_e32 v11, v12, v9
	v_fma_f32 v8, -v8, v11, v10
	v_div_fmas_f32 v8, v8, v9, v11
	v_div_fixup_f32 v8, v8, v22, 1.0
.LBB33_15:
	s_mul_i32 s8, s33, s78
	s_add_i32 s8, s8, s83
	v_add_u32_e32 v9, s8, v64
	v_mul_lo_u32 v9, v9, s79
	v_add_u32_e32 v10, s80, v9
	v_cvt_f32_f16_sdwa v15, v100 dst_sel:DWORD dst_unused:UNUSED_PAD src0_sel:WORD_1
	v_cvt_f32_f16_e32 v14, v100
	v_cvt_f32_f16_sdwa v25, v101 dst_sel:DWORD dst_unused:UNUSED_PAD src0_sel:WORD_1
	v_cvt_f32_f16_e32 v24, v101
	v_mul_lo_u32 v10, s2, v10
	v_add_u32_e32 v10, s3, v10
	v_cmp_eq_u32_e32 vcc, 0, v65
	v_lshl_add_u32 v12, v10, 7, v61
	v_mov_b32_e32 v13, 0
	v_lshl_add_u64 v[26:27], v[12:13], 2, s[72:73]
	v_pk_mul_f32 v[12:13], v[8:9], v[14:15] op_sel_hi:[0,1]
	v_pk_mul_f32 v[14:15], v[8:9], v[24:25] op_sel_hi:[0,1]
	s_and_b64 s[4:5], vcc, s[0:1]
	global_store_dwordx4 v[26:27], v[12:15], off
	s_and_saveexec_b64 s[0:1], s[4:5]
	s_cbranch_execz .LBB33_17
; %bb.16:
	v_ashrrev_i32_e32 v11, 31, v10
	v_lshl_add_u64 v[10:11], v[10:11], 3, s[74:75]
	v_mov_b32_e32 v12, v0
	v_mov_b32_e32 v13, v22
	global_store_dwordx2 v[10:11], v[12:13], off
.LBB33_17:
	s_or_b64 exec, exec, s[0:1]
	v_cndmask_b32_e64 v0, 0, 1, s[6:7]
	v_cmp_ne_u32_e64 s[0:1], 1, v0
	s_andn2_b64 vcc, exec, s[6:7]
	v_mov_b32_e32 v0, 1.0
	s_cbranch_vccnz .LBB33_19
; %bb.18:
	v_div_scale_f32 v0, s[6:7], v23, v23, 1.0
	v_rcp_f32_e32 v8, v0
	v_div_scale_f32 v10, vcc, 1.0, v23, 1.0
	v_fma_f32 v11, -v0, v8, 1.0
	v_fmac_f32_e32 v8, v11, v8
	v_mul_f32_e32 v11, v10, v8
	v_fma_f32 v12, -v0, v11, v10
	v_fmac_f32_e32 v11, v12, v8
	v_fma_f32 v0, -v0, v11, v10
	v_div_fmas_f32 v0, v0, v8, v11
	v_div_fixup_f32 v0, v0, v23, 1.0
.LBB33_19:
	s_add_i32 s9, s80, 1
	v_add_u32_e32 v8, s9, v9
	v_cvt_f32_f16_sdwa v13, v98 dst_sel:DWORD dst_unused:UNUSED_PAD src0_sel:WORD_1
	v_cvt_f32_f16_e32 v12, v98
	v_cvt_f32_f16_sdwa v15, v99 dst_sel:DWORD dst_unused:UNUSED_PAD src0_sel:WORD_1
	v_cvt_f32_f16_e32 v14, v99
	v_mul_lo_u32 v8, s2, v8
	v_add_u32_e32 v8, s3, v8
	v_lshl_add_u32 v10, v8, 7, v61
	v_mov_b32_e32 v11, 0
	v_lshl_add_u64 v[24:25], v[10:11], 2, s[72:73]
	v_pk_mul_f32 v[10:11], v[0:1], v[12:13] op_sel_hi:[0,1]
	v_pk_mul_f32 v[12:13], v[0:1], v[14:15] op_sel_hi:[0,1]
	global_store_dwordx4 v[24:25], v[10:13], off
	s_and_saveexec_b64 s[6:7], s[4:5]
	s_cbranch_execz .LBB33_21
; %bb.20:
	v_ashrrev_i32_e32 v9, 31, v8
	v_lshl_add_u64 v[8:9], v[8:9], 3, s[74:75]
	v_mov_b32_e32 v22, v1
	global_store_dwordx2 v[8:9], v[22:23], off
.LBB33_21:
	s_or_b64 exec, exec, s[6:7]
	v_cmp_gt_i32_e32 vcc, s78, v66
	s_and_b64 exec, exec, vcc
	s_cbranch_execz .LBB33_51
; %bb.22:
	s_and_b64 vcc, exec, s[0:1]
	v_mov_b32_e32 v8, 1.0
	s_cbranch_vccnz .LBB33_24
; %bb.23:
	v_div_scale_f32 v0, s[6:7], v20, v20, 1.0
	v_rcp_f32_e32 v1, v0
	v_div_scale_f32 v8, vcc, 1.0, v20, 1.0
	v_fma_f32 v9, -v0, v1, 1.0
	v_fmac_f32_e32 v1, v9, v1
	v_mul_f32_e32 v9, v8, v1
	v_fma_f32 v10, -v0, v9, v8
	v_fmac_f32_e32 v9, v10, v1
	v_fma_f32 v0, -v0, v9, v8
	v_div_fmas_f32 v0, v0, v1, v9
	v_div_fixup_f32 v8, v0, v20, 1.0
.LBB33_24:
	v_add_u32_e32 v0, s8, v63
	v_mul_lo_u32 v0, v0, s79
	v_add_u32_e32 v0, s80, v0
	v_cvt_f32_f16_sdwa v13, v96 dst_sel:DWORD dst_unused:UNUSED_PAD src0_sel:WORD_1
	v_cvt_f32_f16_e32 v12, v96
	v_cvt_f32_f16_sdwa v15, v97 dst_sel:DWORD dst_unused:UNUSED_PAD src0_sel:WORD_1
	v_cvt_f32_f16_e32 v14, v97
	v_mul_lo_u32 v0, s2, v0
	v_add_u32_e32 v0, s3, v0
	v_lshl_add_u32 v10, v0, 7, v61
	v_mov_b32_e32 v11, 0
	v_lshl_add_u64 v[22:23], v[10:11], 2, s[72:73]
	v_pk_mul_f32 v[10:11], v[8:9], v[12:13] op_sel_hi:[0,1]
	v_pk_mul_f32 v[12:13], v[8:9], v[14:15] op_sel_hi:[0,1]
	global_store_dwordx4 v[22:23], v[10:13], off
	s_and_saveexec_b64 s[6:7], s[4:5]
	s_cbranch_execz .LBB33_26
; %bb.25:
	v_ashrrev_i32_e32 v1, 31, v0
	v_lshl_add_u64 v[0:1], v[0:1], 3, s[74:75]
	v_mov_b32_e32 v8, v2
	v_mov_b32_e32 v9, v20
	global_store_dwordx2 v[0:1], v[8:9], off
.LBB33_26:
	s_or_b64 exec, exec, s[6:7]
	v_cmp_gt_i32_e32 vcc, s78, v62
	s_and_b64 exec, exec, vcc
	s_cbranch_execz .LBB33_51
; %bb.27:
	s_and_b64 vcc, exec, s[0:1]
	v_mov_b32_e32 v2, 1.0
	s_cbranch_vccnz .LBB33_29
; %bb.28:
	v_div_scale_f32 v0, s[6:7], v21, v21, 1.0
	v_rcp_f32_e32 v1, v0
	v_div_scale_f32 v2, vcc, 1.0, v21, 1.0
	v_fma_f32 v8, -v0, v1, 1.0
	v_fmac_f32_e32 v1, v8, v1
	v_mul_f32_e32 v8, v2, v1
	v_fma_f32 v9, -v0, v8, v2
	v_fmac_f32_e32 v8, v9, v1
	v_fma_f32 v0, -v0, v8, v2
	v_div_fmas_f32 v0, v0, v1, v8
	v_div_fixup_f32 v2, v0, v21, 1.0
.LBB33_29:
	v_add_u32_e32 v0, s8, v60
	v_mul_lo_u32 v0, v0, s79
	v_add_u32_e32 v0, s9, v0
	v_cvt_f32_f16_sdwa v11, v94 dst_sel:DWORD dst_unused:UNUSED_PAD src0_sel:WORD_1
	v_cvt_f32_f16_e32 v10, v94
	v_cvt_f32_f16_sdwa v13, v95 dst_sel:DWORD dst_unused:UNUSED_PAD src0_sel:WORD_1
	v_cvt_f32_f16_e32 v12, v95
	v_mul_lo_u32 v0, s2, v0
	v_add_u32_e32 v0, s3, v0
	v_lshl_add_u32 v8, v0, 7, v61
	v_mov_b32_e32 v9, 0
	v_lshl_add_u64 v[14:15], v[8:9], 2, s[72:73]
	v_pk_mul_f32 v[8:9], v[2:3], v[10:11] op_sel_hi:[0,1]
	v_pk_mul_f32 v[10:11], v[2:3], v[12:13] op_sel_hi:[0,1]
	global_store_dwordx4 v[14:15], v[8:11], off
	s_and_saveexec_b64 s[6:7], s[4:5]
	s_cbranch_execz .LBB33_31
; %bb.30:
	v_ashrrev_i32_e32 v1, 31, v0
	v_lshl_add_u64 v[0:1], v[0:1], 3, s[74:75]
	v_mov_b32_e32 v20, v3
	global_store_dwordx2 v[0:1], v[20:21], off
.LBB33_31:
	s_or_b64 exec, exec, s[6:7]
	v_cmp_gt_i32_e32 vcc, s78, v59
	s_and_b64 exec, exec, vcc
	s_cbranch_execz .LBB33_51
; %bb.32:
	s_and_b64 vcc, exec, s[0:1]
	v_mov_b32_e32 v2, 1.0
	s_cbranch_vccnz .LBB33_34
; %bb.33:
	v_div_scale_f32 v0, s[6:7], v18, v18, 1.0
	v_rcp_f32_e32 v1, v0
	v_div_scale_f32 v2, vcc, 1.0, v18, 1.0
	v_fma_f32 v3, -v0, v1, 1.0
	v_fmac_f32_e32 v1, v3, v1
	v_mul_f32_e32 v3, v2, v1
	v_fma_f32 v8, -v0, v3, v2
	v_fmac_f32_e32 v3, v8, v1
	v_fma_f32 v0, -v0, v3, v2
	v_div_fmas_f32 v0, v0, v1, v3
	v_div_fixup_f32 v2, v0, v18, 1.0
.LBB33_34:
	v_add_u32_e32 v0, s8, v57
	v_mul_lo_u32 v0, v0, s79
	v_add_u32_e32 v0, s80, v0
	v_cvt_f32_f16_sdwa v11, v92 dst_sel:DWORD dst_unused:UNUSED_PAD src0_sel:WORD_1
	v_cvt_f32_f16_e32 v10, v92
	v_cvt_f32_f16_sdwa v13, v93 dst_sel:DWORD dst_unused:UNUSED_PAD src0_sel:WORD_1
	v_cvt_f32_f16_e32 v12, v93
	v_mul_lo_u32 v0, s2, v0
	v_add_u32_e32 v0, s3, v0
	v_lshl_add_u32 v8, v0, 7, v61
	v_mov_b32_e32 v9, 0
	v_lshl_add_u64 v[14:15], v[8:9], 2, s[72:73]
	v_pk_mul_f32 v[8:9], v[2:3], v[10:11] op_sel_hi:[0,1]
	v_pk_mul_f32 v[10:11], v[2:3], v[12:13] op_sel_hi:[0,1]
	global_store_dwordx4 v[14:15], v[8:11], off
	s_and_saveexec_b64 s[6:7], s[4:5]
	s_cbranch_execz .LBB33_36
; %bb.35:
	v_ashrrev_i32_e32 v1, 31, v0
	v_lshl_add_u64 v[0:1], v[0:1], 3, s[74:75]
	v_mov_b32_e32 v2, v4
	v_mov_b32_e32 v3, v18
	global_store_dwordx2 v[0:1], v[2:3], off
.LBB33_36:
	s_or_b64 exec, exec, s[6:7]
	v_cmp_gt_i32_e32 vcc, s78, v58
	s_and_b64 exec, exec, vcc
	s_cbranch_execz .LBB33_51
; %bb.37:
	s_and_b64 vcc, exec, s[0:1]
	v_mov_b32_e32 v2, 1.0
	s_cbranch_vccnz .LBB33_39
; %bb.38:
	v_div_scale_f32 v0, s[6:7], v19, v19, 1.0
	v_rcp_f32_e32 v1, v0
	v_div_scale_f32 v2, vcc, 1.0, v19, 1.0
	v_fma_f32 v3, -v0, v1, 1.0
	v_fmac_f32_e32 v1, v3, v1
	v_mul_f32_e32 v3, v2, v1
	v_fma_f32 v4, -v0, v3, v2
	v_fmac_f32_e32 v3, v4, v1
	v_fma_f32 v0, -v0, v3, v2
	v_div_fmas_f32 v0, v0, v1, v3
	v_div_fixup_f32 v2, v0, v19, 1.0
.LBB33_39:
	v_add_u32_e32 v0, s8, v56
	v_mul_lo_u32 v0, v0, s79
	v_add_u32_e32 v0, s9, v0
	v_cvt_f32_f16_sdwa v11, v90 dst_sel:DWORD dst_unused:UNUSED_PAD src0_sel:WORD_1
	v_cvt_f32_f16_e32 v10, v90
	v_cvt_f32_f16_sdwa v13, v91 dst_sel:DWORD dst_unused:UNUSED_PAD src0_sel:WORD_1
	v_cvt_f32_f16_e32 v12, v91
	v_mul_lo_u32 v0, s2, v0
	v_add_u32_e32 v0, s3, v0
	v_lshl_add_u32 v8, v0, 7, v61
	v_mov_b32_e32 v9, 0
	v_lshl_add_u64 v[14:15], v[8:9], 2, s[72:73]
	v_pk_mul_f32 v[8:9], v[2:3], v[10:11] op_sel_hi:[0,1]
	v_pk_mul_f32 v[10:11], v[2:3], v[12:13] op_sel_hi:[0,1]
	global_store_dwordx4 v[14:15], v[8:11], off
	s_and_saveexec_b64 s[6:7], s[4:5]
	s_cbranch_execz .LBB33_41
; %bb.40:
	v_ashrrev_i32_e32 v1, 31, v0
	v_lshl_add_u64 v[0:1], v[0:1], 3, s[74:75]
	v_mov_b32_e32 v18, v5
	global_store_dwordx2 v[0:1], v[18:19], off
.LBB33_41:
	s_or_b64 exec, exec, s[6:7]
	v_cmp_gt_i32_e32 vcc, s78, v55
	s_and_b64 exec, exec, vcc
	s_cbranch_execz .LBB33_51
; %bb.42:
	s_and_b64 vcc, exec, s[0:1]
	v_mov_b32_e32 v2, 1.0
	s_cbranch_vccnz .LBB33_44
; %bb.43:
	v_div_scale_f32 v0, s[6:7], v16, v16, 1.0
	v_rcp_f32_e32 v1, v0
	v_div_scale_f32 v2, vcc, 1.0, v16, 1.0
	v_fma_f32 v3, -v0, v1, 1.0
	v_fmac_f32_e32 v1, v3, v1
	v_mul_f32_e32 v3, v2, v1
	v_fma_f32 v4, -v0, v3, v2
	v_fmac_f32_e32 v3, v4, v1
	v_fma_f32 v0, -v0, v3, v2
	v_div_fmas_f32 v0, v0, v1, v3
	v_div_fixup_f32 v2, v0, v16, 1.0
.LBB33_44:
	v_add_u32_e32 v0, s8, v54
	v_mul_lo_u32 v0, v0, s79
	v_add_u32_e32 v0, s80, v0
	v_cvt_f32_f16_sdwa v9, v88 dst_sel:DWORD dst_unused:UNUSED_PAD src0_sel:WORD_1
	v_cvt_f32_f16_e32 v8, v88
	v_cvt_f32_f16_sdwa v11, v89 dst_sel:DWORD dst_unused:UNUSED_PAD src0_sel:WORD_1
	v_cvt_f32_f16_e32 v10, v89
	v_mul_lo_u32 v0, s2, v0
	v_add_u32_e32 v0, s3, v0
	v_lshl_add_u32 v4, v0, 7, v61
	v_mov_b32_e32 v5, 0
	v_lshl_add_u64 v[4:5], v[4:5], 2, s[72:73]
	v_pk_mul_f32 v[8:9], v[2:3], v[8:9] op_sel_hi:[0,1]
	v_pk_mul_f32 v[10:11], v[2:3], v[10:11] op_sel_hi:[0,1]
	global_store_dwordx4 v[4:5], v[8:11], off
	s_and_saveexec_b64 s[6:7], s[4:5]
	s_cbranch_execz .LBB33_46
; %bb.45:
	v_ashrrev_i32_e32 v1, 31, v0
	v_lshl_add_u64 v[0:1], v[0:1], 3, s[74:75]
	v_mov_b32_e32 v2, v6
	v_mov_b32_e32 v3, v16
	global_store_dwordx2 v[0:1], v[2:3], off
.LBB33_46:
	s_or_b64 exec, exec, s[6:7]
	v_cmp_gt_i32_e32 vcc, s78, v53
	s_and_b64 exec, exec, vcc
	s_cbranch_execz .LBB33_51
; %bb.47:
	s_and_b64 vcc, exec, s[0:1]
	v_mov_b32_e32 v2, 1.0
	s_cbranch_vccnz .LBB33_49
; %bb.48:
	v_div_scale_f32 v0, s[0:1], v17, v17, 1.0
	v_rcp_f32_e32 v1, v0
	v_div_scale_f32 v2, vcc, 1.0, v17, 1.0
	v_fma_f32 v3, -v0, v1, 1.0
	v_fmac_f32_e32 v1, v3, v1
	v_mul_f32_e32 v3, v2, v1
	v_fma_f32 v4, -v0, v3, v2
	v_fmac_f32_e32 v3, v4, v1
	v_fma_f32 v0, -v0, v3, v2
	v_div_fmas_f32 v0, v0, v1, v3
	v_div_fixup_f32 v2, v0, v17, 1.0
.LBB33_49:
	v_add_u32_e32 v0, s8, v52
	v_mul_lo_u32 v0, v0, s79
	v_add_u32_e32 v0, s9, v0
	v_cvt_f32_f16_sdwa v9, v87 dst_sel:DWORD dst_unused:UNUSED_PAD src0_sel:WORD_1
	v_cvt_f32_f16_e32 v8, v87
	v_cvt_f32_f16_sdwa v11, v49 dst_sel:DWORD dst_unused:UNUSED_PAD src0_sel:WORD_1
	v_cvt_f32_f16_e32 v10, v49
	v_mul_lo_u32 v0, s2, v0
	v_add_u32_e32 v0, s3, v0
	v_lshl_add_u32 v4, v0, 7, v61
	v_mov_b32_e32 v5, 0
	v_lshl_add_u64 v[4:5], v[4:5], 2, s[72:73]
	v_pk_mul_f32 v[8:9], v[2:3], v[8:9] op_sel_hi:[0,1]
	v_pk_mul_f32 v[10:11], v[2:3], v[10:11] op_sel_hi:[0,1]
	global_store_dwordx4 v[4:5], v[8:11], off
	s_and_b64 exec, exec, s[4:5]
	s_cbranch_execz .LBB33_51
; %bb.50:
	v_ashrrev_i32_e32 v1, 31, v0
	v_lshl_add_u64 v[0:1], v[0:1], 3, s[74:75]
	v_mov_b32_e32 v16, v7
	global_store_dwordx2 v[0:1], v[16:17], off
.LBB33_51:
	s_endpgm
	.section	.rodata,"a",@progbits
	.p2align	6, 0x0
	.amdhsa_kernel _ZL15flash_attn_tileILi128ELi128ELi32ELi2ELb0EEvPKcS1_S1_S1_S1_PKiPfP15HIP_vector_typeIfLj2EEffffjfiS5_IjLj3EEiiiiiiiiiiiliiliiiiil
		.amdhsa_group_segment_fixed_size 29696
		.amdhsa_private_segment_fixed_size 0
		.amdhsa_kernarg_size 464
		.amdhsa_user_sgpr_count 2
		.amdhsa_user_sgpr_dispatch_ptr 0
		.amdhsa_user_sgpr_queue_ptr 0
		.amdhsa_user_sgpr_kernarg_segment_ptr 1
		.amdhsa_user_sgpr_dispatch_id 0
		.amdhsa_user_sgpr_kernarg_preload_length 0
		.amdhsa_user_sgpr_kernarg_preload_offset 0
		.amdhsa_user_sgpr_private_segment_size 0
		.amdhsa_uses_dynamic_stack 0
		.amdhsa_enable_private_segment 0
		.amdhsa_system_sgpr_workgroup_id_x 1
		.amdhsa_system_sgpr_workgroup_id_y 1
		.amdhsa_system_sgpr_workgroup_id_z 1
		.amdhsa_system_sgpr_workgroup_info 0
		.amdhsa_system_vgpr_workitem_id 1
		.amdhsa_next_free_vgpr 164
		.amdhsa_next_free_sgpr 96
		.amdhsa_accum_offset 164
		.amdhsa_reserve_vcc 1
		.amdhsa_float_round_mode_32 0
		.amdhsa_float_round_mode_16_64 0
		.amdhsa_float_denorm_mode_32 3
		.amdhsa_float_denorm_mode_16_64 3
		.amdhsa_dx10_clamp 1
		.amdhsa_ieee_mode 1
		.amdhsa_fp16_overflow 0
		.amdhsa_tg_split 0
		.amdhsa_exception_fp_ieee_invalid_op 0
		.amdhsa_exception_fp_denorm_src 0
		.amdhsa_exception_fp_ieee_div_zero 0
		.amdhsa_exception_fp_ieee_overflow 0
		.amdhsa_exception_fp_ieee_underflow 0
		.amdhsa_exception_fp_ieee_inexact 0
		.amdhsa_exception_int_div_zero 0
	.end_amdhsa_kernel
	.section	.text._ZL15flash_attn_tileILi128ELi128ELi32ELi2ELb0EEvPKcS1_S1_S1_S1_PKiPfP15HIP_vector_typeIfLj2EEffffjfiS5_IjLj3EEiiiiiiiiiiiliiliiiiil,"axG",@progbits,_ZL15flash_attn_tileILi128ELi128ELi32ELi2ELb0EEvPKcS1_S1_S1_S1_PKiPfP15HIP_vector_typeIfLj2EEffffjfiS5_IjLj3EEiiiiiiiiiiiliiliiiiil,comdat
.Lfunc_end33:
	.size	_ZL15flash_attn_tileILi128ELi128ELi32ELi2ELb0EEvPKcS1_S1_S1_S1_PKiPfP15HIP_vector_typeIfLj2EEffffjfiS5_IjLj3EEiiiiiiiiiiiliiliiiiil, .Lfunc_end33-_ZL15flash_attn_tileILi128ELi128ELi32ELi2ELb0EEvPKcS1_S1_S1_S1_PKiPfP15HIP_vector_typeIfLj2EEffffjfiS5_IjLj3EEiiiiiiiiiiiliiliiiiil
                                        ; -- End function
	.set _ZL15flash_attn_tileILi128ELi128ELi32ELi2ELb0EEvPKcS1_S1_S1_S1_PKiPfP15HIP_vector_typeIfLj2EEffffjfiS5_IjLj3EEiiiiiiiiiiiliiliiiiil.num_vgpr, 164
	.set _ZL15flash_attn_tileILi128ELi128ELi32ELi2ELb0EEvPKcS1_S1_S1_S1_PKiPfP15HIP_vector_typeIfLj2EEffffjfiS5_IjLj3EEiiiiiiiiiiiliiliiiiil.num_agpr, 0
	.set _ZL15flash_attn_tileILi128ELi128ELi32ELi2ELb0EEvPKcS1_S1_S1_S1_PKiPfP15HIP_vector_typeIfLj2EEffffjfiS5_IjLj3EEiiiiiiiiiiiliiliiiiil.numbered_sgpr, 89
	.set _ZL15flash_attn_tileILi128ELi128ELi32ELi2ELb0EEvPKcS1_S1_S1_S1_PKiPfP15HIP_vector_typeIfLj2EEffffjfiS5_IjLj3EEiiiiiiiiiiiliiliiiiil.num_named_barrier, 0
	.set _ZL15flash_attn_tileILi128ELi128ELi32ELi2ELb0EEvPKcS1_S1_S1_S1_PKiPfP15HIP_vector_typeIfLj2EEffffjfiS5_IjLj3EEiiiiiiiiiiiliiliiiiil.private_seg_size, 0
	.set _ZL15flash_attn_tileILi128ELi128ELi32ELi2ELb0EEvPKcS1_S1_S1_S1_PKiPfP15HIP_vector_typeIfLj2EEffffjfiS5_IjLj3EEiiiiiiiiiiiliiliiiiil.uses_vcc, 1
	.set _ZL15flash_attn_tileILi128ELi128ELi32ELi2ELb0EEvPKcS1_S1_S1_S1_PKiPfP15HIP_vector_typeIfLj2EEffffjfiS5_IjLj3EEiiiiiiiiiiiliiliiiiil.uses_flat_scratch, 0
	.set _ZL15flash_attn_tileILi128ELi128ELi32ELi2ELb0EEvPKcS1_S1_S1_S1_PKiPfP15HIP_vector_typeIfLj2EEffffjfiS5_IjLj3EEiiiiiiiiiiiliiliiiiil.has_dyn_sized_stack, 0
	.set _ZL15flash_attn_tileILi128ELi128ELi32ELi2ELb0EEvPKcS1_S1_S1_S1_PKiPfP15HIP_vector_typeIfLj2EEffffjfiS5_IjLj3EEiiiiiiiiiiiliiliiiiil.has_recursion, 0
	.set _ZL15flash_attn_tileILi128ELi128ELi32ELi2ELb0EEvPKcS1_S1_S1_S1_PKiPfP15HIP_vector_typeIfLj2EEffffjfiS5_IjLj3EEiiiiiiiiiiiliiliiiiil.has_indirect_call, 0
	.section	.AMDGPU.csdata,"",@progbits
; Kernel info:
; codeLenInByte = 45968
; TotalNumSgprs: 95
; NumVgprs: 164
; NumAgprs: 0
; TotalNumVgprs: 164
; ScratchSize: 0
; MemoryBound: 0
; FloatMode: 240
; IeeeMode: 1
; LDSByteSize: 29696 bytes/workgroup (compile time only)
; SGPRBlocks: 12
; VGPRBlocks: 20
; NumSGPRsForWavesPerEU: 102
; NumVGPRsForWavesPerEU: 164
; AccumOffset: 164
; Occupancy: 3
; WaveLimiterHint : 1
; COMPUTE_PGM_RSRC2:SCRATCH_EN: 0
; COMPUTE_PGM_RSRC2:USER_SGPR: 2
; COMPUTE_PGM_RSRC2:TRAP_HANDLER: 0
; COMPUTE_PGM_RSRC2:TGID_X_EN: 1
; COMPUTE_PGM_RSRC2:TGID_Y_EN: 1
; COMPUTE_PGM_RSRC2:TGID_Z_EN: 1
; COMPUTE_PGM_RSRC2:TIDIG_COMP_CNT: 1
; COMPUTE_PGM_RSRC3_GFX90A:ACCUM_OFFSET: 40
; COMPUTE_PGM_RSRC3_GFX90A:TG_SPLIT: 0
	.section	.text._ZL25flash_attn_mask_to_KV_maxILi32EEvPK7__half2Piiii,"axG",@progbits,_ZL25flash_attn_mask_to_KV_maxILi32EEvPK7__half2Piiii,comdat
	.globl	_ZL25flash_attn_mask_to_KV_maxILi32EEvPK7__half2Piiii ; -- Begin function _ZL25flash_attn_mask_to_KV_maxILi32EEvPK7__half2Piiii
	.p2align	8
	.type	_ZL25flash_attn_mask_to_KV_maxILi32EEvPK7__half2Piiii,@function
_ZL25flash_attn_mask_to_KV_maxILi32EEvPK7__half2Piiii: ; @_ZL25flash_attn_mask_to_KV_maxILi32EEvPK7__half2Piiii
; %bb.0:
	s_load_dwordx4 s[4:7], s[0:1], 0x0
	v_cmp_gt_u32_e32 vcc, 32, v0
	s_and_saveexec_b64 s[8:9], vcc
; %bb.1:
	v_lshlrev_b32_e32 v1, 2, v0
	v_mov_b32_e32 v2, 1
	ds_write_b32 v1, v2
; %bb.2:
	s_or_b64 exec, exec, s[8:9]
	s_load_dwordx4 s[8:11], s[0:1], 0x10
	s_load_dword s33, s[0:1], 0x20
	v_and_b32_e32 v2, 31, v0
	v_lshlrev_b32_e32 v6, 2, v2
	v_lshrrev_b32_e32 v1, 3, v0
	s_waitcnt lgkmcnt(0)
	s_mul_i32 s1, s2, s9
	s_mul_i32 s0, s10, s3
	s_lshl_b32 s1, s1, 5
	s_add_i32 s0, s0, s1
	s_ashr_i32 s1, s0, 31
	s_lshl_b64 s[0:1], s[0:1], 2
	s_add_u32 s10, s4, s0
	s_addc_u32 s11, s5, s1
	v_cmp_eq_u32_e64 s[0:1], 0, v2
	v_mbcnt_lo_u32_b32 v2, -1, 0
	s_lshl_b32 s8, s8, 8
	s_mov_b64 s[12:13], 0
	v_mov_b32_e32 v3, 0
	s_movk_i32 s98, 0x204
	v_mbcnt_hi_u32_b32 v7, -1, v2
	s_barrier
                                        ; implicit-def: $sgpr4_sgpr5
	s_branch .LBB34_5
.LBB34_3:                               ;   in Loop: Header=BB34_5 Depth=1
	s_or_b64 exec, exec, s[14:15]
	s_waitcnt lgkmcnt(0)
	s_barrier
	ds_read_b32 v10, v6
	s_waitcnt lgkmcnt(0)
	s_barrier
	ds_bpermute_b32 v2, v2, v10
	v_cmp_ne_u32_e32 vcc, 0, v10
	s_waitcnt lgkmcnt(0)
	v_cmp_ne_u32_e64 s[4:5], 0, v2
	s_and_b64 s[4:5], vcc, s[4:5]
	s_nop 0
	v_cndmask_b32_e64 v2, 0, 1, s[4:5]
	ds_bpermute_b32 v2, v4, v2
	s_waitcnt lgkmcnt(0)
	v_cmp_ne_u32_e32 vcc, 0, v2
	s_and_b64 s[4:5], vcc, s[4:5]
	v_cndmask_b32_e64 v2, 0, 1, s[4:5]
	ds_bpermute_b32 v2, v5, v2
	s_waitcnt lgkmcnt(0)
	v_cmp_ne_u32_e32 vcc, 0, v2
	s_and_b64 s[4:5], vcc, s[4:5]
	;; [unrolled: 5-line block ×3, first 2 shown]
	v_cndmask_b32_e64 v2, 0, 1, s[4:5]
	ds_bpermute_b32 v2, v9, v2
	s_xor_b64 s[4:5], s[4:5], -1
	s_waitcnt lgkmcnt(0)
	v_cmp_eq_u32_e32 vcc, 0, v2
	s_or_b64 s[4:5], vcc, s[4:5]
.LBB34_4:                               ;   in Loop: Header=BB34_5 Depth=1
	s_and_b64 s[14:15], exec, s[4:5]
	s_or_b64 s[12:13], s[14:15], s[12:13]
	v_mov_b32_e32 v2, s8
	s_mov_b32 s8, s99
	s_andn2_b64 exec, exec, s[12:13]
	s_cbranch_execz .LBB34_132
.LBB34_5:                               ; =>This Inner Loop Header: Depth=1
	s_add_i32 s99, s8, 0xffffff00
	s_or_b64 s[4:5], s[4:5], exec
	s_cmp_lt_i32 s99, 0
	s_cbranch_scc1 .LBB34_4
; %bb.6:                                ;   in Loop: Header=BB34_5 Depth=1
	s_lshr_b32 s4, s99, 1
	v_add_u32_e32 v2, s4, v0
	v_lshl_add_u64 v[4:5], v[2:3], 2, s[10:11]
	global_load_dword v4, v[4:5], off
	v_mov_b32_e32 v5, 0
	s_waitcnt vmcnt(0)
	v_cmp_class_f16_e64 s[4:5], v4, s98
	v_cmp_class_f16_sdwa s[14:15], v4, s98 src0_sel:WORD_1 src1_sel:DWORD
	s_and_b64 s[14:15], s[4:5], s[14:15]
	s_and_saveexec_b64 s[4:5], s[14:15]
	s_cbranch_execz .LBB34_130
; %bb.7:                                ;   in Loop: Header=BB34_5 Depth=1
	v_add_u32_e32 v4, s9, v2
	v_ashrrev_i32_e32 v5, 31, v4
	v_lshl_add_u64 v[8:9], v[4:5], 2, s[10:11]
	global_load_dword v2, v[8:9], off
	v_mov_b32_e32 v5, 0
	s_waitcnt vmcnt(0)
	v_cmp_class_f16_e64 s[16:17], v2, s98
	s_and_saveexec_b64 s[14:15], s[16:17]
	s_cbranch_execz .LBB34_129
; %bb.8:                                ;   in Loop: Header=BB34_5 Depth=1
	v_cmp_class_f16_sdwa s[18:19], v2, s98 src0_sel:WORD_1 src1_sel:DWORD
	v_mov_b32_e32 v5, 0
	s_and_saveexec_b64 s[16:17], s[18:19]
	s_cbranch_execz .LBB34_128
; %bb.9:                                ;   in Loop: Header=BB34_5 Depth=1
	v_add_u32_e32 v4, s9, v4
	v_ashrrev_i32_e32 v5, 31, v4
	v_lshl_add_u64 v[8:9], v[4:5], 2, s[10:11]
	global_load_dword v2, v[8:9], off
	v_mov_b32_e32 v5, 0
	s_waitcnt vmcnt(0)
	v_cmp_class_f16_e64 s[20:21], v2, s98
	s_and_saveexec_b64 s[18:19], s[20:21]
	s_cbranch_execz .LBB34_127
; %bb.10:                               ;   in Loop: Header=BB34_5 Depth=1
	v_cmp_class_f16_sdwa s[22:23], v2, s98 src0_sel:WORD_1 src1_sel:DWORD
	v_mov_b32_e32 v5, 0
	s_and_saveexec_b64 s[20:21], s[22:23]
	s_cbranch_execz .LBB34_126
; %bb.11:                               ;   in Loop: Header=BB34_5 Depth=1
	v_add_u32_e32 v4, s9, v4
	v_ashrrev_i32_e32 v5, 31, v4
	v_lshl_add_u64 v[8:9], v[4:5], 2, s[10:11]
	global_load_dword v2, v[8:9], off
	v_mov_b32_e32 v5, 0
	s_waitcnt vmcnt(0)
	v_cmp_class_f16_e64 s[24:25], v2, s98
	s_and_saveexec_b64 s[22:23], s[24:25]
	s_cbranch_execz .LBB34_125
; %bb.12:                               ;   in Loop: Header=BB34_5 Depth=1
	v_cmp_class_f16_sdwa s[26:27], v2, s98 src0_sel:WORD_1 src1_sel:DWORD
	v_mov_b32_e32 v5, 0
	s_and_saveexec_b64 s[24:25], s[26:27]
	s_cbranch_execz .LBB34_124
; %bb.13:                               ;   in Loop: Header=BB34_5 Depth=1
	;; [unrolled: 15-line block ×19, first 2 shown]
	v_add_u32_e32 v4, s9, v4
	v_ashrrev_i32_e32 v5, 31, v4
	v_lshl_add_u64 v[8:9], v[4:5], 2, s[10:11]
	global_load_dword v2, v[8:9], off
	v_mov_b32_e32 v5, 0
	s_waitcnt vmcnt(0)
	v_cmp_class_f16_e64 vcc, v2, s98
	s_mov_b64 s[96:97], exec
                                        ; implicit-def: $vgpr12 : SGPR spill to VGPR lane
	v_writelane_b32 v12, s96, 0
	s_and_b64 vcc, s[96:97], vcc
	s_nop 0
	v_writelane_b32 v12, s97, 1
	s_mov_b64 exec, vcc
	s_cbranch_execz .LBB34_89
; %bb.48:                               ;   in Loop: Header=BB34_5 Depth=1
	v_mov_b32_e32 v5, 0
	v_cmp_class_f16_sdwa s[96:97], v2, s98 src0_sel:WORD_1 src1_sel:DWORD
	s_mov_b64 vcc, exec
	s_nop 0
	v_writelane_b32 v12, vcc_lo, 2
	s_and_b64 s[96:97], vcc, s[96:97]
	s_nop 0
	v_writelane_b32 v12, vcc_hi, 3
	s_mov_b64 exec, s[96:97]
	s_cbranch_execz .LBB34_88
; %bb.49:                               ;   in Loop: Header=BB34_5 Depth=1
	v_add_u32_e32 v4, s9, v4
	v_ashrrev_i32_e32 v5, 31, v4
	v_lshl_add_u64 v[8:9], v[4:5], 2, s[10:11]
	global_load_dword v2, v[8:9], off
	v_mov_b32_e32 v5, 0
	s_waitcnt vmcnt(0)
	v_cmp_class_f16_e64 s[96:97], v2, s98
	s_mov_b64 vcc, exec
	v_writelane_b32 v12, vcc_lo, 4
	s_and_b64 s[96:97], vcc, s[96:97]
	s_nop 0
	v_writelane_b32 v12, vcc_hi, 5
	s_mov_b64 exec, s[96:97]
	s_cbranch_execz .LBB34_87
; %bb.50:                               ;   in Loop: Header=BB34_5 Depth=1
	v_mov_b32_e32 v5, 0
	v_cmp_class_f16_sdwa s[96:97], v2, s98 src0_sel:WORD_1 src1_sel:DWORD
	s_mov_b64 vcc, exec
	s_nop 0
	v_writelane_b32 v12, vcc_lo, 6
	s_and_b64 s[96:97], vcc, s[96:97]
	s_nop 0
	v_writelane_b32 v12, vcc_hi, 7
	s_mov_b64 exec, s[96:97]
	s_cbranch_execz .LBB34_86
; %bb.51:                               ;   in Loop: Header=BB34_5 Depth=1
	v_add_u32_e32 v4, s9, v4
	v_ashrrev_i32_e32 v5, 31, v4
	v_lshl_add_u64 v[8:9], v[4:5], 2, s[10:11]
	global_load_dword v2, v[8:9], off
	v_mov_b32_e32 v5, 0
	s_waitcnt vmcnt(0)
	v_cmp_class_f16_e64 s[96:97], v2, s98
	s_mov_b64 vcc, exec
	v_writelane_b32 v12, vcc_lo, 8
	s_and_b64 s[96:97], vcc, s[96:97]
	s_nop 0
	v_writelane_b32 v12, vcc_hi, 9
	s_mov_b64 exec, s[96:97]
	;; [unrolled: 26-line block ×10, first 2 shown]
; %bb.68:                               ;   in Loop: Header=BB34_5 Depth=1
	v_cmp_class_f16_sdwa s[96:97], v2, s98 src0_sel:WORD_1 src1_sel:DWORD
	s_nop 1
	v_cndmask_b32_e64 v5, 0, 1, s[96:97]
; %bb.69:                               ;   in Loop: Header=BB34_5 Depth=1
	v_readlane_b32 s96, v12, 40
	v_readlane_b32 s97, v12, 41
	s_or_b64 exec, exec, s[96:97]
.LBB34_70:                              ;   in Loop: Header=BB34_5 Depth=1
	v_readlane_b32 s96, v12, 38
	v_readlane_b32 s97, v12, 39
	s_or_b64 exec, exec, s[96:97]
.LBB34_71:                              ;   in Loop: Header=BB34_5 Depth=1
	v_readlane_b32 s96, v12, 36
	v_readlane_b32 s97, v12, 37
	s_or_b64 exec, exec, s[96:97]
.LBB34_72:                              ;   in Loop: Header=BB34_5 Depth=1
	v_readlane_b32 s96, v12, 34
	v_readlane_b32 s97, v12, 35
	s_or_b64 exec, exec, s[96:97]
.LBB34_73:                              ;   in Loop: Header=BB34_5 Depth=1
	v_readlane_b32 s96, v12, 32
	v_readlane_b32 s97, v12, 33
	s_or_b64 exec, exec, s[96:97]
.LBB34_74:                              ;   in Loop: Header=BB34_5 Depth=1
	v_readlane_b32 s96, v12, 30
	v_readlane_b32 s97, v12, 31
	s_or_b64 exec, exec, s[96:97]
.LBB34_75:                              ;   in Loop: Header=BB34_5 Depth=1
	v_readlane_b32 s96, v12, 28
	v_readlane_b32 s97, v12, 29
	s_or_b64 exec, exec, s[96:97]
.LBB34_76:                              ;   in Loop: Header=BB34_5 Depth=1
	v_readlane_b32 s96, v12, 26
	v_readlane_b32 s97, v12, 27
	s_or_b64 exec, exec, s[96:97]
.LBB34_77:                              ;   in Loop: Header=BB34_5 Depth=1
	v_readlane_b32 s96, v12, 24
	v_readlane_b32 s97, v12, 25
	s_or_b64 exec, exec, s[96:97]
.LBB34_78:                              ;   in Loop: Header=BB34_5 Depth=1
	v_readlane_b32 s96, v12, 22
	v_readlane_b32 s97, v12, 23
	s_or_b64 exec, exec, s[96:97]
.LBB34_79:                              ;   in Loop: Header=BB34_5 Depth=1
	v_readlane_b32 s96, v12, 20
	v_readlane_b32 s97, v12, 21
	s_or_b64 exec, exec, s[96:97]
.LBB34_80:                              ;   in Loop: Header=BB34_5 Depth=1
	v_readlane_b32 s96, v12, 18
	v_readlane_b32 s97, v12, 19
	s_or_b64 exec, exec, s[96:97]
.LBB34_81:                              ;   in Loop: Header=BB34_5 Depth=1
	v_readlane_b32 s96, v12, 16
	v_readlane_b32 s97, v12, 17
	s_or_b64 exec, exec, s[96:97]
.LBB34_82:                              ;   in Loop: Header=BB34_5 Depth=1
	v_readlane_b32 s96, v12, 14
	v_readlane_b32 s97, v12, 15
	s_or_b64 exec, exec, s[96:97]
.LBB34_83:                              ;   in Loop: Header=BB34_5 Depth=1
	v_readlane_b32 s96, v12, 12
	v_readlane_b32 s97, v12, 13
	s_or_b64 exec, exec, s[96:97]
.LBB34_84:                              ;   in Loop: Header=BB34_5 Depth=1
	v_readlane_b32 s96, v12, 10
	v_readlane_b32 s97, v12, 11
	s_or_b64 exec, exec, s[96:97]
.LBB34_85:                              ;   in Loop: Header=BB34_5 Depth=1
	v_readlane_b32 s96, v12, 8
	v_readlane_b32 s97, v12, 9
	s_or_b64 exec, exec, s[96:97]
.LBB34_86:                              ;   in Loop: Header=BB34_5 Depth=1
	v_readlane_b32 s96, v12, 6
	v_readlane_b32 s97, v12, 7
	s_or_b64 exec, exec, s[96:97]
.LBB34_87:                              ;   in Loop: Header=BB34_5 Depth=1
	v_readlane_b32 s96, v12, 4
	v_readlane_b32 s97, v12, 5
	s_or_b64 exec, exec, s[96:97]
.LBB34_88:                              ;   in Loop: Header=BB34_5 Depth=1
	v_readlane_b32 s96, v12, 2
	v_readlane_b32 s97, v12, 3
	s_or_b64 exec, exec, s[96:97]
.LBB34_89:                              ;   in Loop: Header=BB34_5 Depth=1
	v_readlane_b32 s96, v12, 0
	v_readlane_b32 s97, v12, 1
	s_or_b64 exec, exec, s[96:97]
.LBB34_90:                              ;   in Loop: Header=BB34_5 Depth=1
	s_or_b64 exec, exec, s[94:95]
.LBB34_91:                              ;   in Loop: Header=BB34_5 Depth=1
	s_or_b64 exec, exec, s[92:93]
.LBB34_92:                              ;   in Loop: Header=BB34_5 Depth=1
	s_or_b64 exec, exec, s[90:91]
.LBB34_93:                              ;   in Loop: Header=BB34_5 Depth=1
	s_or_b64 exec, exec, s[88:89]
.LBB34_94:                              ;   in Loop: Header=BB34_5 Depth=1
	s_or_b64 exec, exec, s[86:87]
.LBB34_95:                              ;   in Loop: Header=BB34_5 Depth=1
	s_or_b64 exec, exec, s[84:85]
.LBB34_96:                              ;   in Loop: Header=BB34_5 Depth=1
	s_or_b64 exec, exec, s[82:83]
.LBB34_97:                              ;   in Loop: Header=BB34_5 Depth=1
	s_or_b64 exec, exec, s[80:81]
.LBB34_98:                              ;   in Loop: Header=BB34_5 Depth=1
	s_or_b64 exec, exec, s[78:79]
.LBB34_99:                              ;   in Loop: Header=BB34_5 Depth=1
	s_or_b64 exec, exec, s[76:77]
.LBB34_100:                             ;   in Loop: Header=BB34_5 Depth=1
	s_or_b64 exec, exec, s[74:75]
.LBB34_101:                             ;   in Loop: Header=BB34_5 Depth=1
	s_or_b64 exec, exec, s[72:73]
.LBB34_102:                             ;   in Loop: Header=BB34_5 Depth=1
	s_or_b64 exec, exec, s[70:71]
.LBB34_103:                             ;   in Loop: Header=BB34_5 Depth=1
	s_or_b64 exec, exec, s[68:69]
.LBB34_104:                             ;   in Loop: Header=BB34_5 Depth=1
	s_or_b64 exec, exec, s[66:67]
.LBB34_105:                             ;   in Loop: Header=BB34_5 Depth=1
	s_or_b64 exec, exec, s[64:65]
.LBB34_106:                             ;   in Loop: Header=BB34_5 Depth=1
	s_or_b64 exec, exec, s[62:63]
.LBB34_107:                             ;   in Loop: Header=BB34_5 Depth=1
	s_or_b64 exec, exec, s[60:61]
.LBB34_108:                             ;   in Loop: Header=BB34_5 Depth=1
	s_or_b64 exec, exec, s[58:59]
.LBB34_109:                             ;   in Loop: Header=BB34_5 Depth=1
	s_or_b64 exec, exec, s[56:57]
.LBB34_110:                             ;   in Loop: Header=BB34_5 Depth=1
	s_or_b64 exec, exec, s[54:55]
.LBB34_111:                             ;   in Loop: Header=BB34_5 Depth=1
	s_or_b64 exec, exec, s[52:53]
.LBB34_112:                             ;   in Loop: Header=BB34_5 Depth=1
	s_or_b64 exec, exec, s[50:51]
.LBB34_113:                             ;   in Loop: Header=BB34_5 Depth=1
	s_or_b64 exec, exec, s[48:49]
.LBB34_114:                             ;   in Loop: Header=BB34_5 Depth=1
	s_or_b64 exec, exec, s[46:47]
.LBB34_115:                             ;   in Loop: Header=BB34_5 Depth=1
	s_or_b64 exec, exec, s[44:45]
.LBB34_116:                             ;   in Loop: Header=BB34_5 Depth=1
	s_or_b64 exec, exec, s[42:43]
.LBB34_117:                             ;   in Loop: Header=BB34_5 Depth=1
	s_or_b64 exec, exec, s[40:41]
.LBB34_118:                             ;   in Loop: Header=BB34_5 Depth=1
	s_or_b64 exec, exec, s[38:39]
.LBB34_119:                             ;   in Loop: Header=BB34_5 Depth=1
	s_or_b64 exec, exec, s[36:37]
.LBB34_120:                             ;   in Loop: Header=BB34_5 Depth=1
	s_or_b64 exec, exec, s[34:35]
.LBB34_121:                             ;   in Loop: Header=BB34_5 Depth=1
	s_or_b64 exec, exec, s[30:31]
.LBB34_122:                             ;   in Loop: Header=BB34_5 Depth=1
	s_or_b64 exec, exec, s[28:29]
.LBB34_123:                             ;   in Loop: Header=BB34_5 Depth=1
	s_or_b64 exec, exec, s[26:27]
.LBB34_124:                             ;   in Loop: Header=BB34_5 Depth=1
	s_or_b64 exec, exec, s[24:25]
.LBB34_125:                             ;   in Loop: Header=BB34_5 Depth=1
	s_or_b64 exec, exec, s[22:23]
.LBB34_126:                             ;   in Loop: Header=BB34_5 Depth=1
	s_or_b64 exec, exec, s[20:21]
.LBB34_127:                             ;   in Loop: Header=BB34_5 Depth=1
	s_or_b64 exec, exec, s[18:19]
.LBB34_128:                             ;   in Loop: Header=BB34_5 Depth=1
	s_or_b64 exec, exec, s[16:17]
.LBB34_129:                             ;   in Loop: Header=BB34_5 Depth=1
	s_or_b64 exec, exec, s[14:15]
.LBB34_130:                             ;   in Loop: Header=BB34_5 Depth=1
	s_or_b64 exec, exec, s[4:5]
	v_and_b32_e32 v2, 0x60, v7
	v_add_u32_e32 v9, 32, v2
	v_xor_b32_e32 v2, 16, v7
	v_cmp_lt_i32_e32 vcc, v2, v9
	v_xor_b32_e32 v11, 1, v7
	s_nop 0
	v_cndmask_b32_e32 v2, v7, v2, vcc
	v_lshlrev_b32_e32 v2, 2, v2
	ds_bpermute_b32 v4, v2, v5
	v_cmp_ne_u32_e32 vcc, 0, v5
	s_waitcnt lgkmcnt(0)
	v_cmp_ne_u32_e64 s[4:5], 0, v4
	v_xor_b32_e32 v4, 8, v7
	s_and_b64 s[4:5], vcc, s[4:5]
	v_cmp_lt_i32_e32 vcc, v4, v9
	v_cndmask_b32_e64 v5, 0, 1, s[4:5]
	s_nop 0
	v_cndmask_b32_e32 v4, v7, v4, vcc
	v_lshlrev_b32_e32 v4, 2, v4
	ds_bpermute_b32 v5, v4, v5
	s_waitcnt lgkmcnt(0)
	v_cmp_ne_u32_e32 vcc, 0, v5
	v_xor_b32_e32 v5, 4, v7
	s_and_b64 s[4:5], vcc, s[4:5]
	v_cmp_lt_i32_e32 vcc, v5, v9
	v_cndmask_b32_e64 v8, 0, 1, s[4:5]
	s_nop 0
	v_cndmask_b32_e32 v5, v7, v5, vcc
	v_lshlrev_b32_e32 v5, 2, v5
	ds_bpermute_b32 v8, v5, v8
	s_waitcnt lgkmcnt(0)
	v_cmp_ne_u32_e32 vcc, 0, v8
	v_xor_b32_e32 v8, 2, v7
	s_and_b64 s[4:5], vcc, s[4:5]
	v_cmp_lt_i32_e32 vcc, v8, v9
	v_cndmask_b32_e64 v10, 0, 1, s[4:5]
	s_nop 0
	v_cndmask_b32_e32 v8, v7, v8, vcc
	v_lshlrev_b32_e32 v8, 2, v8
	ds_bpermute_b32 v10, v8, v10
	s_waitcnt lgkmcnt(0)
	v_cmp_ne_u32_e32 vcc, 0, v10
	s_and_b64 s[4:5], vcc, s[4:5]
	v_cmp_lt_i32_e32 vcc, v11, v9
	v_cndmask_b32_e64 v10, 0, 1, s[4:5]
	s_nop 0
	v_cndmask_b32_e32 v9, v7, v11, vcc
	v_lshlrev_b32_e32 v9, 2, v9
	ds_bpermute_b32 v10, v9, v10
	s_and_saveexec_b64 s[14:15], s[0:1]
	s_cbranch_execz .LBB34_3
; %bb.131:                              ;   in Loop: Header=BB34_5 Depth=1
	s_waitcnt lgkmcnt(0)
	v_cmp_ne_u32_e32 vcc, 0, v10
	s_and_b64 s[4:5], vcc, s[4:5]
	v_cndmask_b32_e64 v10, 0, 1, s[4:5]
	ds_write_b32 v1, v10
	s_branch .LBB34_3
.LBB34_132:
	s_or_b64 exec, exec, s[12:13]
	v_cmp_eq_u32_e32 vcc, 0, v0
	s_and_saveexec_b64 s[0:1], vcc
	s_cbranch_execz .LBB34_134
; %bb.133:
	s_mul_i32 s0, s33, s3
	s_add_i32 s0, s0, s2
	s_ashr_i32 s1, s0, 31
	s_lshl_b64 s[0:1], s[0:1], 2
	s_add_u32 s0, s6, s0
	s_addc_u32 s1, s7, s1
	v_mov_b32_e32 v0, 0
	global_store_dword v0, v2, s[0:1]
.LBB34_134:
	s_endpgm
	.section	.rodata,"a",@progbits
	.p2align	6, 0x0
	.amdhsa_kernel _ZL25flash_attn_mask_to_KV_maxILi32EEvPK7__half2Piiii
		.amdhsa_group_segment_fixed_size 128
		.amdhsa_private_segment_fixed_size 0
		.amdhsa_kernarg_size 288
		.amdhsa_user_sgpr_count 2
		.amdhsa_user_sgpr_dispatch_ptr 0
		.amdhsa_user_sgpr_queue_ptr 0
		.amdhsa_user_sgpr_kernarg_segment_ptr 1
		.amdhsa_user_sgpr_dispatch_id 0
		.amdhsa_user_sgpr_kernarg_preload_length 0
		.amdhsa_user_sgpr_kernarg_preload_offset 0
		.amdhsa_user_sgpr_private_segment_size 0
		.amdhsa_uses_dynamic_stack 0
		.amdhsa_enable_private_segment 0
		.amdhsa_system_sgpr_workgroup_id_x 1
		.amdhsa_system_sgpr_workgroup_id_y 1
		.amdhsa_system_sgpr_workgroup_id_z 0
		.amdhsa_system_sgpr_workgroup_info 0
		.amdhsa_system_vgpr_workitem_id 0
		.amdhsa_next_free_vgpr 13
		.amdhsa_next_free_sgpr 100
		.amdhsa_accum_offset 16
		.amdhsa_reserve_vcc 1
		.amdhsa_float_round_mode_32 0
		.amdhsa_float_round_mode_16_64 0
		.amdhsa_float_denorm_mode_32 3
		.amdhsa_float_denorm_mode_16_64 3
		.amdhsa_dx10_clamp 1
		.amdhsa_ieee_mode 1
		.amdhsa_fp16_overflow 0
		.amdhsa_tg_split 0
		.amdhsa_exception_fp_ieee_invalid_op 0
		.amdhsa_exception_fp_denorm_src 0
		.amdhsa_exception_fp_ieee_div_zero 0
		.amdhsa_exception_fp_ieee_overflow 0
		.amdhsa_exception_fp_ieee_underflow 0
		.amdhsa_exception_fp_ieee_inexact 0
		.amdhsa_exception_int_div_zero 0
	.end_amdhsa_kernel
	.section	.text._ZL25flash_attn_mask_to_KV_maxILi32EEvPK7__half2Piiii,"axG",@progbits,_ZL25flash_attn_mask_to_KV_maxILi32EEvPK7__half2Piiii,comdat
.Lfunc_end34:
	.size	_ZL25flash_attn_mask_to_KV_maxILi32EEvPK7__half2Piiii, .Lfunc_end34-_ZL25flash_attn_mask_to_KV_maxILi32EEvPK7__half2Piiii
                                        ; -- End function
	.set _ZL25flash_attn_mask_to_KV_maxILi32EEvPK7__half2Piiii.num_vgpr, 13
	.set _ZL25flash_attn_mask_to_KV_maxILi32EEvPK7__half2Piiii.num_agpr, 0
	.set _ZL25flash_attn_mask_to_KV_maxILi32EEvPK7__half2Piiii.numbered_sgpr, 100
	.set _ZL25flash_attn_mask_to_KV_maxILi32EEvPK7__half2Piiii.num_named_barrier, 0
	.set _ZL25flash_attn_mask_to_KV_maxILi32EEvPK7__half2Piiii.private_seg_size, 0
	.set _ZL25flash_attn_mask_to_KV_maxILi32EEvPK7__half2Piiii.uses_vcc, 1
	.set _ZL25flash_attn_mask_to_KV_maxILi32EEvPK7__half2Piiii.uses_flat_scratch, 0
	.set _ZL25flash_attn_mask_to_KV_maxILi32EEvPK7__half2Piiii.has_dyn_sized_stack, 0
	.set _ZL25flash_attn_mask_to_KV_maxILi32EEvPK7__half2Piiii.has_recursion, 0
	.set _ZL25flash_attn_mask_to_KV_maxILi32EEvPK7__half2Piiii.has_indirect_call, 0
	.section	.AMDGPU.csdata,"",@progbits
; Kernel info:
; codeLenInByte = 4080
; TotalNumSgprs: 106
; NumVgprs: 13
; NumAgprs: 0
; TotalNumVgprs: 13
; ScratchSize: 0
; MemoryBound: 0
; FloatMode: 240
; IeeeMode: 1
; LDSByteSize: 128 bytes/workgroup (compile time only)
; SGPRBlocks: 13
; VGPRBlocks: 1
; NumSGPRsForWavesPerEU: 106
; NumVGPRsForWavesPerEU: 13
; AccumOffset: 16
; Occupancy: 7
; WaveLimiterHint : 0
; COMPUTE_PGM_RSRC2:SCRATCH_EN: 0
; COMPUTE_PGM_RSRC2:USER_SGPR: 2
; COMPUTE_PGM_RSRC2:TRAP_HANDLER: 0
; COMPUTE_PGM_RSRC2:TGID_X_EN: 1
; COMPUTE_PGM_RSRC2:TGID_Y_EN: 1
; COMPUTE_PGM_RSRC2:TGID_Z_EN: 0
; COMPUTE_PGM_RSRC2:TIDIG_COMP_CNT: 0
; COMPUTE_PGM_RSRC3_GFX90A:ACCUM_OFFSET: 3
; COMPUTE_PGM_RSRC3_GFX90A:TG_SPLIT: 0
	.section	.text._ZL33flash_attn_stream_k_fixup_uniformILi128ELi32ELi2EEvPfPK15HIP_vector_typeIfLj2EEiiiiiiS1_IjLj3EES5_S5_,"axG",@progbits,_ZL33flash_attn_stream_k_fixup_uniformILi128ELi32ELi2EEvPfPK15HIP_vector_typeIfLj2EEiiiiiiS1_IjLj3EES5_S5_,comdat
	.globl	_ZL33flash_attn_stream_k_fixup_uniformILi128ELi32ELi2EEvPfPK15HIP_vector_typeIfLj2EEiiiiiiS1_IjLj3EES5_S5_ ; -- Begin function _ZL33flash_attn_stream_k_fixup_uniformILi128ELi32ELi2EEvPfPK15HIP_vector_typeIfLj2EEiiiiiiS1_IjLj3EES5_S5_
	.p2align	8
	.type	_ZL33flash_attn_stream_k_fixup_uniformILi128ELi32ELi2EEvPfPK15HIP_vector_typeIfLj2EEiiiiiiS1_IjLj3EES5_S5_,@function
_ZL33flash_attn_stream_k_fixup_uniformILi128ELi32ELi2EEvPfPK15HIP_vector_typeIfLj2EEiiiiiiS1_IjLj3EES5_S5_: ; @_ZL33flash_attn_stream_k_fixup_uniformILi128ELi32ELi2EEvPfPK15HIP_vector_typeIfLj2EEiiiiiiS1_IjLj3EES5_S5_
; %bb.0:
	s_load_dwordx8 s[8:15], s[0:1], 0x1c
	s_load_dwordx2 s[6:7], s[0:1], 0x10
	s_load_dwordx4 s[20:23], s[0:1], 0x3c
	s_waitcnt lgkmcnt(0)
	s_mul_hi_u32 s5, s11, s2
	s_add_i32 s5, s2, s5
	s_lshr_b32 s5, s5, s12
	s_mul_i32 s11, s5, s13
	s_sub_i32 s11, s2, s11
	s_mul_hi_u32 s12, s11, s14
	s_add_i32 s12, s11, s12
	s_lshr_b32 s16, s12, s15
	s_mul_i32 s12, s16, s20
	s_sub_i32 s11, s11, s12
	;; [unrolled: 5-line block ×3, first 2 shown]
	s_lshl_b32 s11, s12, 1
	s_lshl_b32 s12, s17, 5
	s_add_i32 s12, s12, s3
	s_cmp_lt_i32 s12, s6
	s_cselect_b64 s[12:13], -1, 0
	s_add_i32 s14, s11, s4
	s_cmp_lt_i32 s14, s9
	s_cselect_b64 s[14:15], -1, 0
	s_and_b64 s[12:13], s[12:13], s[14:15]
	s_andn2_b64 vcc, exec, s[12:13]
	s_cbranch_vccnz .LBB35_6
; %bb.1:
	s_load_dwordx4 s[12:15], s[0:1], 0x0
	s_mul_i32 s0, s5, s6
	s_add_i32 s0, s0, s3
	s_mul_i32 s0, s0, s7
	s_mul_i32 s16, s16, s9
	s_add_i32 s0, s0, s4
	s_add_i32 s0, s0, s16
	s_mul_i32 s1, s7, s17
	s_add_i32 s0, s0, s11
	s_lshl_b32 s1, s1, 12
	s_lshl_b32 s0, s0, 7
	s_add_i32 s1, s1, s0
	v_or_b32_e32 v4, s1, v0
	s_waitcnt lgkmcnt(0)
	v_mov_b32_e32 v2, s12
	v_mov_b32_e32 v3, s13
	v_ashrrev_i32_e32 v5, 31, v4
	v_lshl_add_u64 v[2:3], v[4:5], 2, v[2:3]
	global_load_dword v5, v[2:3], off
	s_mul_i32 s5, s10, s2
	s_lshl_b32 s11, s3, 1
	s_add_i32 s9, s5, s10
	s_add_i32 s0, s11, s4
	s_lshl_b32 s1, s9, 6
	s_add_i32 s0, s0, s1
	s_sub_i32 s0, s0, 64
	s_ashr_i32 s1, s0, 31
	s_lshl_b64 s[0:1], s[0:1], 3
	s_add_u32 s0, s14, s0
	s_addc_u32 s1, s15, s1
	s_load_dword s12, s[0:1], 0x4
	s_add_i32 s6, s9, -2
	s_cmp_lt_i32 s6, s5
	s_cbranch_scc1 .LBB35_4
; %bb.2:
	s_lshl_b32 s6, s8, 8
	s_ashr_i32 s7, s6, 31
	s_lshl_b64 s[6:7], s[6:7], 2
	s_add_u32 s6, s14, s6
	s_addc_u32 s7, s15, s7
	s_add_i32 s2, s2, 1
	s_load_dword s0, s[0:1], 0x0
	s_mul_i32 s1, s10, s2
	s_lshl_b32 s3, s3, 8
	s_lshl_b32 s10, s4, 7
	;; [unrolled: 1-line block ×3, first 2 shown]
	s_add_i32 s3, s10, s3
	s_lshl_b32 s1, s1, 6
	s_add_i32 s3, s3, s2
	s_add_i32 s1, s4, s1
	s_lshl_b32 s2, s8, 6
	s_add_i32 s1, s1, s2
	v_or_b32_e32 v0, s3, v0
	s_add_i32 s1, s1, s11
	s_add_i32 s9, s9, -1
	v_add_u32_e32 v0, 0xffffc000, v0
	s_add_i32 s2, s1, 0xffffff80
	s_waitcnt lgkmcnt(0)
	v_mov_b32_e32 v7, s0
	v_mov_b32_e32 v4, s12
	s_mov_b32 s4, 0x3fb8aa3b
	s_mov_b32 s8, 0xc2ce8ed0
	;; [unrolled: 1-line block ×3, first 2 shown]
	v_mov_b32_e32 v6, 0x7f800000
	s_mov_b32 s11, 0xc1a00000
.LBB35_3:                               ; =>This Inner Loop Header: Depth=1
	v_ashrrev_i32_e32 v1, 31, v0
	v_lshl_add_u64 v[8:9], v[0:1], 2, s[6:7]
	global_load_dword v9, v[8:9], off
	s_ashr_i32 s3, s2, 31
	s_lshl_b64 s[0:1], s[2:3], 3
	s_add_u32 s0, s14, s0
	s_addc_u32 s1, s15, s1
	s_load_dwordx2 s[0:1], s[0:1], 0x0
	v_max_f32_e32 v1, v7, v7
	s_add_i32 s9, s9, -1
	s_sub_i32 s2, s2, 64
	v_add_u32_e32 v0, 0xffffe000, v0
	s_waitcnt lgkmcnt(0)
	v_max_f32_e64 v10, s0, s0
	v_max_f32_e32 v1, v1, v10
	v_sub_f32_e32 v11, s0, v1
	v_sub_f32_e32 v10, v7, v1
	v_mul_f32_e32 v12, 0x3fb8aa3b, v11
	v_mov_b32_e32 v7, v1
	v_mul_f32_e32 v1, 0x3fb8aa3b, v10
	v_fma_f32 v15, v11, s4, -v12
	v_rndne_f32_e32 v16, v12
	v_fma_f32 v13, v10, s4, -v1
	v_rndne_f32_e32 v14, v1
	v_fmac_f32_e32 v15, 0x32a5705f, v11
	v_sub_f32_e32 v12, v12, v16
	v_fmac_f32_e32 v13, 0x32a5705f, v10
	v_sub_f32_e32 v1, v1, v14
	v_add_f32_e32 v12, v12, v15
	v_cvt_i32_f32_e32 v16, v16
	v_add_f32_e32 v1, v1, v13
	v_exp_f32_e32 v12, v12
	v_cvt_i32_f32_e32 v14, v14
	v_exp_f32_e32 v1, v1
	v_cmp_ngt_f32_e32 vcc, s8, v11
	v_ldexp_f32 v12, v12, v16
	v_mov_b32_e32 v8, s1
	v_ldexp_f32 v1, v1, v14
	v_cmp_ngt_f32_e64 s[0:1], s8, v10
	v_cndmask_b32_e32 v12, 0, v12, vcc
	v_cmp_nlt_f32_e32 vcc, s10, v11
	v_cndmask_b32_e64 v1, 0, v1, s[0:1]
	v_cmp_nlt_f32_e64 s[0:1], s10, v10
	v_cndmask_b32_e32 v12, v6, v12, vcc
	v_cmp_le_f32_e32 vcc, s11, v11
	v_cndmask_b32_e64 v1, v6, v1, s[0:1]
	v_cmp_le_f32_e64 s[0:1], s11, v10
	v_cndmask_b32_e32 v12, 0, v12, vcc
	s_cmp_le_i32 s9, s5
	v_cndmask_b32_e64 v10, 0, v1, s[0:1]
	s_waitcnt vmcnt(0)
	v_pk_mul_f32 v[8:9], v[8:9], v[12:13] op_sel_hi:[1,0]
	s_nop 0
	v_pk_fma_f32 v[4:5], v[4:5], v[10:11], v[8:9] op_sel_hi:[1,0,1]
	s_cbranch_scc0 .LBB35_3
	s_branch .LBB35_5
.LBB35_4:
	s_waitcnt lgkmcnt(0)
	v_mov_b32_e32 v4, s12
.LBB35_5:
	s_waitcnt vmcnt(0)
	v_div_scale_f32 v0, s[0:1], v4, v4, v5
	v_rcp_f32_e32 v1, v0
	v_div_scale_f32 v6, vcc, v5, v4, v5
	v_fma_f32 v7, -v0, v1, 1.0
	v_fmac_f32_e32 v1, v7, v1
	v_mul_f32_e32 v7, v6, v1
	v_fma_f32 v8, -v0, v7, v6
	v_fmac_f32_e32 v7, v8, v1
	v_fma_f32 v0, -v0, v7, v6
	v_div_fmas_f32 v0, v0, v1, v7
	v_div_fixup_f32 v0, v0, v4, v5
	global_store_dword v[2:3], v0, off
.LBB35_6:
	s_endpgm
	.section	.rodata,"a",@progbits
	.p2align	6, 0x0
	.amdhsa_kernel _ZL33flash_attn_stream_k_fixup_uniformILi128ELi32ELi2EEvPfPK15HIP_vector_typeIfLj2EEiiiiiiS1_IjLj3EES5_S5_
		.amdhsa_group_segment_fixed_size 0
		.amdhsa_private_segment_fixed_size 0
		.amdhsa_kernarg_size 76
		.amdhsa_user_sgpr_count 2
		.amdhsa_user_sgpr_dispatch_ptr 0
		.amdhsa_user_sgpr_queue_ptr 0
		.amdhsa_user_sgpr_kernarg_segment_ptr 1
		.amdhsa_user_sgpr_dispatch_id 0
		.amdhsa_user_sgpr_kernarg_preload_length 0
		.amdhsa_user_sgpr_kernarg_preload_offset 0
		.amdhsa_user_sgpr_private_segment_size 0
		.amdhsa_uses_dynamic_stack 0
		.amdhsa_enable_private_segment 0
		.amdhsa_system_sgpr_workgroup_id_x 1
		.amdhsa_system_sgpr_workgroup_id_y 1
		.amdhsa_system_sgpr_workgroup_id_z 1
		.amdhsa_system_sgpr_workgroup_info 0
		.amdhsa_system_vgpr_workitem_id 0
		.amdhsa_next_free_vgpr 17
		.amdhsa_next_free_sgpr 24
		.amdhsa_accum_offset 20
		.amdhsa_reserve_vcc 1
		.amdhsa_float_round_mode_32 0
		.amdhsa_float_round_mode_16_64 0
		.amdhsa_float_denorm_mode_32 3
		.amdhsa_float_denorm_mode_16_64 3
		.amdhsa_dx10_clamp 1
		.amdhsa_ieee_mode 1
		.amdhsa_fp16_overflow 0
		.amdhsa_tg_split 0
		.amdhsa_exception_fp_ieee_invalid_op 0
		.amdhsa_exception_fp_denorm_src 0
		.amdhsa_exception_fp_ieee_div_zero 0
		.amdhsa_exception_fp_ieee_overflow 0
		.amdhsa_exception_fp_ieee_underflow 0
		.amdhsa_exception_fp_ieee_inexact 0
		.amdhsa_exception_int_div_zero 0
	.end_amdhsa_kernel
	.section	.text._ZL33flash_attn_stream_k_fixup_uniformILi128ELi32ELi2EEvPfPK15HIP_vector_typeIfLj2EEiiiiiiS1_IjLj3EES5_S5_,"axG",@progbits,_ZL33flash_attn_stream_k_fixup_uniformILi128ELi32ELi2EEvPfPK15HIP_vector_typeIfLj2EEiiiiiiS1_IjLj3EES5_S5_,comdat
.Lfunc_end35:
	.size	_ZL33flash_attn_stream_k_fixup_uniformILi128ELi32ELi2EEvPfPK15HIP_vector_typeIfLj2EEiiiiiiS1_IjLj3EES5_S5_, .Lfunc_end35-_ZL33flash_attn_stream_k_fixup_uniformILi128ELi32ELi2EEvPfPK15HIP_vector_typeIfLj2EEiiiiiiS1_IjLj3EES5_S5_
                                        ; -- End function
	.set _ZL33flash_attn_stream_k_fixup_uniformILi128ELi32ELi2EEvPfPK15HIP_vector_typeIfLj2EEiiiiiiS1_IjLj3EES5_S5_.num_vgpr, 17
	.set _ZL33flash_attn_stream_k_fixup_uniformILi128ELi32ELi2EEvPfPK15HIP_vector_typeIfLj2EEiiiiiiS1_IjLj3EES5_S5_.num_agpr, 0
	.set _ZL33flash_attn_stream_k_fixup_uniformILi128ELi32ELi2EEvPfPK15HIP_vector_typeIfLj2EEiiiiiiS1_IjLj3EES5_S5_.numbered_sgpr, 24
	.set _ZL33flash_attn_stream_k_fixup_uniformILi128ELi32ELi2EEvPfPK15HIP_vector_typeIfLj2EEiiiiiiS1_IjLj3EES5_S5_.num_named_barrier, 0
	.set _ZL33flash_attn_stream_k_fixup_uniformILi128ELi32ELi2EEvPfPK15HIP_vector_typeIfLj2EEiiiiiiS1_IjLj3EES5_S5_.private_seg_size, 0
	.set _ZL33flash_attn_stream_k_fixup_uniformILi128ELi32ELi2EEvPfPK15HIP_vector_typeIfLj2EEiiiiiiS1_IjLj3EES5_S5_.uses_vcc, 1
	.set _ZL33flash_attn_stream_k_fixup_uniformILi128ELi32ELi2EEvPfPK15HIP_vector_typeIfLj2EEiiiiiiS1_IjLj3EES5_S5_.uses_flat_scratch, 0
	.set _ZL33flash_attn_stream_k_fixup_uniformILi128ELi32ELi2EEvPfPK15HIP_vector_typeIfLj2EEiiiiiiS1_IjLj3EES5_S5_.has_dyn_sized_stack, 0
	.set _ZL33flash_attn_stream_k_fixup_uniformILi128ELi32ELi2EEvPfPK15HIP_vector_typeIfLj2EEiiiiiiS1_IjLj3EES5_S5_.has_recursion, 0
	.set _ZL33flash_attn_stream_k_fixup_uniformILi128ELi32ELi2EEvPfPK15HIP_vector_typeIfLj2EEiiiiiiS1_IjLj3EES5_S5_.has_indirect_call, 0
	.section	.AMDGPU.csdata,"",@progbits
; Kernel info:
; codeLenInByte = 840
; TotalNumSgprs: 30
; NumVgprs: 17
; NumAgprs: 0
; TotalNumVgprs: 17
; ScratchSize: 0
; MemoryBound: 0
; FloatMode: 240
; IeeeMode: 1
; LDSByteSize: 0 bytes/workgroup (compile time only)
; SGPRBlocks: 3
; VGPRBlocks: 2
; NumSGPRsForWavesPerEU: 30
; NumVGPRsForWavesPerEU: 17
; AccumOffset: 20
; Occupancy: 8
; WaveLimiterHint : 0
; COMPUTE_PGM_RSRC2:SCRATCH_EN: 0
; COMPUTE_PGM_RSRC2:USER_SGPR: 2
; COMPUTE_PGM_RSRC2:TRAP_HANDLER: 0
; COMPUTE_PGM_RSRC2:TGID_X_EN: 1
; COMPUTE_PGM_RSRC2:TGID_Y_EN: 1
; COMPUTE_PGM_RSRC2:TGID_Z_EN: 1
; COMPUTE_PGM_RSRC2:TIDIG_COMP_CNT: 0
; COMPUTE_PGM_RSRC3_GFX90A:ACCUM_OFFSET: 4
; COMPUTE_PGM_RSRC3_GFX90A:TG_SPLIT: 0
	.section	.text._ZL33flash_attn_stream_k_fixup_generalILi128ELi32ELi2EEvPfPK15HIP_vector_typeIfLj2EEiiiiS1_IjLj3EES5_S5_S5_,"axG",@progbits,_ZL33flash_attn_stream_k_fixup_generalILi128ELi32ELi2EEvPfPK15HIP_vector_typeIfLj2EEiiiiS1_IjLj3EES5_S5_S5_,comdat
	.globl	_ZL33flash_attn_stream_k_fixup_generalILi128ELi32ELi2EEvPfPK15HIP_vector_typeIfLj2EEiiiiS1_IjLj3EES5_S5_S5_ ; -- Begin function _ZL33flash_attn_stream_k_fixup_generalILi128ELi32ELi2EEvPfPK15HIP_vector_typeIfLj2EEiiiiS1_IjLj3EES5_S5_S5_
	.p2align	8
	.type	_ZL33flash_attn_stream_k_fixup_generalILi128ELi32ELi2EEvPfPK15HIP_vector_typeIfLj2EEiiiiS1_IjLj3EES5_S5_S5_,@function
_ZL33flash_attn_stream_k_fixup_generalILi128ELi32ELi2EEvPfPK15HIP_vector_typeIfLj2EEiiiiS1_IjLj3EES5_S5_S5_: ; @_ZL33flash_attn_stream_k_fixup_generalILi128ELi32ELi2EEvPfPK15HIP_vector_typeIfLj2EEiiiiS1_IjLj3EES5_S5_S5_
; %bb.0:
	s_load_dwordx4 s[8:11], s[0:1], 0x10
	s_load_dword s22, s[0:1], 0x50
	s_mov_b32 s12, 0
	s_waitcnt lgkmcnt(0)
	s_mul_hi_i32 s13, s11, s2
	s_cmp_lg_u64 s[12:13], 0
	s_mul_i32 s5, s11, s2
	s_cbranch_scc0 .LBB36_20
; %bb.1:
	s_add_u32 s6, s22, 0
	s_addc_u32 s7, 0, 0
	s_xor_b64 s[6:7], s[6:7], 0
	v_cvt_f32_u32_e32 v1, s6
	v_cvt_f32_u32_e32 v2, s7
	s_sub_u32 s12, 0, s6
	s_subb_u32 s18, 0, s7
	v_fmamk_f32 v1, v2, 0x4f800000, v1
	v_rcp_f32_e32 v1, v1
	s_nop 0
	v_mul_f32_e32 v1, 0x5f7ffffc, v1
	v_mul_f32_e32 v2, 0x2f800000, v1
	v_trunc_f32_e32 v2, v2
	v_fmamk_f32 v1, v2, 0xcf800000, v1
	v_cvt_u32_f32_e32 v2, v2
	v_cvt_u32_f32_e32 v1, v1
	v_readfirstlane_b32 s19, v2
	v_readfirstlane_b32 s14, v1
	s_mul_i32 s15, s12, s19
	s_mul_hi_u32 s21, s12, s14
	s_mul_i32 s20, s18, s14
	s_add_i32 s15, s21, s15
	s_add_i32 s15, s15, s20
	s_mul_i32 s23, s12, s14
	s_mul_i32 s21, s14, s15
	s_mul_hi_u32 s24, s14, s23
	s_mul_hi_u32 s20, s14, s15
	s_add_u32 s21, s24, s21
	s_addc_u32 s20, 0, s20
	s_mul_hi_u32 s25, s19, s23
	s_mul_i32 s23, s19, s23
	s_add_u32 s21, s21, s23
	s_mul_hi_u32 s24, s19, s15
	s_addc_u32 s20, s20, s25
	s_addc_u32 s21, s24, 0
	s_mul_i32 s15, s19, s15
	s_add_u32 s15, s20, s15
	s_addc_u32 s20, 0, s21
	s_add_u32 s21, s14, s15
	s_cselect_b64 s[14:15], -1, 0
	s_cmp_lg_u64 s[14:15], 0
	s_addc_u32 s19, s19, s20
	s_mul_i32 s14, s12, s19
	s_mul_hi_u32 s15, s12, s21
	s_add_i32 s14, s15, s14
	s_mul_i32 s18, s18, s21
	s_add_i32 s14, s14, s18
	s_mul_i32 s12, s12, s21
	s_mul_hi_u32 s18, s19, s12
	s_mul_i32 s20, s19, s12
	s_mul_i32 s24, s21, s14
	s_mul_hi_u32 s12, s21, s12
	s_mul_hi_u32 s23, s21, s14
	s_add_u32 s12, s12, s24
	s_addc_u32 s23, 0, s23
	s_add_u32 s12, s12, s20
	s_mul_hi_u32 s15, s19, s14
	s_addc_u32 s12, s23, s18
	s_addc_u32 s15, s15, 0
	s_mul_i32 s14, s19, s14
	s_add_u32 s12, s12, s14
	s_addc_u32 s18, 0, s15
	s_add_u32 s20, s21, s12
	s_cselect_b64 s[14:15], -1, 0
	s_cmp_lg_u64 s[14:15], 0
	s_addc_u32 s18, s19, s18
	s_ashr_i32 s14, s13, 31
	s_add_u32 s12, s5, s14
	s_mov_b32 s15, s14
	s_addc_u32 s13, s13, s14
	s_xor_b64 s[12:13], s[12:13], s[14:15]
	s_mul_i32 s21, s12, s18
	s_mul_hi_u32 s23, s12, s20
	s_mul_hi_u32 s19, s12, s18
	s_add_u32 s21, s23, s21
	s_addc_u32 s19, 0, s19
	s_mul_hi_u32 s24, s13, s20
	s_mul_i32 s20, s13, s20
	s_add_u32 s20, s21, s20
	s_mul_hi_u32 s23, s13, s18
	s_addc_u32 s19, s19, s24
	s_addc_u32 s20, s23, 0
	s_mul_i32 s18, s13, s18
	s_add_u32 s23, s19, s18
	s_addc_u32 s24, 0, s20
	s_mul_i32 s18, s6, s24
	s_mul_hi_u32 s19, s6, s23
	s_add_i32 s18, s19, s18
	s_mul_i32 s19, s7, s23
	s_add_i32 s25, s18, s19
	s_sub_i32 s20, s13, s25
	s_mul_i32 s18, s6, s23
	s_sub_u32 s12, s12, s18
	s_cselect_b64 s[18:19], -1, 0
	s_cmp_lg_u64 s[18:19], 0
	s_subb_u32 s26, s20, s7
	s_sub_u32 s27, s12, s6
	s_cselect_b64 s[20:21], -1, 0
	s_cmp_lg_u64 s[20:21], 0
	s_subb_u32 s20, s26, 0
	s_cmp_ge_u32 s20, s7
	s_cselect_b32 s21, -1, 0
	s_cmp_ge_u32 s27, s6
	s_cselect_b32 s26, -1, 0
	s_cmp_eq_u32 s20, s7
	s_cselect_b32 s20, s26, s21
	s_add_u32 s21, s23, 1
	s_addc_u32 s26, s24, 0
	s_add_u32 s27, s23, 2
	s_addc_u32 s28, s24, 0
	s_cmp_lg_u32 s20, 0
	s_cselect_b32 s20, s27, s21
	s_cselect_b32 s21, s28, s26
	s_cmp_lg_u64 s[18:19], 0
	s_subb_u32 s13, s13, s25
	s_cmp_ge_u32 s13, s7
	s_cselect_b32 s18, -1, 0
	s_cmp_ge_u32 s12, s6
	s_cselect_b32 s6, -1, 0
	s_cmp_eq_u32 s13, s7
	s_cselect_b32 s6, s6, s18
	s_cmp_lg_u32 s6, 0
	s_cselect_b32 s7, s21, s24
	s_cselect_b32 s6, s20, s23
	s_xor_b64 s[12:13], s[14:15], 0
	s_xor_b64 s[6:7], s[6:7], s[12:13]
	s_sub_u32 s6, s6, s12
	s_load_dwordx4 s[12:15], s[0:1], 0x44
	s_cbranch_execnz .LBB36_3
.LBB36_2:
	v_cvt_f32_u32_e32 v1, s22
	s_sub_i32 s6, 0, s22
	v_rcp_iflag_f32_e32 v1, v1
	s_nop 0
	v_mul_f32_e32 v1, 0x4f7ffffe, v1
	v_cvt_u32_f32_e32 v1, v1
	s_nop 0
	v_readfirstlane_b32 s7, v1
	s_mul_i32 s6, s6, s7
	s_mul_hi_u32 s6, s7, s6
	s_add_i32 s7, s7, s6
	s_mul_hi_u32 s6, s5, s7
	s_waitcnt lgkmcnt(0)
	s_mul_i32 s15, s6, s22
	s_sub_i32 s5, s5, s15
	s_add_i32 s7, s6, 1
	s_sub_i32 s15, s5, s22
	s_cmp_ge_u32 s5, s22
	s_cselect_b32 s6, s7, s6
	s_cselect_b32 s5, s15, s5
	s_add_i32 s7, s6, 1
	s_cmp_ge_u32 s5, s22
	s_cselect_b32 s6, s7, s6
.LBB36_3:
	s_add_i32 s5, s2, 1
	s_mul_hi_i32 s21, s11, s5
	s_mov_b32 s20, 0
	s_cmp_lg_u64 s[20:21], 0
	s_mul_i32 s5, s11, s5
	s_cbranch_scc0 .LBB36_21
; %bb.4:
	s_add_u32 s16, s22, 0
	s_addc_u32 s17, 0, 0
	s_xor_b64 s[18:19], s[16:17], 0
	v_cvt_f32_u32_e32 v1, s18
	v_cvt_f32_u32_e32 v2, s19
	s_sub_u32 s7, 0, s18
	s_waitcnt lgkmcnt(0)
	s_subb_u32 s15, 0, s19
	v_fmamk_f32 v1, v2, 0x4f800000, v1
	v_rcp_f32_e32 v1, v1
	s_nop 0
	v_mul_f32_e32 v1, 0x5f7ffffc, v1
	v_mul_f32_e32 v2, 0x2f800000, v1
	v_trunc_f32_e32 v2, v2
	v_fmamk_f32 v1, v2, 0xcf800000, v1
	v_cvt_u32_f32_e32 v2, v2
	v_cvt_u32_f32_e32 v1, v1
	v_readfirstlane_b32 s20, v2
	v_readfirstlane_b32 s23, v1
	s_mul_i32 s24, s7, s20
	s_mul_hi_u32 s26, s7, s23
	s_mul_i32 s25, s15, s23
	s_add_i32 s24, s26, s24
	s_add_i32 s24, s24, s25
	s_mul_i32 s27, s7, s23
	s_mul_i32 s26, s23, s24
	s_mul_hi_u32 s28, s23, s27
	s_mul_hi_u32 s25, s23, s24
	s_add_u32 s26, s28, s26
	s_addc_u32 s25, 0, s25
	s_mul_hi_u32 s29, s20, s27
	s_mul_i32 s27, s20, s27
	s_add_u32 s26, s26, s27
	s_mul_hi_u32 s28, s20, s24
	s_addc_u32 s25, s25, s29
	s_addc_u32 s26, s28, 0
	s_mul_i32 s24, s20, s24
	s_add_u32 s24, s25, s24
	s_addc_u32 s26, 0, s26
	s_add_u32 s23, s23, s24
	s_cselect_b64 s[24:25], -1, 0
	s_cmp_lg_u64 s[24:25], 0
	s_addc_u32 s20, s20, s26
	s_mul_i32 s24, s7, s20
	s_mul_hi_u32 s25, s7, s23
	s_add_i32 s24, s25, s24
	s_mul_i32 s15, s15, s23
	s_add_i32 s24, s24, s15
	s_mul_i32 s7, s7, s23
	s_mul_hi_u32 s25, s20, s7
	s_mul_i32 s26, s20, s7
	s_mul_i32 s28, s23, s24
	s_mul_hi_u32 s7, s23, s7
	s_mul_hi_u32 s27, s23, s24
	s_add_u32 s7, s7, s28
	s_addc_u32 s27, 0, s27
	s_add_u32 s7, s7, s26
	s_mul_hi_u32 s15, s20, s24
	s_addc_u32 s7, s27, s25
	s_addc_u32 s15, s15, 0
	s_mul_i32 s24, s20, s24
	s_add_u32 s7, s7, s24
	s_addc_u32 s15, 0, s15
	s_add_u32 s7, s23, s7
	s_cselect_b64 s[24:25], -1, 0
	s_cmp_lg_u64 s[24:25], 0
	s_addc_u32 s15, s20, s15
	s_ashr_i32 s24, s21, 31
	s_add_u32 s20, s5, s24
	s_mov_b32 s25, s24
	s_addc_u32 s21, s21, s24
	s_xor_b64 s[20:21], s[20:21], s[24:25]
	s_mul_i32 s26, s20, s15
	s_mul_hi_u32 s27, s20, s7
	s_mul_hi_u32 s23, s20, s15
	s_add_u32 s26, s27, s26
	s_addc_u32 s23, 0, s23
	s_mul_hi_u32 s28, s21, s7
	s_mul_i32 s7, s21, s7
	s_add_u32 s7, s26, s7
	s_mul_hi_u32 s27, s21, s15
	s_addc_u32 s7, s23, s28
	s_addc_u32 s23, s27, 0
	s_mul_i32 s15, s21, s15
	s_add_u32 s7, s7, s15
	s_addc_u32 s15, 0, s23
	s_mul_i32 s23, s18, s15
	s_mul_hi_u32 s26, s18, s7
	s_add_i32 s23, s26, s23
	s_mul_i32 s26, s19, s7
	s_add_i32 s23, s23, s26
	s_sub_i32 s28, s21, s23
	s_mul_i32 s26, s18, s7
	s_sub_u32 s20, s20, s26
	s_cselect_b64 s[26:27], -1, 0
	s_cmp_lg_u64 s[26:27], 0
	s_subb_u32 s30, s28, s19
	s_sub_u32 s31, s20, s18
	s_cselect_b64 s[28:29], -1, 0
	s_cmp_lg_u64 s[28:29], 0
	s_subb_u32 s28, s30, 0
	s_cmp_ge_u32 s28, s19
	s_cselect_b32 s29, -1, 0
	s_cmp_ge_u32 s31, s18
	s_cselect_b32 s30, -1, 0
	s_cmp_eq_u32 s28, s19
	s_cselect_b32 s28, s30, s29
	s_add_u32 s29, s7, 1
	s_addc_u32 s30, s15, 0
	s_add_u32 s31, s7, 2
	s_addc_u32 s33, s15, 0
	s_cmp_lg_u32 s28, 0
	s_cselect_b32 s28, s31, s29
	s_cselect_b32 s29, s33, s30
	s_cmp_lg_u64 s[26:27], 0
	s_subb_u32 s21, s21, s23
	s_cmp_ge_u32 s21, s19
	s_cselect_b32 s23, -1, 0
	s_cmp_ge_u32 s20, s18
	s_cselect_b32 s18, -1, 0
	s_cmp_eq_u32 s21, s19
	s_cselect_b32 s18, s18, s23
	s_cmp_lg_u32 s18, 0
	s_cselect_b32 s19, s29, s15
	s_cselect_b32 s18, s28, s7
	s_xor_b64 s[20:21], s[24:25], 0
	s_xor_b64 s[18:19], s[18:19], s[20:21]
	s_sub_u32 s18, s18, s20
	s_cbranch_execnz .LBB36_6
.LBB36_5:
	v_cvt_f32_u32_e32 v1, s22
	s_sub_i32 s7, 0, s22
	v_rcp_iflag_f32_e32 v1, v1
	s_nop 0
	v_mul_f32_e32 v1, 0x4f7ffffe, v1
	v_cvt_u32_f32_e32 v1, v1
	s_waitcnt lgkmcnt(0)
	v_readfirstlane_b32 s15, v1
	s_mul_i32 s7, s7, s15
	s_mul_hi_u32 s7, s15, s7
	s_add_i32 s15, s15, s7
	s_mul_hi_u32 s7, s5, s15
	s_mul_i32 s16, s7, s22
	s_sub_i32 s5, s5, s16
	s_add_i32 s15, s7, 1
	s_sub_i32 s16, s5, s22
	s_cmp_ge_u32 s5, s22
	s_cselect_b32 s7, s15, s7
	s_cselect_b32 s5, s16, s5
	s_add_i32 s15, s7, 1
	s_cmp_ge_u32 s5, s22
	s_cselect_b32 s18, s15, s7
.LBB36_6:
	s_cmp_eq_u32 s6, s18
	s_waitcnt lgkmcnt(0)
	s_mul_hi_u32 s5, s6, s12
	s_cselect_b64 s[16:17], -1, 0
	s_add_i32 s5, s5, s6
	s_lshr_b32 s7, s5, s13
	s_mul_i32 s5, s7, s14
	s_cmp_eq_u32 s5, s6
	s_mul_hi_u32 s5, s18, s12
	s_cselect_b64 s[20:21], -1, 0
	s_add_i32 s5, s5, s18
	s_lshr_b32 s5, s5, s13
	s_cmp_eq_u32 s7, s5
	s_mul_i32 s5, s5, s14
	s_cselect_b64 s[24:25], -1, 0
	s_cmp_lg_u32 s5, s18
	s_cselect_b64 s[18:19], -1, 0
	s_and_b64 s[18:19], s[24:25], s[18:19]
	s_or_b64 s[16:17], s[16:17], s[20:21]
	s_or_b64 s[16:17], s[16:17], s[18:19]
	s_and_b64 vcc, exec, s[16:17]
	s_cbranch_vccnz .LBB36_23
; %bb.7:
	s_load_dwordx8 s[24:31], s[0:1], 0x20
	s_load_dword s15, s[0:1], 0x40
	s_waitcnt lgkmcnt(0)
	s_mul_hi_u32 s5, s6, s24
	s_add_i32 s5, s5, s6
	s_lshr_b32 s5, s5, s25
	s_mul_i32 s16, s5, s26
	s_sub_i32 s16, s6, s16
	s_mul_hi_u32 s17, s16, s27
	s_add_i32 s17, s16, s17
	s_lshr_b32 s20, s17, s28
	s_mul_i32 s17, s20, s29
	s_sub_i32 s16, s16, s17
	;; [unrolled: 5-line block ×3, first 2 shown]
	s_mul_hi_u32 s16, s15, s12
	s_add_i32 s15, s15, s16
	s_lshr_b32 s23, s15, s13
	s_lshl_b32 s15, s23, 5
	s_lshl_b32 s21, s17, 1
	s_add_i32 s15, s15, s3
	s_cmp_lt_i32 s15, s8
	s_cselect_b64 s[16:17], -1, 0
	s_add_i32 s15, s21, s4
	s_cmp_lt_i32 s15, s10
	s_cselect_b64 s[18:19], -1, 0
	s_and_b64 s[16:17], s[16:17], s[18:19]
	s_andn2_b64 vcc, exec, s[16:17]
	s_cbranch_vccnz .LBB36_23
; %bb.8:
	s_load_dwordx4 s[16:19], s[0:1], 0x0
	s_mov_b32 s0, 0
	s_lshl_b32 s15, s3, 1
	s_lshl_b32 s24, s22, 8
	s_mov_b32 s25, s0
	s_add_i32 s15, s15, s4
	s_waitcnt lgkmcnt(0)
	v_mov_b32_e32 v2, s16
	v_mov_b32_e32 v3, s17
	s_lshl_b64 s[16:17], s[24:25], 2
	s_add_u32 s16, s18, s16
	s_mul_i32 s1, s5, s8
	s_addc_u32 s17, s19, s17
	s_add_i32 s1, s1, s3
	s_mul_i32 s1, s1, s9
	s_mul_i32 s20, s20, s10
	s_add_i32 s1, s1, s4
	s_add_i32 s1, s1, s20
	s_mul_i32 s5, s9, s23
	s_add_i32 s1, s1, s21
	s_lshl_b32 s5, s5, 12
	s_lshl_b32 s1, s1, 7
	s_add_i32 s5, s5, s1
	v_or_b32_e32 v4, s5, v0
	v_ashrrev_i32_e32 v5, 31, v4
	v_lshl_add_u64 v[2:3], v[4:5], 2, v[2:3]
	global_load_dword v1, v[2:3], off
	v_cvt_f32_u32_e32 v4, s22
	s_lshl_b32 s1, s2, 6
	s_add_i32 s4, s15, s1
	s_ashr_i32 s5, s4, 31
	s_lshl_b64 s[4:5], s[4:5], 3
	v_rcp_iflag_f32_e32 v4, v4
	s_add_u32 s4, s18, s4
	s_addc_u32 s5, s19, s5
	s_load_dwordx2 s[4:5], s[4:5], 0x0
	v_mul_f32_e32 v4, 0x4f7ffffe, v4
	v_cvt_u32_f32_e32 v7, v4
	s_add_i32 s24, s2, -1
	v_lshl_or_b32 v6, s15, 7, v0
	s_waitcnt lgkmcnt(0)
	v_mov_b32_e32 v0, s5
	v_mov_b32_e32 v9, s4
	s_mov_b32 s10, 0x3fb8aa3b
	s_mov_b32 s20, 0xc2ce8ed0
	;; [unrolled: 1-line block ×4, first 2 shown]
	v_mov_b32_e32 v8, 0x7f800000
	s_mul_hi_i32 s1, s24, s11
	s_cmp_lg_u64 s[0:1], 0
	s_mul_i32 s8, s24, s11
	s_cbranch_scc0 .LBB36_19
.LBB36_9:
	s_add_u32 s2, s22, 0
	s_addc_u32 s3, 0, 0
	s_xor_b64 s[2:3], s[2:3], 0
	v_cvt_f32_u32_e32 v4, s2
	v_cvt_f32_u32_e32 v5, s3
	s_sub_u32 s9, 0, s2
	s_subb_u32 s25, 0, s3
	v_fmac_f32_e32 v4, 0x4f800000, v5
	v_rcp_f32_e32 v4, v4
	s_nop 0
	v_mul_f32_e32 v4, 0x5f7ffffc, v4
	v_mul_f32_e32 v5, 0x2f800000, v4
	v_trunc_f32_e32 v5, v5
	v_fmac_f32_e32 v4, 0xcf800000, v5
	v_cvt_u32_f32_e32 v5, v5
	v_cvt_u32_f32_e32 v4, v4
	v_readfirstlane_b32 s26, v5
	v_readfirstlane_b32 s4, v4
	s_mul_i32 s5, s9, s26
	s_mul_hi_u32 s28, s9, s4
	s_mul_i32 s27, s25, s4
	s_add_i32 s5, s28, s5
	s_mul_i32 s29, s9, s4
	s_add_i32 s5, s5, s27
	s_mul_i32 s28, s4, s5
	s_mul_hi_u32 s30, s4, s29
	s_mul_hi_u32 s27, s4, s5
	s_add_u32 s28, s30, s28
	s_addc_u32 s27, 0, s27
	s_mul_hi_u32 s31, s26, s29
	s_mul_i32 s29, s26, s29
	s_add_u32 s28, s28, s29
	s_mul_hi_u32 s30, s26, s5
	s_addc_u32 s27, s27, s31
	s_addc_u32 s28, s30, 0
	s_mul_i32 s5, s26, s5
	s_add_u32 s5, s27, s5
	s_addc_u32 s27, 0, s28
	s_add_u32 s28, s4, s5
	s_cselect_b64 s[4:5], -1, 0
	s_cmp_lg_u64 s[4:5], 0
	s_addc_u32 s26, s26, s27
	s_mul_i32 s4, s9, s26
	s_mul_hi_u32 s5, s9, s28
	s_add_i32 s4, s5, s4
	s_mul_i32 s25, s25, s28
	s_add_i32 s4, s4, s25
	s_mul_i32 s9, s9, s28
	s_mul_hi_u32 s25, s26, s9
	s_mul_i32 s27, s26, s9
	s_mul_i32 s30, s28, s4
	s_mul_hi_u32 s9, s28, s9
	s_mul_hi_u32 s29, s28, s4
	s_add_u32 s9, s9, s30
	s_addc_u32 s29, 0, s29
	s_add_u32 s9, s9, s27
	s_mul_hi_u32 s5, s26, s4
	s_addc_u32 s9, s29, s25
	s_addc_u32 s5, s5, 0
	s_mul_i32 s4, s26, s4
	s_add_u32 s4, s9, s4
	s_addc_u32 s9, 0, s5
	s_add_u32 s25, s28, s4
	s_cselect_b64 s[4:5], -1, 0
	s_cmp_lg_u64 s[4:5], 0
	s_addc_u32 s9, s26, s9
	s_ashr_i32 s4, s1, 31
	s_add_u32 s26, s8, s4
	s_mov_b32 s5, s4
	s_addc_u32 s27, s1, s4
	s_xor_b64 s[26:27], s[26:27], s[4:5]
	s_mul_i32 s28, s26, s9
	s_mul_hi_u32 s29, s26, s25
	s_mul_hi_u32 s1, s26, s9
	s_add_u32 s28, s29, s28
	s_addc_u32 s1, 0, s1
	s_mul_hi_u32 s30, s27, s25
	s_mul_i32 s25, s27, s25
	s_add_u32 s25, s28, s25
	s_mul_hi_u32 s29, s27, s9
	s_addc_u32 s1, s1, s30
	s_addc_u32 s25, s29, 0
	s_mul_i32 s9, s27, s9
	s_add_u32 s1, s1, s9
	s_addc_u32 s9, 0, s25
	s_mul_i32 s25, s2, s9
	s_mul_hi_u32 s28, s2, s1
	s_add_i32 s25, s28, s25
	s_mul_i32 s28, s3, s1
	s_add_i32 s25, s25, s28
	s_sub_i32 s30, s27, s25
	s_mul_i32 s28, s2, s1
	s_sub_u32 s26, s26, s28
	s_cselect_b64 s[28:29], -1, 0
	s_cmp_lg_u64 s[28:29], 0
	s_subb_u32 s33, s30, s3
	s_sub_u32 s34, s26, s2
	s_cselect_b64 s[30:31], -1, 0
	s_cmp_lg_u64 s[30:31], 0
	s_subb_u32 s30, s33, 0
	s_cmp_ge_u32 s30, s3
	s_cselect_b32 s31, -1, 0
	s_cmp_ge_u32 s34, s2
	s_cselect_b32 s33, -1, 0
	s_cmp_eq_u32 s30, s3
	s_cselect_b32 s30, s33, s31
	s_add_u32 s31, s1, 1
	s_addc_u32 s33, s9, 0
	s_add_u32 s34, s1, 2
	s_addc_u32 s35, s9, 0
	s_cmp_lg_u32 s30, 0
	s_cselect_b32 s30, s34, s31
	s_cselect_b32 s31, s35, s33
	s_cmp_lg_u64 s[28:29], 0
	s_subb_u32 s25, s27, s25
	s_cmp_ge_u32 s25, s3
	s_cselect_b32 s27, -1, 0
	s_cmp_ge_u32 s26, s2
	s_cselect_b32 s2, -1, 0
	s_cmp_eq_u32 s25, s3
	s_cselect_b32 s2, s2, s27
	s_cmp_lg_u32 s2, 0
	s_cselect_b32 s3, s31, s9
	s_cselect_b32 s2, s30, s1
	s_xor_b64 s[4:5], s[4:5], 0
	s_xor_b64 s[2:3], s[2:3], s[4:5]
	s_sub_u32 s4, s2, s4
	s_cbranch_execnz .LBB36_11
.LBB36_10:
	s_sub_i32 s1, 0, s22
	v_readfirstlane_b32 s2, v7
	s_mul_i32 s1, s1, s2
	s_mul_hi_u32 s1, s2, s1
	s_add_i32 s2, s2, s1
	s_mul_hi_u32 s1, s8, s2
	s_mul_i32 s3, s1, s22
	s_sub_i32 s3, s8, s3
	s_add_i32 s2, s1, 1
	s_sub_i32 s4, s3, s22
	s_cmp_ge_u32 s3, s22
	s_cselect_b32 s1, s2, s1
	s_cselect_b32 s3, s4, s3
	s_add_i32 s2, s1, 1
	s_cmp_ge_u32 s3, s22
	s_cselect_b32 s4, s2, s1
.LBB36_11:
	s_cmp_lg_u32 s6, s4
	s_cbranch_scc0 .LBB36_15
; %bb.12:
	s_add_i32 s1, s24, s22
	s_lshl_b32 s1, s1, 6
	s_add_i32 s2, s1, s15
	s_mov_b32 s3, s0
	s_lshl_b64 s[2:3], s[2:3], 3
	s_add_u32 s8, s18, s2
	s_mul_hi_u32 s1, s4, s12
	s_addc_u32 s9, s19, s3
	s_add_i32 s1, s1, s4
	s_lshr_b32 s1, s1, s13
	s_mul_i32 s2, s1, s14
	s_cmp_eq_u32 s2, s4
	s_cselect_b64 s[2:3], -1, 0
	s_cmp_lt_u32 s1, s7
	s_cselect_b64 s[26:27], -1, 0
	s_or_b64 s[26:27], s[26:27], s[2:3]
	s_mov_b64 s[2:3], -1
	s_and_b64 vcc, exec, s[26:27]
	s_mov_b32 s1, s24
	s_mov_b32 s25, s6
	s_cbranch_vccnz .LBB36_14
; %bb.13:
	s_add_i32 s1, s24, -1
	s_mov_b64 s[2:3], 0
	s_mov_b32 s25, s4
.LBB36_14:
	v_lshl_add_u32 v4, s24, 13, v6
	v_ashrrev_i32_e32 v5, 31, v4
	v_lshl_add_u64 v[4:5], v[4:5], 2, s[16:17]
	global_load_dword v5, v[4:5], off
	s_load_dwordx2 s[4:5], s[8:9], 0x0
	v_max_f32_e32 v4, v9, v9
	s_waitcnt lgkmcnt(0)
	v_max_f32_e64 v10, s4, s4
	v_max_f32_e32 v10, v4, v10
	v_sub_f32_e32 v11, v9, v10
	v_sub_f32_e32 v13, s4, v10
	v_mul_f32_e32 v4, 0x3fb8aa3b, v11
	v_mul_f32_e32 v12, 0x3fb8aa3b, v13
	v_fma_f32 v14, v11, s10, -v4
	v_rndne_f32_e32 v15, v4
	v_fma_f32 v16, v13, s10, -v12
	v_rndne_f32_e32 v17, v12
	v_fmac_f32_e32 v14, 0x32a5705f, v11
	v_sub_f32_e32 v4, v4, v15
	v_fmac_f32_e32 v16, 0x32a5705f, v13
	v_sub_f32_e32 v12, v12, v17
	v_add_f32_e32 v4, v4, v14
	v_cvt_i32_f32_e32 v15, v15
	v_add_f32_e32 v12, v12, v16
	v_exp_f32_e32 v14, v4
	v_cvt_i32_f32_e32 v17, v17
	v_exp_f32_e32 v12, v12
	v_cmp_ngt_f32_e32 vcc, s20, v11
	v_ldexp_f32 v14, v14, v15
	v_mov_b32_e32 v4, s5
	v_ldexp_f32 v12, v12, v17
	v_cndmask_b32_e32 v14, 0, v14, vcc
	v_cmp_ngt_f32_e32 vcc, s20, v13
	s_nop 1
	v_cndmask_b32_e32 v12, 0, v12, vcc
	v_cmp_nlt_f32_e32 vcc, s21, v11
	s_nop 1
	v_cndmask_b32_e32 v14, v8, v14, vcc
	v_cmp_nlt_f32_e32 vcc, s21, v13
	s_nop 1
	v_cndmask_b32_e32 v15, v8, v12, vcc
	v_cmp_le_f32_e32 vcc, s23, v11
	s_nop 1
	v_cndmask_b32_e32 v12, 0, v14, vcc
	v_cmp_le_f32_e32 vcc, s23, v13
	s_nop 1
	v_cndmask_b32_e32 v14, 0, v15, vcc
	s_waitcnt vmcnt(0)
	v_pk_mul_f32 v[4:5], v[4:5], v[14:15] op_sel_hi:[1,0]
	s_nop 0
	v_pk_fma_f32 v[4:5], v[0:1], v[12:13], v[4:5] op_sel_hi:[1,0,1]
	s_cbranch_execz .LBB36_16
	s_branch .LBB36_17
.LBB36_15:
                                        ; implicit-def: $vgpr4_vgpr5
                                        ; implicit-def: $sgpr2_sgpr3
                                        ; implicit-def: $vgpr10
                                        ; implicit-def: $sgpr1
                                        ; implicit-def: $sgpr25
.LBB36_16:
	s_add_i32 s1, s24, -1
	s_mov_b64 s[2:3], 0
	s_mov_b32 s25, s6
	v_mov_b32_e32 v10, v9
	s_waitcnt vmcnt(0)
	v_mov_b64_e32 v[4:5], v[0:1]
.LBB36_17:
	s_andn2_b64 vcc, exec, s[2:3]
	s_cbranch_vccz .LBB36_22
; %bb.18:
	s_mov_b32 s6, s25
	s_mov_b32 s24, s1
	v_mov_b32_e32 v9, v10
	s_waitcnt vmcnt(0)
	v_mov_b64_e32 v[0:1], v[4:5]
	s_mul_hi_i32 s1, s24, s11
	s_cmp_lg_u64 s[0:1], 0
	s_mul_i32 s8, s24, s11
	s_cbranch_scc1 .LBB36_9
.LBB36_19:
                                        ; implicit-def: $sgpr4_sgpr5
	s_branch .LBB36_10
.LBB36_20:
                                        ; implicit-def: $sgpr6_sgpr7
	s_load_dwordx4 s[12:15], s[0:1], 0x44
	s_branch .LBB36_2
.LBB36_21:
                                        ; implicit-def: $sgpr18_sgpr19
	s_branch .LBB36_5
.LBB36_22:
	v_div_scale_f32 v0, s[0:1], v4, v4, v5
	s_waitcnt vmcnt(0)
	v_rcp_f32_e32 v1, v0
	v_div_scale_f32 v6, vcc, v5, v4, v5
	v_fma_f32 v7, -v0, v1, 1.0
	v_fmac_f32_e32 v1, v7, v1
	v_mul_f32_e32 v7, v6, v1
	v_fma_f32 v8, -v0, v7, v6
	v_fmac_f32_e32 v7, v8, v1
	v_fma_f32 v0, -v0, v7, v6
	v_div_fmas_f32 v0, v0, v1, v7
	v_div_fixup_f32 v0, v0, v4, v5
	global_store_dword v[2:3], v0, off
.LBB36_23:
	s_endpgm
	.section	.rodata,"a",@progbits
	.p2align	6, 0x0
	.amdhsa_kernel _ZL33flash_attn_stream_k_fixup_generalILi128ELi32ELi2EEvPfPK15HIP_vector_typeIfLj2EEiiiiS1_IjLj3EES5_S5_S5_
		.amdhsa_group_segment_fixed_size 0
		.amdhsa_private_segment_fixed_size 0
		.amdhsa_kernarg_size 336
		.amdhsa_user_sgpr_count 2
		.amdhsa_user_sgpr_dispatch_ptr 0
		.amdhsa_user_sgpr_queue_ptr 0
		.amdhsa_user_sgpr_kernarg_segment_ptr 1
		.amdhsa_user_sgpr_dispatch_id 0
		.amdhsa_user_sgpr_kernarg_preload_length 0
		.amdhsa_user_sgpr_kernarg_preload_offset 0
		.amdhsa_user_sgpr_private_segment_size 0
		.amdhsa_uses_dynamic_stack 0
		.amdhsa_enable_private_segment 0
		.amdhsa_system_sgpr_workgroup_id_x 1
		.amdhsa_system_sgpr_workgroup_id_y 1
		.amdhsa_system_sgpr_workgroup_id_z 1
		.amdhsa_system_sgpr_workgroup_info 0
		.amdhsa_system_vgpr_workitem_id 0
		.amdhsa_next_free_vgpr 18
		.amdhsa_next_free_sgpr 36
		.amdhsa_accum_offset 20
		.amdhsa_reserve_vcc 1
		.amdhsa_float_round_mode_32 0
		.amdhsa_float_round_mode_16_64 0
		.amdhsa_float_denorm_mode_32 3
		.amdhsa_float_denorm_mode_16_64 3
		.amdhsa_dx10_clamp 1
		.amdhsa_ieee_mode 1
		.amdhsa_fp16_overflow 0
		.amdhsa_tg_split 0
		.amdhsa_exception_fp_ieee_invalid_op 0
		.amdhsa_exception_fp_denorm_src 0
		.amdhsa_exception_fp_ieee_div_zero 0
		.amdhsa_exception_fp_ieee_overflow 0
		.amdhsa_exception_fp_ieee_underflow 0
		.amdhsa_exception_fp_ieee_inexact 0
		.amdhsa_exception_int_div_zero 0
	.end_amdhsa_kernel
	.section	.text._ZL33flash_attn_stream_k_fixup_generalILi128ELi32ELi2EEvPfPK15HIP_vector_typeIfLj2EEiiiiS1_IjLj3EES5_S5_S5_,"axG",@progbits,_ZL33flash_attn_stream_k_fixup_generalILi128ELi32ELi2EEvPfPK15HIP_vector_typeIfLj2EEiiiiS1_IjLj3EES5_S5_S5_,comdat
.Lfunc_end36:
	.size	_ZL33flash_attn_stream_k_fixup_generalILi128ELi32ELi2EEvPfPK15HIP_vector_typeIfLj2EEiiiiS1_IjLj3EES5_S5_S5_, .Lfunc_end36-_ZL33flash_attn_stream_k_fixup_generalILi128ELi32ELi2EEvPfPK15HIP_vector_typeIfLj2EEiiiiS1_IjLj3EES5_S5_S5_
                                        ; -- End function
	.set _ZL33flash_attn_stream_k_fixup_generalILi128ELi32ELi2EEvPfPK15HIP_vector_typeIfLj2EEiiiiS1_IjLj3EES5_S5_S5_.num_vgpr, 18
	.set _ZL33flash_attn_stream_k_fixup_generalILi128ELi32ELi2EEvPfPK15HIP_vector_typeIfLj2EEiiiiS1_IjLj3EES5_S5_S5_.num_agpr, 0
	.set _ZL33flash_attn_stream_k_fixup_generalILi128ELi32ELi2EEvPfPK15HIP_vector_typeIfLj2EEiiiiS1_IjLj3EES5_S5_S5_.numbered_sgpr, 36
	.set _ZL33flash_attn_stream_k_fixup_generalILi128ELi32ELi2EEvPfPK15HIP_vector_typeIfLj2EEiiiiS1_IjLj3EES5_S5_S5_.num_named_barrier, 0
	.set _ZL33flash_attn_stream_k_fixup_generalILi128ELi32ELi2EEvPfPK15HIP_vector_typeIfLj2EEiiiiS1_IjLj3EES5_S5_S5_.private_seg_size, 0
	.set _ZL33flash_attn_stream_k_fixup_generalILi128ELi32ELi2EEvPfPK15HIP_vector_typeIfLj2EEiiiiS1_IjLj3EES5_S5_S5_.uses_vcc, 1
	.set _ZL33flash_attn_stream_k_fixup_generalILi128ELi32ELi2EEvPfPK15HIP_vector_typeIfLj2EEiiiiS1_IjLj3EES5_S5_S5_.uses_flat_scratch, 0
	.set _ZL33flash_attn_stream_k_fixup_generalILi128ELi32ELi2EEvPfPK15HIP_vector_typeIfLj2EEiiiiS1_IjLj3EES5_S5_S5_.has_dyn_sized_stack, 0
	.set _ZL33flash_attn_stream_k_fixup_generalILi128ELi32ELi2EEvPfPK15HIP_vector_typeIfLj2EEiiiiS1_IjLj3EES5_S5_S5_.has_recursion, 0
	.set _ZL33flash_attn_stream_k_fixup_generalILi128ELi32ELi2EEvPfPK15HIP_vector_typeIfLj2EEiiiiS1_IjLj3EES5_S5_S5_.has_indirect_call, 0
	.section	.AMDGPU.csdata,"",@progbits
; Kernel info:
; codeLenInByte = 2940
; TotalNumSgprs: 42
; NumVgprs: 18
; NumAgprs: 0
; TotalNumVgprs: 18
; ScratchSize: 0
; MemoryBound: 0
; FloatMode: 240
; IeeeMode: 1
; LDSByteSize: 0 bytes/workgroup (compile time only)
; SGPRBlocks: 5
; VGPRBlocks: 2
; NumSGPRsForWavesPerEU: 42
; NumVGPRsForWavesPerEU: 18
; AccumOffset: 20
; Occupancy: 8
; WaveLimiterHint : 0
; COMPUTE_PGM_RSRC2:SCRATCH_EN: 0
; COMPUTE_PGM_RSRC2:USER_SGPR: 2
; COMPUTE_PGM_RSRC2:TRAP_HANDLER: 0
; COMPUTE_PGM_RSRC2:TGID_X_EN: 1
; COMPUTE_PGM_RSRC2:TGID_Y_EN: 1
; COMPUTE_PGM_RSRC2:TGID_Z_EN: 1
; COMPUTE_PGM_RSRC2:TIDIG_COMP_CNT: 0
; COMPUTE_PGM_RSRC3_GFX90A:ACCUM_OFFSET: 4
; COMPUTE_PGM_RSRC3_GFX90A:TG_SPLIT: 0
	.section	.text._ZL15flash_attn_tileILi128ELi128ELi16ELi2ELb0EEvPKcS1_S1_S1_S1_PKiPfP15HIP_vector_typeIfLj2EEffffjfiS5_IjLj3EEiiiiiiiiiiiliiliiiiil,"axG",@progbits,_ZL15flash_attn_tileILi128ELi128ELi16ELi2ELb0EEvPKcS1_S1_S1_S1_PKiPfP15HIP_vector_typeIfLj2EEffffjfiS5_IjLj3EEiiiiiiiiiiiliiliiiiil,comdat
	.globl	_ZL15flash_attn_tileILi128ELi128ELi16ELi2ELb0EEvPKcS1_S1_S1_S1_PKiPfP15HIP_vector_typeIfLj2EEffffjfiS5_IjLj3EEiiiiiiiiiiiliiliiiiil ; -- Begin function _ZL15flash_attn_tileILi128ELi128ELi16ELi2ELb0EEvPKcS1_S1_S1_S1_PKiPfP15HIP_vector_typeIfLj2EEffffjfiS5_IjLj3EEiiiiiiiiiiiliiliiiiil
	.p2align	8
	.type	_ZL15flash_attn_tileILi128ELi128ELi16ELi2ELb0EEvPKcS1_S1_S1_S1_PKiPfP15HIP_vector_typeIfLj2EEffffjfiS5_IjLj3EEiiiiiiiiiiiliiliiiiil,@function
_ZL15flash_attn_tileILi128ELi128ELi16ELi2ELb0EEvPKcS1_S1_S1_S1_PKiPfP15HIP_vector_typeIfLj2EEffffjfiS5_IjLj3EEiiiiiiiiiiiliiliiiiil: ; @_ZL15flash_attn_tileILi128ELi128ELi16ELi2ELb0EEvPKcS1_S1_S1_S1_PKiPfP15HIP_vector_typeIfLj2EEffffjfiS5_IjLj3EEiiiiiiiiiiiliiliiiiil
; %bb.0:
	s_load_dwordx4 s[28:31], s[0:1], 0x5c
	s_load_dwordx2 s[36:37], s[0:1], 0x80
	s_load_dwordx16 s[12:27], s[0:1], 0x0
	s_mov_b64 s[38:39], 0
	s_waitcnt lgkmcnt(0)
	s_lshr_b32 s5, s31, 31
	s_add_i32 s5, s31, s5
	s_ashr_i32 s5, s5, 1
	v_cvt_f32_u32_e32 v1, s5
	s_sub_i32 s6, 0, s5
	v_rcp_iflag_f32_e32 v1, v1
	s_nop 0
	v_mul_f32_e32 v1, 0x4f7ffffe, v1
	v_cvt_u32_f32_e32 v1, v1
	s_nop 0
	v_readfirstlane_b32 s7, v1
	s_mul_i32 s6, s6, s7
	s_mul_hi_u32 s6, s7, s6
	s_add_i32 s7, s7, s6
	s_mul_hi_u32 s6, s4, s7
	s_mul_i32 s7, s6, s5
	s_sub_i32 s7, s4, s7
	s_add_i32 s8, s6, 1
	s_sub_i32 s9, s7, s5
	s_cmp_ge_u32 s7, s5
	s_cselect_b32 s6, s8, s6
	s_cselect_b32 s7, s9, s7
	s_add_i32 s8, s6, 1
	s_cmp_ge_u32 s7, s5
	s_cselect_b32 s33, s8, s6
	s_abs_i32 s5, s37
	v_cvt_f32_u32_e32 v1, s5
	s_lshl_b32 s4, s4, 1
	s_mul_i32 s8, s33, s31
	s_sub_i32 s9, 0, s5
	v_rcp_iflag_f32_e32 v1, v1
	s_sub_i32 s34, s4, s8
	s_abs_i32 s7, s31
	s_xor_b32 s6, s31, s37
	v_mul_f32_e32 v1, 0x4f7ffffe, v1
	v_cvt_u32_f32_e32 v1, v1
	s_ashr_i32 s6, s6, 31
	v_readfirstlane_b32 s4, v1
	s_mul_i32 s9, s9, s4
	s_mul_hi_u32 s8, s4, s9
	s_add_i32 s4, s4, s8
	s_mul_hi_u32 s4, s7, s4
	s_mul_i32 s8, s4, s5
	s_sub_i32 s7, s7, s8
	s_add_i32 s9, s4, 1
	s_sub_i32 s8, s7, s5
	s_cmp_ge_u32 s7, s5
	s_cselect_b32 s4, s9, s4
	s_cselect_b32 s7, s8, s7
	s_add_i32 s8, s4, 1
	s_cmp_ge_u32 s7, s5
	s_cselect_b32 s4, s8, s4
	s_xor_b32 s4, s4, s6
	s_sub_i32 s11, s4, s6
	s_abs_i32 s10, s11
	v_cvt_f32_u32_e32 v1, s10
	s_load_dwordx2 s[8:9], s[0:1], 0xb8
	s_cmp_eq_u64 s[18:19], 0
	v_rcp_iflag_f32_e32 v1, v1
	s_nop 0
	v_mul_f32_e32 v1, 0x4f7ffffe, v1
	v_cvt_u32_f32_e32 v1, v1
	s_nop 0
	v_readfirstlane_b32 s35, v1
	s_cbranch_scc1 .LBB37_2
; %bb.1:
	s_waitcnt lgkmcnt(0)
	s_abs_i32 s6, s8
	v_cvt_f32_u32_e32 v1, s6
	s_sub_i32 s37, 0, s6
	s_abs_i32 s8, s33
	s_ashr_i32 s7, s33, 31
	v_rcp_iflag_f32_e32 v1, v1
	s_load_dwordx2 s[4:5], s[0:1], 0xc8
	v_mul_f32_e32 v1, 0x4f7ffffe, v1
	v_cvt_u32_f32_e32 v1, v1
	s_nop 0
	v_readfirstlane_b32 s38, v1
	s_mul_i32 s37, s37, s38
	s_mul_hi_u32 s37, s38, s37
	s_add_i32 s38, s38, s37
	s_mul_hi_u32 s37, s8, s38
	s_mul_i32 s37, s37, s6
	s_sub_i32 s8, s8, s37
	s_sub_i32 s37, s8, s6
	s_cmp_ge_u32 s8, s6
	s_cselect_b32 s8, s37, s8
	s_sub_i32 s37, s8, s6
	s_cmp_ge_u32 s8, s6
	s_cselect_b32 s6, s37, s8
	s_xor_b32 s6, s6, s7
	s_sub_i32 s6, s6, s7
	s_ashr_i32 s7, s6, 31
	s_waitcnt lgkmcnt(0)
	s_mul_hi_u32 s8, s4, s6
	s_mul_i32 s7, s4, s7
	s_mul_i32 s5, s5, s6
	s_add_i32 s7, s8, s7
	s_add_i32 s7, s7, s5
	s_mul_i32 s4, s4, s6
	s_add_u32 s38, s18, s4
	s_addc_u32 s39, s19, s7
.LBB37_2:
	s_load_dwordx4 s[4:7], s[0:1], 0x70
	v_bfe_u32 v1, v0, 10, 10
	s_lshl_b32 s37, s2, 4
	v_lshlrev_b32_e32 v48, 1, v1
	v_lshlrev_b32_e32 v2, 2, v1
	s_waitcnt lgkmcnt(0)
	s_mul_i32 s6, s33, s6
	s_ashr_i32 s8, s6, 31
	v_add_u32_e32 v51, s37, v48
	s_mul_i32 s7, s34, s5
	s_add_u32 s6, s12, s6
	v_and_b32_e32 v49, 0x3ff, v0
	v_mul_hi_u32 v0, v51, s28
	v_or_b32_e32 v22, 2, v2
	s_addc_u32 s8, s13, s8
	s_ashr_i32 s13, s7, 31
	v_add_u32_e32 v0, v51, v0
	v_lshrrev_b32_e32 v46, 1, v22
	s_add_u32 s12, s6, s7
	v_lshrrev_b32_e32 v0, s29, v0
	v_add_u32_e32 v47, s37, v46
	s_addc_u32 s13, s8, s13
	s_ashr_i32 s19, s4, 31
	s_mov_b32 s18, s4
	v_mul_lo_u32 v0, v0, s30
	v_mul_hi_u32 v3, v47, s28
	s_lshr_b64 s[6:7], s[18:19], 2
	v_sub_u32_e32 v0, v51, v0
	v_add_u32_e32 v3, v47, v3
	v_mad_u64_u32 v[4:5], s[40:41], s6, v0, 0
	v_lshrrev_b32_e32 v3, s29, v3
	v_mov_b32_e32 v6, v5
	s_lshr_b32 s40, s19, 2
	v_mul_lo_u32 v3, v3, s30
	s_ashr_i32 s8, s5, 31
	v_mad_u64_u32 v[6:7], s[18:19], s40, v0, v[6:7]
	s_and_b32 s4, s5, -4
	v_sub_u32_e32 v3, v47, v3
	v_or_b32_e32 v23, 3, v2
	v_mov_b32_e32 v5, v6
	s_add_u32 s4, s12, s4
	v_mad_u64_u32 v[12:13], s[18:19], s6, v3, 0
	v_lshrrev_b32_e32 v44, 1, v23
	v_lshlrev_b64 v[8:9], 2, v[4:5]
	s_addc_u32 s5, s13, s8
	v_mov_b32_e32 v14, v13
	v_add_u32_e32 v45, s37, v44
	v_lshl_add_u64 v[4:5], s[12:13], 0, v[8:9]
	v_lshlrev_b32_e32 v16, 4, v49
	v_mov_b32_e32 v17, 0
	v_lshl_add_u64 v[8:9], s[4:5], 0, v[8:9]
	v_mad_u64_u32 v[14:15], s[18:19], s40, v3, v[14:15]
	v_mul_hi_u32 v3, v45, s28
	v_lshl_add_u64 v[4:5], v[4:5], 0, v[16:17]
	v_lshl_add_u64 v[8:9], v[8:9], 0, v[16:17]
	v_add_u32_e32 v3, v45, v3
	global_load_dwordx4 v[4:7], v[4:5], off
	v_lshrrev_b32_e32 v3, s29, v3
	global_load_dwordx4 v[8:11], v[8:9], off
	v_mov_b32_e32 v13, v14
	v_mul_lo_u32 v3, v3, s30
	v_lshl_add_u64 v[12:13], v[12:13], 2, s[12:13]
	v_sub_u32_e32 v3, v45, v3
	v_lshl_add_u64 v[12:13], v[12:13], 0, v[16:17]
	v_mad_u64_u32 v[18:19], s[6:7], s6, v3, 0
	global_load_dwordx4 v[12:15], v[12:13], off
	v_mov_b32_e32 v20, v19
	v_mad_u64_u32 v[20:21], s[6:7], s40, v3, v[20:21]
	v_mov_b32_e32 v19, v20
	v_lshl_add_u64 v[18:19], v[18:19], 2, s[4:5]
	v_lshl_add_u64 v[16:17], v[18:19], 0, v[16:17]
	global_load_dwordx4 v[16:19], v[16:17], off
	s_load_dword s4, s[0:1], 0x40
	v_lshlrev_b32_e32 v52, 3, v49
	v_lshlrev_b32_e32 v3, 10, v1
	v_add_u32_e32 v20, 0x2400, v52
	v_add_u32_e32 v21, v20, v3
	s_cmp_eq_u64 s[22:23], 0
	s_waitcnt vmcnt(3) lgkmcnt(0)
	v_fma_mixlo_f16 v4, s4, v4, 0
	v_fma_mixlo_f16 v5, s4, v5, 0
	;; [unrolled: 1-line block ×4, first 2 shown]
	s_waitcnt vmcnt(2)
	v_fma_mixlo_f16 v8, s4, v8, 0
	v_fma_mixlo_f16 v9, s4, v9, 0
	;; [unrolled: 1-line block ×4, first 2 shown]
	v_lshlrev_b32_e32 v5, 16, v5
	v_and_b32_e32 v4, 0xffff, v4
	v_lshlrev_b32_e32 v7, 16, v7
	v_and_b32_e32 v6, 0xffff, v6
	;; [unrolled: 2-line block ×4, first 2 shown]
	v_or_b32_e32 v4, v5, v4
	v_or3_b32 v5, v7, v6, 0
	v_or_b32_e32 v6, v9, v8
	v_or3_b32 v7, v11, v10, 0
	v_or3_b32 v4, 0, 0, v4
	;; [unrolled: 1-line block ×3, first 2 shown]
	ds_write2_b64 v21, v[4:5], v[6:7] offset1:32
	s_waitcnt vmcnt(1)
	v_fma_mixlo_f16 v4, s4, v12, 0
	v_fma_mixlo_f16 v5, s4, v13, 0
	v_lshlrev_b32_e32 v5, 16, v5
	v_and_b32_e32 v4, 0xffff, v4
	v_or_b32_e32 v4, v5, v4
	v_fma_mixlo_f16 v5, s4, v14, 0
	v_fma_mixlo_f16 v6, s4, v15, 0
	v_lshlrev_b32_e32 v6, 16, v6
	v_and_b32_e32 v5, 0xffff, v5
	v_lshl_add_u32 v7, v22, 8, v20
	v_or3_b32 v5, v6, v5, 0
	v_or3_b32 v4, 0, 0, v4
	ds_write_b64 v7, v[4:5]
	s_waitcnt vmcnt(0)
	v_fma_mixlo_f16 v4, s4, v16, 0
	v_fma_mixlo_f16 v5, s4, v17, 0
	v_lshlrev_b32_e32 v5, 16, v5
	v_and_b32_e32 v4, 0xffff, v4
	v_or_b32_e32 v4, v5, v4
	v_fma_mixlo_f16 v5, s4, v18, 0
	v_fma_mixlo_f16 v6, s4, v19, 0
	v_lshlrev_b32_e32 v6, 16, v6
	v_and_b32_e32 v5, 0xffff, v5
	v_lshl_add_u32 v7, v23, 8, v20
	v_or3_b32 v5, v6, v5, 0
	v_or3_b32 v4, 0, 0, v4
	ds_write_b64 v7, v[4:5]
	s_waitcnt lgkmcnt(0)
	s_barrier
	s_cbranch_scc1 .LBB37_4
; %bb.3:
	s_load_dword s4, s[0:1], 0xd0
	s_mov_b32 s5, 0
	s_waitcnt lgkmcnt(0)
	s_mul_i32 s4, s4, s33
	s_add_i32 s4, s4, s2
	s_lshl_b64 s[4:5], s[4:5], 2
	s_add_u32 s4, s22, s4
	s_addc_u32 s5, s23, s5
	s_load_dword s36, s[4:5], 0x0
.LBB37_4:
	s_lshl_b32 s2, s3, 6
	s_waitcnt lgkmcnt(0)
	s_cmp_lt_i32 s2, s36
	v_mbcnt_lo_u32_b32 v4, -1, 0
	s_cbranch_scc1 .LBB37_7
; %bb.5:
	v_mbcnt_hi_u32_b32 v53, -1, v4
	v_and_b32_e32 v5, 0x60, v53
	v_add_u32_e32 v54, 32, v5
	v_xor_b32_e32 v57, 16, v53
	v_xor_b32_e32 v58, 8, v53
	;; [unrolled: 1-line block ×5, first 2 shown]
	v_lshlrev_b32_e32 v50, 2, v49
	s_cbranch_execz .LBB37_8
; %bb.6:
	v_mov_b32_e32 v21, 0
	v_mov_b32_e32 v80, 0
	;; [unrolled: 1-line block ×16, first 2 shown]
	s_branch .LBB37_10
.LBB37_7:
                                        ; implicit-def: $vgpr53
                                        ; implicit-def: $vgpr54
                                        ; implicit-def: $vgpr57
                                        ; implicit-def: $vgpr58
                                        ; implicit-def: $vgpr59
                                        ; implicit-def: $vgpr56
                                        ; implicit-def: $vgpr55
	v_lshlrev_b32_e32 v50, 2, v49
.LBB37_8:
	s_sub_i32 s4, 0, s10
	s_mul_i32 s4, s4, s35
	s_mul_hi_u32 s4, s35, s4
	s_add_i32 s35, s35, s4
	s_load_dwordx2 s[12:13], s[0:1], 0x8c
	s_load_dwordx4 s[4:7], s[0:1], 0x98
	s_abs_i32 s8, s34
	s_ashr_i32 s40, s34, 31
	s_ashr_i32 s11, s11, 31
	s_waitcnt lgkmcnt(0)
	s_ashr_i32 s23, s12, 2
	s_ashr_i32 s22, s6, 2
	;; [unrolled: 1-line block ×4, first 2 shown]
	s_mul_hi_u32 s12, s4, s33
	s_mul_i32 s41, s4, s9
	s_add_i32 s12, s12, s41
	s_mul_i32 s5, s5, s33
	s_add_i32 s12, s12, s5
	s_mul_i32 s4, s4, s33
	s_mul_hi_u32 s35, s8, s35
	s_add_u32 s4, s14, s4
	s_addc_u32 s5, s15, s12
	s_mul_i32 s12, s35, s10
	s_sub_i32 s8, s8, s12
	s_xor_b32 s11, s40, s11
	s_add_i32 s12, s35, 1
	s_sub_i32 s14, s8, s10
	s_cmp_ge_u32 s8, s10
	s_cselect_b32 s12, s12, s35
	s_cselect_b32 s8, s14, s8
	s_add_i32 s14, s12, 1
	s_cmp_ge_u32 s8, s10
	s_cselect_b32 s8, s14, s12
	s_load_dwordx2 s[18:19], s[0:1], 0xa8
	s_xor_b32 s8, s8, s11
	s_sub_i32 s8, s8, s11
	s_mul_i32 s10, s8, s13
	s_ashr_i32 s11, s10, 31
	v_mul_lo_u32 v64, v0, s6
	v_add3_u32 v0, s37, v48, 1
	s_add_u32 s35, s4, s10
	v_add_u32_e32 v62, 0x2400, v3
	v_mul_hi_u32 v3, s28, v0
	s_addc_u32 s40, s5, s11
	s_waitcnt lgkmcnt(0)
	s_mul_hi_u32 s4, s18, s33
	s_mul_i32 s5, s18, s9
	v_add_u32_e32 v3, v0, v3
	s_add_i32 s4, s4, s5
	s_mul_i32 s5, s19, s33
	v_lshrrev_b32_e32 v3, s29, v3
	s_add_i32 s4, s4, s5
	s_mul_i32 s5, s18, s33
	v_mul_lo_u32 v3, v3, s30
	s_add_u32 s5, s16, s5
	s_mul_i32 s8, s8, s7
	v_sub_u32_e32 v0, v0, v3
	s_addc_u32 s4, s17, s4
	s_ashr_i32 s7, s8, 31
	v_lshrrev_b32_e32 v5, 3, v49
	v_mul_lo_u32 v65, v0, s6
	v_mov_b32_e32 v0, 0x4400
	s_add_u32 s41, s5, s8
	v_add_u32_e32 v5, v5, v2
	v_and_b32_e32 v2, 28, v50
	v_lshl_add_u32 v66, v1, 9, v0
	v_lshrrev_b32_e32 v0, 4, v49
	s_addc_u32 s42, s4, s7
	v_lshlrev_b32_e32 v6, 2, v2
	s_movk_i32 s4, 0x90
	v_add_u32_e32 v0, v0, v48
	v_mad_u32_u24 v60, v5, s4, v6
	v_and_b32_e32 v6, 60, v50
	v_mul_lo_u32 v8, s22, v0
	v_mul_lo_u32 v26, s23, v5
	v_lshlrev_b32_e32 v1, 2, v6
	v_lshl_add_u32 v10, s22, 4, v8
	v_mbcnt_hi_u32_b32 v53, -1, v4
	v_mov_b32_e32 v25, 0
	v_lshl_add_u32 v28, s23, 5, v26
	v_lshl_or_b32 v67, v0, 8, v1
	v_ashrrev_i32_e32 v9, 31, v8
	v_ashrrev_i32_e32 v11, 31, v10
	s_add_u32 s18, s0, 0xd0
	v_and_b32_e32 v1, 0x60, v53
	v_ashrrev_i32_e32 v27, 31, v26
	v_add_u32_e32 v61, 0x1200, v60
	v_ashrrev_i32_e32 v29, 31, v28
	v_mul_u32_u24_e32 v63, 0x90, v49
	v_add_u32_e32 v68, 0x1000, v67
	s_addc_u32 s19, s1, 0
	v_mov_b32_e32 v0, 0xfeffffff
	v_lshlrev_b32_e32 v24, 2, v2
	v_add_u32_e32 v54, 32, v1
	v_xor_b32_e32 v57, 16, v53
	v_xor_b32_e32 v58, 8, v53
	;; [unrolled: 1-line block ×5, first 2 shown]
	s_mov_b32 s28, 0x3fb8aa3b
	s_mov_b32 s29, 0xc2ce8ed0
	;; [unrolled: 1-line block ×3, first 2 shown]
	v_mov_b32_e32 v69, 0x7f800000
	s_mov_b32 s44, 0x10001
	v_add_u32_e32 v70, v66, v52
	v_lshlrev_b64 v[30:31], 2, v[8:9]
	v_lshlrev_b32_e32 v32, 2, v6
	v_mov_b32_e32 v33, v25
	v_lshlrev_b64 v[34:35], 2, v[10:11]
	v_add_u32_e32 v71, 0x800, v52
	v_add_u32_e32 v72, 0x1000, v52
	;; [unrolled: 1-line block ×3, first 2 shown]
	v_mov_b32_e32 v74, v25
	v_mov_b32_e32 v75, v25
	;; [unrolled: 1-line block ×15, first 2 shown]
.LBB37_9:                               ; =>This Inner Loop Header: Depth=1
	v_cmp_lt_i32_e64 s[4:5], v57, v54
	s_mul_hi_i32 s7, s2, s23
	s_mul_i32 s6, s2, s23
	v_cndmask_b32_e64 v41, v53, v57, s[4:5]
	v_cmp_lt_i32_e64 s[4:5], v58, v54
	v_mov_b32_e32 v90, v1
	v_mov_b32_e32 v91, v0
	v_cndmask_b32_e64 v42, v53, v58, s[4:5]
	v_cmp_lt_i32_e64 s[4:5], v59, v54
	v_mov_b32_e32 v92, v3
	v_mov_b32_e32 v93, v2
	v_cndmask_b32_e64 v43, v53, v59, s[4:5]
	v_cmp_lt_i32_e64 s[4:5], v56, v54
	v_mov_b32_e32 v82, 0
	v_mov_b32_e32 v83, 0
	v_cndmask_b32_e64 v94, v53, v56, s[4:5]
	s_lshl_b64 s[4:5], s[6:7], 2
	s_add_u32 s4, s35, s4
	s_addc_u32 s5, s40, s5
	v_lshl_add_u64 v[0:1], v[26:27], 2, s[4:5]
	v_lshl_add_u64 v[2:3], v[28:29], 2, s[4:5]
	;; [unrolled: 1-line block ×4, first 2 shown]
	global_load_dwordx4 v[0:3], v[36:37], off
	global_load_dwordx4 v[4:7], v[38:39], off
	v_mov_b32_e32 v84, 0
	v_mov_b32_e32 v85, 0
	v_mov_b32_e32 v86, 0
	v_mov_b32_e32 v87, 0
	v_mov_b32_e32 v88, 0
	v_mov_b32_e32 v89, 0
	v_add_u32_e32 v40, s2, v49
	v_lshlrev_b32_e32 v100, 2, v41
	v_lshlrev_b32_e32 v101, 2, v42
	;; [unrolled: 1-line block ×3, first 2 shown]
	s_mul_hi_i32 s5, s2, s22
	s_mul_i32 s4, s2, s22
	s_lshl_b64 s[4:5], s[4:5], 2
	s_add_u32 s4, s41, s4
	s_addc_u32 s5, s42, s5
	v_lshlrev_b32_e32 v94, 2, v94
	v_cmp_lt_i32_e32 vcc, v55, v54
	s_waitcnt vmcnt(1)
	ds_write_b128 v60, v[0:3]
	s_waitcnt vmcnt(0)
	ds_write_b128 v61, v[4:7]
	s_waitcnt lgkmcnt(0)
	s_barrier
	ds_read_b128 v[0:3], v62
	ds_read_b128 v[4:7], v63
	ds_read_b128 v[8:11], v63 offset:4608
	ds_read_b128 v[12:15], v62 offset:256
	;; [unrolled: 1-line block ×4, first 2 shown]
	s_waitcnt lgkmcnt(4)
	;;#ASMSTART
	v_dot2_f32_f16 v82, v4, v0, v82
	;;#ASMEND
	v_cndmask_b32_e32 v95, v53, v55, vcc
	;;#ASMSTART
	v_dot2_f32_f16 v82, v5, v1, v82
	;;#ASMEND
	v_lshlrev_b32_e32 v95, 2, v95
	;;#ASMSTART
	v_dot2_f32_f16 v82, v6, v2, v82
	;;#ASMEND
	s_nop 0
	;;#ASMSTART
	v_dot2_f32_f16 v82, v7, v3, v82
	;;#ASMEND
	s_waitcnt lgkmcnt(2)
	;;#ASMSTART
	v_dot2_f32_f16 v83, v4, v12, v83
	;;#ASMEND
	s_nop 0
	;;#ASMSTART
	v_dot2_f32_f16 v83, v5, v13, v83
	;;#ASMEND
	s_nop 0
	;;#ASMSTART
	v_dot2_f32_f16 v83, v6, v14, v83
	;;#ASMEND
	s_nop 0
	;;#ASMSTART
	v_dot2_f32_f16 v83, v7, v15, v83
	;;#ASMEND
	s_waitcnt lgkmcnt(1)
	;;#ASMSTART
	v_dot2_f32_f16 v84, v4, v16, v84
	;;#ASMEND
	s_nop 0
	;;#ASMSTART
	v_dot2_f32_f16 v84, v5, v17, v84
	;;#ASMEND
	s_nop 0
	;; [unrolled: 16-line block ×3, first 2 shown]
	;;#ASMSTART
	v_dot2_f32_f16 v85, v6, v98, v85
	;;#ASMEND
	s_nop 0
	;;#ASMSTART
	v_dot2_f32_f16 v85, v7, v99, v85
	;;#ASMEND
	;;#ASMSTART
	v_dot2_f32_f16 v86, v8, v0, v86
	;;#ASMEND
	s_nop 0
	;;#ASMSTART
	v_dot2_f32_f16 v86, v9, v1, v86
	;;#ASMEND
	s_nop 0
	;;#ASMSTART
	v_dot2_f32_f16 v86, v10, v2, v86
	;;#ASMEND
	s_nop 0
	;;#ASMSTART
	v_dot2_f32_f16 v86, v11, v3, v86
	;;#ASMEND
	;;#ASMSTART
	v_dot2_f32_f16 v87, v8, v12, v87
	;;#ASMEND
	s_nop 0
	;;#ASMSTART
	v_dot2_f32_f16 v87, v9, v13, v87
	;;#ASMEND
	s_nop 0
	;; [unrolled: 15-line block ×4, first 2 shown]
	;;#ASMSTART
	v_dot2_f32_f16 v89, v10, v98, v89
	;;#ASMEND
	s_nop 0
	;;#ASMSTART
	v_dot2_f32_f16 v89, v11, v99, v89
	;;#ASMEND
	ds_read_b128 v[0:3], v62 offset:16
	ds_read_b128 v[4:7], v63 offset:16
	;; [unrolled: 1-line block ×6, first 2 shown]
	s_waitcnt lgkmcnt(4)
	;;#ASMSTART
	v_dot2_f32_f16 v82, v4, v0, v82
	;;#ASMEND
	s_nop 0
	;;#ASMSTART
	v_dot2_f32_f16 v82, v5, v1, v82
	;;#ASMEND
	s_nop 0
	;;#ASMSTART
	v_dot2_f32_f16 v82, v6, v2, v82
	;;#ASMEND
	s_nop 0
	;;#ASMSTART
	v_dot2_f32_f16 v82, v7, v3, v82
	;;#ASMEND
	s_waitcnt lgkmcnt(2)
	;;#ASMSTART
	v_dot2_f32_f16 v83, v4, v12, v83
	;;#ASMEND
	s_nop 0
	;;#ASMSTART
	v_dot2_f32_f16 v83, v5, v13, v83
	;;#ASMEND
	s_nop 0
	;;#ASMSTART
	v_dot2_f32_f16 v83, v6, v14, v83
	;;#ASMEND
	s_nop 0
	;;#ASMSTART
	v_dot2_f32_f16 v83, v7, v15, v83
	;;#ASMEND
	;; [unrolled: 16-line block ×4, first 2 shown]
	;;#ASMSTART
	v_dot2_f32_f16 v86, v8, v0, v86
	;;#ASMEND
	s_nop 0
	;;#ASMSTART
	v_dot2_f32_f16 v86, v9, v1, v86
	;;#ASMEND
	s_nop 0
	;;#ASMSTART
	v_dot2_f32_f16 v86, v10, v2, v86
	;;#ASMEND
	s_nop 0
	;;#ASMSTART
	v_dot2_f32_f16 v86, v11, v3, v86
	;;#ASMEND
	;;#ASMSTART
	v_dot2_f32_f16 v87, v8, v12, v87
	;;#ASMEND
	s_nop 0
	;;#ASMSTART
	v_dot2_f32_f16 v87, v9, v13, v87
	;;#ASMEND
	s_nop 0
	;;#ASMSTART
	v_dot2_f32_f16 v87, v10, v14, v87
	;;#ASMEND
	s_nop 0
	;;#ASMSTART
	v_dot2_f32_f16 v87, v11, v15, v87
	;;#ASMEND
	;; [unrolled: 15-line block ×4, first 2 shown]
	ds_read_b128 v[0:3], v62 offset:32
	ds_read_b128 v[4:7], v63 offset:32
	;; [unrolled: 1-line block ×6, first 2 shown]
	s_waitcnt lgkmcnt(4)
	;;#ASMSTART
	v_dot2_f32_f16 v82, v4, v0, v82
	;;#ASMEND
	s_nop 0
	;;#ASMSTART
	v_dot2_f32_f16 v82, v5, v1, v82
	;;#ASMEND
	s_nop 0
	;;#ASMSTART
	v_dot2_f32_f16 v82, v6, v2, v82
	;;#ASMEND
	s_nop 0
	;;#ASMSTART
	v_dot2_f32_f16 v82, v7, v3, v82
	;;#ASMEND
	s_waitcnt lgkmcnt(2)
	;;#ASMSTART
	v_dot2_f32_f16 v83, v4, v12, v83
	;;#ASMEND
	s_nop 0
	;;#ASMSTART
	v_dot2_f32_f16 v83, v5, v13, v83
	;;#ASMEND
	s_nop 0
	;;#ASMSTART
	v_dot2_f32_f16 v83, v6, v14, v83
	;;#ASMEND
	s_nop 0
	;;#ASMSTART
	v_dot2_f32_f16 v83, v7, v15, v83
	;;#ASMEND
	;; [unrolled: 16-line block ×4, first 2 shown]
	;;#ASMSTART
	v_dot2_f32_f16 v86, v8, v0, v86
	;;#ASMEND
	s_nop 0
	;;#ASMSTART
	v_dot2_f32_f16 v86, v9, v1, v86
	;;#ASMEND
	s_nop 0
	;;#ASMSTART
	v_dot2_f32_f16 v86, v10, v2, v86
	;;#ASMEND
	s_nop 0
	;;#ASMSTART
	v_dot2_f32_f16 v86, v11, v3, v86
	;;#ASMEND
	;;#ASMSTART
	v_dot2_f32_f16 v87, v8, v12, v87
	;;#ASMEND
	s_nop 0
	;;#ASMSTART
	v_dot2_f32_f16 v87, v9, v13, v87
	;;#ASMEND
	s_nop 0
	;;#ASMSTART
	v_dot2_f32_f16 v87, v10, v14, v87
	;;#ASMEND
	s_nop 0
	;;#ASMSTART
	v_dot2_f32_f16 v87, v11, v15, v87
	;;#ASMEND
	;;#ASMSTART
	v_dot2_f32_f16 v88, v8, v16, v88
	;;#ASMEND
	s_nop 0
	;;#ASMSTART
	v_dot2_f32_f16 v88, v9, v17, v88
	;;#ASMEND
	s_nop 0
	;;#ASMSTART
	v_dot2_f32_f16 v88, v10, v18, v88
	;;#ASMEND
	s_nop 0
	;;#ASMSTART
	v_dot2_f32_f16 v88, v11, v19, v88
	;;#ASMEND
	;;#ASMSTART
	v_dot2_f32_f16 v89, v8, v96, v89
	;;#ASMEND
	s_nop 0
	;;#ASMSTART
	v_dot2_f32_f16 v89, v9, v97, v89
	;;#ASMEND
	s_nop 0
	;;#ASMSTART
	v_dot2_f32_f16 v89, v10, v98, v89
	;;#ASMEND
	s_nop 0
	;;#ASMSTART
	v_dot2_f32_f16 v89, v11, v99, v89
	;;#ASMEND
	ds_read_b128 v[0:3], v62 offset:48
	ds_read_b128 v[4:7], v63 offset:48
	;; [unrolled: 1-line block ×6, first 2 shown]
	s_waitcnt lgkmcnt(4)
	;;#ASMSTART
	v_dot2_f32_f16 v82, v4, v0, v82
	;;#ASMEND
	s_nop 0
	;;#ASMSTART
	v_dot2_f32_f16 v82, v5, v1, v82
	;;#ASMEND
	s_nop 0
	;;#ASMSTART
	v_dot2_f32_f16 v82, v6, v2, v82
	;;#ASMEND
	s_nop 0
	;;#ASMSTART
	v_dot2_f32_f16 v82, v7, v3, v82
	;;#ASMEND
	s_waitcnt lgkmcnt(2)
	;;#ASMSTART
	v_dot2_f32_f16 v83, v4, v12, v83
	;;#ASMEND
	s_nop 0
	;;#ASMSTART
	v_dot2_f32_f16 v83, v5, v13, v83
	;;#ASMEND
	s_nop 0
	;;#ASMSTART
	v_dot2_f32_f16 v83, v6, v14, v83
	;;#ASMEND
	s_nop 0
	;;#ASMSTART
	v_dot2_f32_f16 v83, v7, v15, v83
	;;#ASMEND
	s_waitcnt lgkmcnt(1)
	;;#ASMSTART
	v_dot2_f32_f16 v84, v4, v16, v84
	;;#ASMEND
	s_nop 0
	;;#ASMSTART
	v_dot2_f32_f16 v84, v5, v17, v84
	;;#ASMEND
	s_nop 0
	;;#ASMSTART
	v_dot2_f32_f16 v84, v6, v18, v84
	;;#ASMEND
	s_nop 0
	;;#ASMSTART
	v_dot2_f32_f16 v84, v7, v19, v84
	;;#ASMEND
	s_waitcnt lgkmcnt(0)
	;;#ASMSTART
	v_dot2_f32_f16 v85, v4, v96, v85
	;;#ASMEND
	s_nop 0
	;;#ASMSTART
	v_dot2_f32_f16 v85, v5, v97, v85
	;;#ASMEND
	s_nop 0
	;;#ASMSTART
	v_dot2_f32_f16 v85, v6, v98, v85
	;;#ASMEND
	s_nop 0
	;;#ASMSTART
	v_dot2_f32_f16 v85, v7, v99, v85
	;;#ASMEND
	;;#ASMSTART
	v_dot2_f32_f16 v86, v8, v0, v86
	;;#ASMEND
	s_nop 0
	;;#ASMSTART
	v_dot2_f32_f16 v86, v9, v1, v86
	;;#ASMEND
	s_nop 0
	;;#ASMSTART
	v_dot2_f32_f16 v86, v10, v2, v86
	;;#ASMEND
	s_nop 0
	;;#ASMSTART
	v_dot2_f32_f16 v86, v11, v3, v86
	;;#ASMEND
	;;#ASMSTART
	v_dot2_f32_f16 v87, v8, v12, v87
	;;#ASMEND
	s_nop 0
	;;#ASMSTART
	v_dot2_f32_f16 v87, v9, v13, v87
	;;#ASMEND
	s_nop 0
	;;#ASMSTART
	v_dot2_f32_f16 v87, v10, v14, v87
	;;#ASMEND
	s_nop 0
	;;#ASMSTART
	v_dot2_f32_f16 v87, v11, v15, v87
	;;#ASMEND
	;; [unrolled: 15-line block ×4, first 2 shown]
	ds_read_b128 v[0:3], v62 offset:64
	ds_read_b128 v[4:7], v63 offset:64
	;; [unrolled: 1-line block ×6, first 2 shown]
	s_waitcnt lgkmcnt(4)
	;;#ASMSTART
	v_dot2_f32_f16 v82, v4, v0, v82
	;;#ASMEND
	s_nop 0
	;;#ASMSTART
	v_dot2_f32_f16 v82, v5, v1, v82
	;;#ASMEND
	s_nop 0
	;;#ASMSTART
	v_dot2_f32_f16 v82, v6, v2, v82
	;;#ASMEND
	s_nop 0
	;;#ASMSTART
	v_dot2_f32_f16 v82, v7, v3, v82
	;;#ASMEND
	s_waitcnt lgkmcnt(2)
	;;#ASMSTART
	v_dot2_f32_f16 v83, v4, v12, v83
	;;#ASMEND
	s_nop 0
	;;#ASMSTART
	v_dot2_f32_f16 v83, v5, v13, v83
	;;#ASMEND
	s_nop 0
	;;#ASMSTART
	v_dot2_f32_f16 v83, v6, v14, v83
	;;#ASMEND
	s_nop 0
	;;#ASMSTART
	v_dot2_f32_f16 v83, v7, v15, v83
	;;#ASMEND
	;; [unrolled: 16-line block ×4, first 2 shown]
	;;#ASMSTART
	v_dot2_f32_f16 v86, v8, v0, v86
	;;#ASMEND
	s_nop 0
	;;#ASMSTART
	v_dot2_f32_f16 v86, v9, v1, v86
	;;#ASMEND
	s_nop 0
	;;#ASMSTART
	v_dot2_f32_f16 v86, v10, v2, v86
	;;#ASMEND
	s_nop 0
	;;#ASMSTART
	v_dot2_f32_f16 v86, v11, v3, v86
	;;#ASMEND
	;;#ASMSTART
	v_dot2_f32_f16 v87, v8, v12, v87
	;;#ASMEND
	s_nop 0
	;;#ASMSTART
	v_dot2_f32_f16 v87, v9, v13, v87
	;;#ASMEND
	s_nop 0
	;;#ASMSTART
	v_dot2_f32_f16 v87, v10, v14, v87
	;;#ASMEND
	s_nop 0
	;;#ASMSTART
	v_dot2_f32_f16 v87, v11, v15, v87
	;;#ASMEND
	;; [unrolled: 15-line block ×4, first 2 shown]
	ds_read_b128 v[0:3], v62 offset:80
	ds_read_b128 v[4:7], v63 offset:80
	;; [unrolled: 1-line block ×6, first 2 shown]
	s_waitcnt lgkmcnt(4)
	;;#ASMSTART
	v_dot2_f32_f16 v82, v4, v0, v82
	;;#ASMEND
	s_nop 0
	;;#ASMSTART
	v_dot2_f32_f16 v82, v5, v1, v82
	;;#ASMEND
	s_nop 0
	;;#ASMSTART
	v_dot2_f32_f16 v82, v6, v2, v82
	;;#ASMEND
	s_nop 0
	;;#ASMSTART
	v_dot2_f32_f16 v82, v7, v3, v82
	;;#ASMEND
	s_waitcnt lgkmcnt(2)
	;;#ASMSTART
	v_dot2_f32_f16 v83, v4, v12, v83
	;;#ASMEND
	s_nop 0
	;;#ASMSTART
	v_dot2_f32_f16 v83, v5, v13, v83
	;;#ASMEND
	s_nop 0
	;;#ASMSTART
	v_dot2_f32_f16 v83, v6, v14, v83
	;;#ASMEND
	s_nop 0
	;;#ASMSTART
	v_dot2_f32_f16 v83, v7, v15, v83
	;;#ASMEND
	;; [unrolled: 16-line block ×4, first 2 shown]
	;;#ASMSTART
	v_dot2_f32_f16 v86, v8, v0, v86
	;;#ASMEND
	s_nop 0
	;;#ASMSTART
	v_dot2_f32_f16 v86, v9, v1, v86
	;;#ASMEND
	s_nop 0
	;;#ASMSTART
	v_dot2_f32_f16 v86, v10, v2, v86
	;;#ASMEND
	s_nop 0
	;;#ASMSTART
	v_dot2_f32_f16 v86, v11, v3, v86
	;;#ASMEND
	;;#ASMSTART
	v_dot2_f32_f16 v87, v8, v12, v87
	;;#ASMEND
	s_nop 0
	;;#ASMSTART
	v_dot2_f32_f16 v87, v9, v13, v87
	;;#ASMEND
	s_nop 0
	;;#ASMSTART
	v_dot2_f32_f16 v87, v10, v14, v87
	;;#ASMEND
	s_nop 0
	;;#ASMSTART
	v_dot2_f32_f16 v87, v11, v15, v87
	;;#ASMEND
	;;#ASMSTART
	v_dot2_f32_f16 v88, v8, v16, v88
	;;#ASMEND
	s_nop 0
	;;#ASMSTART
	v_dot2_f32_f16 v88, v9, v17, v88
	;;#ASMEND
	s_nop 0
	;;#ASMSTART
	v_dot2_f32_f16 v88, v10, v18, v88
	;;#ASMEND
	s_nop 0
	;;#ASMSTART
	v_dot2_f32_f16 v88, v11, v19, v88
	;;#ASMEND
	;;#ASMSTART
	v_dot2_f32_f16 v89, v8, v96, v89
	;;#ASMEND
	s_nop 0
	;;#ASMSTART
	v_dot2_f32_f16 v89, v9, v97, v89
	;;#ASMEND
	s_nop 0
	;;#ASMSTART
	v_dot2_f32_f16 v89, v10, v98, v89
	;;#ASMEND
	s_nop 0
	;;#ASMSTART
	v_dot2_f32_f16 v89, v11, v99, v89
	;;#ASMEND
	ds_read_b128 v[0:3], v62 offset:96
	ds_read_b128 v[4:7], v63 offset:96
	;; [unrolled: 1-line block ×6, first 2 shown]
	s_waitcnt lgkmcnt(4)
	;;#ASMSTART
	v_dot2_f32_f16 v82, v4, v0, v82
	;;#ASMEND
	s_nop 0
	;;#ASMSTART
	v_dot2_f32_f16 v82, v5, v1, v82
	;;#ASMEND
	s_nop 0
	;;#ASMSTART
	v_dot2_f32_f16 v82, v6, v2, v82
	;;#ASMEND
	s_nop 0
	;;#ASMSTART
	v_dot2_f32_f16 v82, v7, v3, v82
	;;#ASMEND
	s_waitcnt lgkmcnt(2)
	;;#ASMSTART
	v_dot2_f32_f16 v83, v4, v12, v83
	;;#ASMEND
	s_nop 0
	;;#ASMSTART
	v_dot2_f32_f16 v83, v5, v13, v83
	;;#ASMEND
	s_nop 0
	;;#ASMSTART
	v_dot2_f32_f16 v83, v6, v14, v83
	;;#ASMEND
	s_nop 0
	;;#ASMSTART
	v_dot2_f32_f16 v83, v7, v15, v83
	;;#ASMEND
	;; [unrolled: 16-line block ×4, first 2 shown]
	;;#ASMSTART
	v_dot2_f32_f16 v86, v8, v0, v86
	;;#ASMEND
	s_nop 0
	;;#ASMSTART
	v_dot2_f32_f16 v86, v9, v1, v86
	;;#ASMEND
	s_nop 0
	;;#ASMSTART
	v_dot2_f32_f16 v86, v10, v2, v86
	;;#ASMEND
	s_nop 0
	;;#ASMSTART
	v_dot2_f32_f16 v86, v11, v3, v86
	;;#ASMEND
	;;#ASMSTART
	v_dot2_f32_f16 v87, v8, v12, v87
	;;#ASMEND
	s_nop 0
	;;#ASMSTART
	v_dot2_f32_f16 v87, v9, v13, v87
	;;#ASMEND
	s_nop 0
	;;#ASMSTART
	v_dot2_f32_f16 v87, v10, v14, v87
	;;#ASMEND
	s_nop 0
	;;#ASMSTART
	v_dot2_f32_f16 v87, v11, v15, v87
	;;#ASMEND
	;; [unrolled: 15-line block ×4, first 2 shown]
	ds_read_b128 v[16:19], v62 offset:112
	ds_read_b128 v[96:99], v63 offset:112
	;; [unrolled: 1-line block ×6, first 2 shown]
	s_waitcnt lgkmcnt(4)
	;;#ASMSTART
	v_dot2_f32_f16 v82, v96, v16, v82
	;;#ASMEND
	s_nop 0
	;;#ASMSTART
	v_dot2_f32_f16 v82, v97, v17, v82
	;;#ASMEND
	s_nop 0
	;;#ASMSTART
	v_dot2_f32_f16 v82, v98, v18, v82
	;;#ASMEND
	s_nop 0
	;;#ASMSTART
	v_dot2_f32_f16 v82, v99, v19, v82
	;;#ASMEND
	s_waitcnt lgkmcnt(2)
	;;#ASMSTART
	v_dot2_f32_f16 v83, v96, v12, v83
	;;#ASMEND
	s_nop 0
	;;#ASMSTART
	v_dot2_f32_f16 v83, v97, v13, v83
	;;#ASMEND
	s_nop 0
	;;#ASMSTART
	v_dot2_f32_f16 v83, v98, v14, v83
	;;#ASMEND
	s_nop 0
	;;#ASMSTART
	v_dot2_f32_f16 v83, v99, v15, v83
	;;#ASMEND
	;; [unrolled: 16-line block ×3, first 2 shown]
	s_waitcnt lgkmcnt(0)
	;;#ASMSTART
	v_dot2_f32_f16 v85, v96, v4, v85
	;;#ASMEND
	v_add_u32_e32 v96, v40, v64
	;;#ASMSTART
	v_dot2_f32_f16 v85, v97, v5, v85
	;;#ASMEND
	v_ashrrev_i32_e32 v97, 31, v96
	;;#ASMSTART
	v_dot2_f32_f16 v85, v98, v6, v85
	;;#ASMEND
	v_add_u32_e32 v98, v40, v65
	;;#ASMSTART
	v_dot2_f32_f16 v85, v99, v7, v85
	;;#ASMEND
	;;#ASMSTART
	v_dot2_f32_f16 v86, v0, v16, v86
	;;#ASMEND
	v_ashrrev_i32_e32 v99, 31, v98
	;;#ASMSTART
	v_dot2_f32_f16 v86, v1, v17, v86
	;;#ASMEND
	v_lshl_add_u64 v[40:41], v[96:97], 1, s[38:39]
	;;#ASMSTART
	v_dot2_f32_f16 v86, v2, v18, v86
	;;#ASMEND
	v_lshl_add_u64 v[42:43], v[98:99], 1, s[38:39]
	;;#ASMSTART
	v_dot2_f32_f16 v86, v3, v19, v86
	;;#ASMEND
	;;#ASMSTART
	v_dot2_f32_f16 v87, v0, v12, v87
	;;#ASMEND
	s_nop 0
	;;#ASMSTART
	v_dot2_f32_f16 v87, v1, v13, v87
	;;#ASMEND
	s_nop 0
	;;#ASMSTART
	v_dot2_f32_f16 v87, v2, v14, v87
	;;#ASMEND
	s_nop 0
	;;#ASMSTART
	v_dot2_f32_f16 v87, v3, v15, v87
	;;#ASMEND
	;;#ASMSTART
	v_dot2_f32_f16 v88, v0, v8, v88
	;;#ASMEND
	s_nop 0
	;;#ASMSTART
	v_dot2_f32_f16 v88, v1, v9, v88
	;;#ASMEND
	s_nop 0
	;;#ASMSTART
	v_dot2_f32_f16 v88, v2, v10, v88
	;;#ASMEND
	s_nop 0
	;; [unrolled: 15-line block ×3, first 2 shown]
	;;#ASMSTART
	v_dot2_f32_f16 v89, v3, v7, v89
	;;#ASMEND
	s_barrier
	global_load_dwordx4 v[0:3], v[36:37], off offset:128
	global_load_dwordx4 v[4:7], v[38:39], off offset:128
	s_waitcnt vmcnt(1)
	ds_write_b128 v60, v[0:3]
	s_waitcnt vmcnt(0)
	ds_write_b128 v61, v[4:7]
	s_waitcnt lgkmcnt(0)
	s_barrier
	ds_read_b128 v[0:3], v62 offset:128
	ds_read_b128 v[4:7], v63
	ds_read_b128 v[8:11], v63 offset:4608
	ds_read_b128 v[12:15], v62 offset:384
	;; [unrolled: 1-line block ×4, first 2 shown]
	s_waitcnt lgkmcnt(4)
	;;#ASMSTART
	v_dot2_f32_f16 v82, v4, v0, v82
	;;#ASMEND
	s_nop 0
	;;#ASMSTART
	v_dot2_f32_f16 v82, v5, v1, v82
	;;#ASMEND
	s_nop 0
	;;#ASMSTART
	v_dot2_f32_f16 v82, v6, v2, v82
	;;#ASMEND
	s_nop 0
	;;#ASMSTART
	v_dot2_f32_f16 v82, v7, v3, v82
	;;#ASMEND
	s_waitcnt lgkmcnt(2)
	;;#ASMSTART
	v_dot2_f32_f16 v83, v4, v12, v83
	;;#ASMEND
	s_nop 0
	;;#ASMSTART
	v_dot2_f32_f16 v83, v5, v13, v83
	;;#ASMEND
	s_nop 0
	;;#ASMSTART
	v_dot2_f32_f16 v83, v6, v14, v83
	;;#ASMEND
	s_nop 0
	;;#ASMSTART
	v_dot2_f32_f16 v83, v7, v15, v83
	;;#ASMEND
	;; [unrolled: 16-line block ×4, first 2 shown]
	;;#ASMSTART
	v_dot2_f32_f16 v86, v8, v0, v86
	;;#ASMEND
	s_nop 0
	;;#ASMSTART
	v_dot2_f32_f16 v86, v9, v1, v86
	;;#ASMEND
	s_nop 0
	;;#ASMSTART
	v_dot2_f32_f16 v86, v10, v2, v86
	;;#ASMEND
	s_nop 0
	;;#ASMSTART
	v_dot2_f32_f16 v86, v11, v3, v86
	;;#ASMEND
	;;#ASMSTART
	v_dot2_f32_f16 v87, v8, v12, v87
	;;#ASMEND
	s_nop 0
	;;#ASMSTART
	v_dot2_f32_f16 v87, v9, v13, v87
	;;#ASMEND
	s_nop 0
	;;#ASMSTART
	v_dot2_f32_f16 v87, v10, v14, v87
	;;#ASMEND
	s_nop 0
	;;#ASMSTART
	v_dot2_f32_f16 v87, v11, v15, v87
	;;#ASMEND
	;; [unrolled: 15-line block ×4, first 2 shown]
	ds_read_b128 v[0:3], v62 offset:144
	ds_read_b128 v[4:7], v63 offset:16
	;; [unrolled: 1-line block ×6, first 2 shown]
	s_waitcnt lgkmcnt(4)
	;;#ASMSTART
	v_dot2_f32_f16 v82, v4, v0, v82
	;;#ASMEND
	s_nop 0
	;;#ASMSTART
	v_dot2_f32_f16 v82, v5, v1, v82
	;;#ASMEND
	s_nop 0
	;;#ASMSTART
	v_dot2_f32_f16 v82, v6, v2, v82
	;;#ASMEND
	s_nop 0
	;;#ASMSTART
	v_dot2_f32_f16 v82, v7, v3, v82
	;;#ASMEND
	s_waitcnt lgkmcnt(2)
	;;#ASMSTART
	v_dot2_f32_f16 v83, v4, v12, v83
	;;#ASMEND
	s_nop 0
	;;#ASMSTART
	v_dot2_f32_f16 v83, v5, v13, v83
	;;#ASMEND
	s_nop 0
	;;#ASMSTART
	v_dot2_f32_f16 v83, v6, v14, v83
	;;#ASMEND
	s_nop 0
	;;#ASMSTART
	v_dot2_f32_f16 v83, v7, v15, v83
	;;#ASMEND
	;; [unrolled: 16-line block ×4, first 2 shown]
	;;#ASMSTART
	v_dot2_f32_f16 v86, v8, v0, v86
	;;#ASMEND
	s_nop 0
	;;#ASMSTART
	v_dot2_f32_f16 v86, v9, v1, v86
	;;#ASMEND
	s_nop 0
	;;#ASMSTART
	v_dot2_f32_f16 v86, v10, v2, v86
	;;#ASMEND
	s_nop 0
	;;#ASMSTART
	v_dot2_f32_f16 v86, v11, v3, v86
	;;#ASMEND
	;;#ASMSTART
	v_dot2_f32_f16 v87, v8, v12, v87
	;;#ASMEND
	s_nop 0
	;;#ASMSTART
	v_dot2_f32_f16 v87, v9, v13, v87
	;;#ASMEND
	s_nop 0
	;;#ASMSTART
	v_dot2_f32_f16 v87, v10, v14, v87
	;;#ASMEND
	s_nop 0
	;;#ASMSTART
	v_dot2_f32_f16 v87, v11, v15, v87
	;;#ASMEND
	;; [unrolled: 15-line block ×4, first 2 shown]
	ds_read_b128 v[0:3], v62 offset:160
	ds_read_b128 v[4:7], v63 offset:32
	;; [unrolled: 1-line block ×6, first 2 shown]
	s_waitcnt lgkmcnt(4)
	;;#ASMSTART
	v_dot2_f32_f16 v82, v4, v0, v82
	;;#ASMEND
	s_nop 0
	;;#ASMSTART
	v_dot2_f32_f16 v82, v5, v1, v82
	;;#ASMEND
	s_nop 0
	;;#ASMSTART
	v_dot2_f32_f16 v82, v6, v2, v82
	;;#ASMEND
	s_nop 0
	;;#ASMSTART
	v_dot2_f32_f16 v82, v7, v3, v82
	;;#ASMEND
	s_waitcnt lgkmcnt(2)
	;;#ASMSTART
	v_dot2_f32_f16 v83, v4, v12, v83
	;;#ASMEND
	s_nop 0
	;;#ASMSTART
	v_dot2_f32_f16 v83, v5, v13, v83
	;;#ASMEND
	s_nop 0
	;;#ASMSTART
	v_dot2_f32_f16 v83, v6, v14, v83
	;;#ASMEND
	s_nop 0
	;;#ASMSTART
	v_dot2_f32_f16 v83, v7, v15, v83
	;;#ASMEND
	;; [unrolled: 16-line block ×4, first 2 shown]
	;;#ASMSTART
	v_dot2_f32_f16 v86, v8, v0, v86
	;;#ASMEND
	s_nop 0
	;;#ASMSTART
	v_dot2_f32_f16 v86, v9, v1, v86
	;;#ASMEND
	s_nop 0
	;;#ASMSTART
	v_dot2_f32_f16 v86, v10, v2, v86
	;;#ASMEND
	s_nop 0
	;;#ASMSTART
	v_dot2_f32_f16 v86, v11, v3, v86
	;;#ASMEND
	;;#ASMSTART
	v_dot2_f32_f16 v87, v8, v12, v87
	;;#ASMEND
	s_nop 0
	;;#ASMSTART
	v_dot2_f32_f16 v87, v9, v13, v87
	;;#ASMEND
	s_nop 0
	;;#ASMSTART
	v_dot2_f32_f16 v87, v10, v14, v87
	;;#ASMEND
	s_nop 0
	;;#ASMSTART
	v_dot2_f32_f16 v87, v11, v15, v87
	;;#ASMEND
	;; [unrolled: 15-line block ×4, first 2 shown]
	ds_read_b128 v[0:3], v62 offset:176
	ds_read_b128 v[4:7], v63 offset:48
	;; [unrolled: 1-line block ×6, first 2 shown]
	s_waitcnt lgkmcnt(4)
	;;#ASMSTART
	v_dot2_f32_f16 v82, v4, v0, v82
	;;#ASMEND
	s_nop 0
	;;#ASMSTART
	v_dot2_f32_f16 v82, v5, v1, v82
	;;#ASMEND
	s_nop 0
	;;#ASMSTART
	v_dot2_f32_f16 v82, v6, v2, v82
	;;#ASMEND
	s_nop 0
	;;#ASMSTART
	v_dot2_f32_f16 v82, v7, v3, v82
	;;#ASMEND
	s_waitcnt lgkmcnt(2)
	;;#ASMSTART
	v_dot2_f32_f16 v83, v4, v12, v83
	;;#ASMEND
	s_nop 0
	;;#ASMSTART
	v_dot2_f32_f16 v83, v5, v13, v83
	;;#ASMEND
	s_nop 0
	;;#ASMSTART
	v_dot2_f32_f16 v83, v6, v14, v83
	;;#ASMEND
	s_nop 0
	;;#ASMSTART
	v_dot2_f32_f16 v83, v7, v15, v83
	;;#ASMEND
	;; [unrolled: 16-line block ×4, first 2 shown]
	;;#ASMSTART
	v_dot2_f32_f16 v86, v8, v0, v86
	;;#ASMEND
	s_nop 0
	;;#ASMSTART
	v_dot2_f32_f16 v86, v9, v1, v86
	;;#ASMEND
	s_nop 0
	;;#ASMSTART
	v_dot2_f32_f16 v86, v10, v2, v86
	;;#ASMEND
	s_nop 0
	;;#ASMSTART
	v_dot2_f32_f16 v86, v11, v3, v86
	;;#ASMEND
	;;#ASMSTART
	v_dot2_f32_f16 v87, v8, v12, v87
	;;#ASMEND
	s_nop 0
	;;#ASMSTART
	v_dot2_f32_f16 v87, v9, v13, v87
	;;#ASMEND
	s_nop 0
	;;#ASMSTART
	v_dot2_f32_f16 v87, v10, v14, v87
	;;#ASMEND
	s_nop 0
	;;#ASMSTART
	v_dot2_f32_f16 v87, v11, v15, v87
	;;#ASMEND
	;; [unrolled: 15-line block ×4, first 2 shown]
	ds_read_b128 v[0:3], v62 offset:192
	ds_read_b128 v[4:7], v63 offset:64
	;; [unrolled: 1-line block ×6, first 2 shown]
	s_waitcnt lgkmcnt(4)
	;;#ASMSTART
	v_dot2_f32_f16 v82, v4, v0, v82
	;;#ASMEND
	s_nop 0
	;;#ASMSTART
	v_dot2_f32_f16 v82, v5, v1, v82
	;;#ASMEND
	s_nop 0
	;;#ASMSTART
	v_dot2_f32_f16 v82, v6, v2, v82
	;;#ASMEND
	s_nop 0
	;;#ASMSTART
	v_dot2_f32_f16 v82, v7, v3, v82
	;;#ASMEND
	s_waitcnt lgkmcnt(2)
	;;#ASMSTART
	v_dot2_f32_f16 v83, v4, v12, v83
	;;#ASMEND
	s_nop 0
	;;#ASMSTART
	v_dot2_f32_f16 v83, v5, v13, v83
	;;#ASMEND
	s_nop 0
	;;#ASMSTART
	v_dot2_f32_f16 v83, v6, v14, v83
	;;#ASMEND
	s_nop 0
	;;#ASMSTART
	v_dot2_f32_f16 v83, v7, v15, v83
	;;#ASMEND
	;; [unrolled: 16-line block ×4, first 2 shown]
	;;#ASMSTART
	v_dot2_f32_f16 v86, v8, v0, v86
	;;#ASMEND
	s_nop 0
	;;#ASMSTART
	v_dot2_f32_f16 v86, v9, v1, v86
	;;#ASMEND
	s_nop 0
	;;#ASMSTART
	v_dot2_f32_f16 v86, v10, v2, v86
	;;#ASMEND
	s_nop 0
	;;#ASMSTART
	v_dot2_f32_f16 v86, v11, v3, v86
	;;#ASMEND
	;;#ASMSTART
	v_dot2_f32_f16 v87, v8, v12, v87
	;;#ASMEND
	s_nop 0
	;;#ASMSTART
	v_dot2_f32_f16 v87, v9, v13, v87
	;;#ASMEND
	s_nop 0
	;;#ASMSTART
	v_dot2_f32_f16 v87, v10, v14, v87
	;;#ASMEND
	s_nop 0
	;;#ASMSTART
	v_dot2_f32_f16 v87, v11, v15, v87
	;;#ASMEND
	;; [unrolled: 15-line block ×4, first 2 shown]
	ds_read_b128 v[0:3], v62 offset:208
	ds_read_b128 v[4:7], v63 offset:80
	;; [unrolled: 1-line block ×6, first 2 shown]
	s_waitcnt lgkmcnt(4)
	;;#ASMSTART
	v_dot2_f32_f16 v82, v4, v0, v82
	;;#ASMEND
	s_nop 0
	;;#ASMSTART
	v_dot2_f32_f16 v82, v5, v1, v82
	;;#ASMEND
	s_nop 0
	;;#ASMSTART
	v_dot2_f32_f16 v82, v6, v2, v82
	;;#ASMEND
	s_nop 0
	;;#ASMSTART
	v_dot2_f32_f16 v82, v7, v3, v82
	;;#ASMEND
	s_waitcnt lgkmcnt(2)
	;;#ASMSTART
	v_dot2_f32_f16 v83, v4, v12, v83
	;;#ASMEND
	s_nop 0
	;;#ASMSTART
	v_dot2_f32_f16 v83, v5, v13, v83
	;;#ASMEND
	s_nop 0
	;;#ASMSTART
	v_dot2_f32_f16 v83, v6, v14, v83
	;;#ASMEND
	s_nop 0
	;;#ASMSTART
	v_dot2_f32_f16 v83, v7, v15, v83
	;;#ASMEND
	;; [unrolled: 16-line block ×4, first 2 shown]
	;;#ASMSTART
	v_dot2_f32_f16 v86, v8, v0, v86
	;;#ASMEND
	s_nop 0
	;;#ASMSTART
	v_dot2_f32_f16 v86, v9, v1, v86
	;;#ASMEND
	s_nop 0
	;;#ASMSTART
	v_dot2_f32_f16 v86, v10, v2, v86
	;;#ASMEND
	s_nop 0
	;;#ASMSTART
	v_dot2_f32_f16 v86, v11, v3, v86
	;;#ASMEND
	;;#ASMSTART
	v_dot2_f32_f16 v87, v8, v12, v87
	;;#ASMEND
	s_nop 0
	;;#ASMSTART
	v_dot2_f32_f16 v87, v9, v13, v87
	;;#ASMEND
	s_nop 0
	;;#ASMSTART
	v_dot2_f32_f16 v87, v10, v14, v87
	;;#ASMEND
	s_nop 0
	;;#ASMSTART
	v_dot2_f32_f16 v87, v11, v15, v87
	;;#ASMEND
	;; [unrolled: 15-line block ×4, first 2 shown]
	ds_read_b128 v[0:3], v62 offset:224
	ds_read_b128 v[4:7], v63 offset:96
	;; [unrolled: 1-line block ×6, first 2 shown]
	s_waitcnt lgkmcnt(4)
	;;#ASMSTART
	v_dot2_f32_f16 v82, v4, v0, v82
	;;#ASMEND
	s_nop 0
	;;#ASMSTART
	v_dot2_f32_f16 v82, v5, v1, v82
	;;#ASMEND
	s_nop 0
	;;#ASMSTART
	v_dot2_f32_f16 v82, v6, v2, v82
	;;#ASMEND
	s_nop 0
	;;#ASMSTART
	v_dot2_f32_f16 v82, v7, v3, v82
	;;#ASMEND
	s_waitcnt lgkmcnt(2)
	;;#ASMSTART
	v_dot2_f32_f16 v83, v4, v12, v83
	;;#ASMEND
	s_nop 0
	;;#ASMSTART
	v_dot2_f32_f16 v83, v5, v13, v83
	;;#ASMEND
	s_nop 0
	;;#ASMSTART
	v_dot2_f32_f16 v83, v6, v14, v83
	;;#ASMEND
	s_nop 0
	;;#ASMSTART
	v_dot2_f32_f16 v83, v7, v15, v83
	;;#ASMEND
	;; [unrolled: 16-line block ×4, first 2 shown]
	;;#ASMSTART
	v_dot2_f32_f16 v86, v8, v0, v86
	;;#ASMEND
	s_nop 0
	;;#ASMSTART
	v_dot2_f32_f16 v86, v9, v1, v86
	;;#ASMEND
	s_nop 0
	;;#ASMSTART
	v_dot2_f32_f16 v86, v10, v2, v86
	;;#ASMEND
	s_nop 0
	;;#ASMSTART
	v_dot2_f32_f16 v86, v11, v3, v86
	;;#ASMEND
	;;#ASMSTART
	v_dot2_f32_f16 v87, v8, v12, v87
	;;#ASMEND
	s_nop 0
	;;#ASMSTART
	v_dot2_f32_f16 v87, v9, v13, v87
	;;#ASMEND
	s_nop 0
	;;#ASMSTART
	v_dot2_f32_f16 v87, v10, v14, v87
	;;#ASMEND
	s_nop 0
	;;#ASMSTART
	v_dot2_f32_f16 v87, v11, v15, v87
	;;#ASMEND
	;; [unrolled: 15-line block ×4, first 2 shown]
	ds_read_b128 v[0:3], v62 offset:240
	ds_read_b128 v[4:7], v63 offset:112
	ds_read_b128 v[8:11], v63 offset:4720
	ds_read_b128 v[12:15], v62 offset:496
	ds_read_b128 v[16:19], v62 offset:752
	ds_read_b128 v[36:39], v62 offset:1008
	s_waitcnt lgkmcnt(4)
	;;#ASMSTART
	v_dot2_f32_f16 v82, v4, v0, v82
	;;#ASMEND
	s_nop 0
	;;#ASMSTART
	v_dot2_f32_f16 v82, v5, v1, v82
	;;#ASMEND
	s_nop 0
	;;#ASMSTART
	v_dot2_f32_f16 v82, v6, v2, v82
	;;#ASMEND
	s_nop 0
	;;#ASMSTART
	v_dot2_f32_f16 v82, v7, v3, v82
	;;#ASMEND
	s_waitcnt lgkmcnt(2)
	;;#ASMSTART
	v_dot2_f32_f16 v83, v4, v12, v83
	;;#ASMEND
	s_nop 0
	;;#ASMSTART
	v_dot2_f32_f16 v83, v5, v13, v83
	;;#ASMEND
	s_nop 0
	;;#ASMSTART
	v_dot2_f32_f16 v83, v6, v14, v83
	;;#ASMEND
	s_nop 0
	;;#ASMSTART
	v_dot2_f32_f16 v83, v7, v15, v83
	;;#ASMEND
	;; [unrolled: 16-line block ×3, first 2 shown]
	s_waitcnt lgkmcnt(0)
	;;#ASMSTART
	v_dot2_f32_f16 v85, v4, v36, v85
	;;#ASMEND
	s_nop 0
	;;#ASMSTART
	v_dot2_f32_f16 v85, v5, v37, v85
	;;#ASMEND
	v_lshl_add_u64 v[4:5], s[4:5], 0, v[30:31]
	;;#ASMSTART
	v_dot2_f32_f16 v85, v6, v38, v85
	;;#ASMEND
	v_lshl_add_u64 v[4:5], v[4:5], 0, v[32:33]
	;;#ASMSTART
	v_dot2_f32_f16 v85, v7, v39, v85
	;;#ASMEND
	;;#ASMSTART
	v_dot2_f32_f16 v86, v8, v0, v86
	;;#ASMEND
	v_lshl_add_u64 v[6:7], s[4:5], 0, v[34:35]
	;;#ASMSTART
	v_dot2_f32_f16 v86, v9, v1, v86
	;;#ASMEND
	v_lshl_add_u64 v[6:7], v[6:7], 0, v[32:33]
	;;#ASMSTART
	v_dot2_f32_f16 v86, v10, v2, v86
	;;#ASMEND
	s_nop 0
	;;#ASMSTART
	v_dot2_f32_f16 v86, v11, v3, v86
	;;#ASMEND
	;;#ASMSTART
	v_dot2_f32_f16 v87, v8, v12, v87
	;;#ASMEND
	s_nop 0
	;;#ASMSTART
	v_dot2_f32_f16 v87, v9, v13, v87
	;;#ASMEND
	s_nop 0
	;;#ASMSTART
	v_dot2_f32_f16 v87, v10, v14, v87
	;;#ASMEND
	s_nop 0
	;;#ASMSTART
	v_dot2_f32_f16 v87, v11, v15, v87
	;;#ASMEND
	;;#ASMSTART
	v_dot2_f32_f16 v88, v8, v16, v88
	;;#ASMEND
	s_nop 0
	;;#ASMSTART
	v_dot2_f32_f16 v88, v9, v17, v88
	;;#ASMEND
	s_nop 0
	;; [unrolled: 15-line block ×3, first 2 shown]
	;;#ASMSTART
	v_dot2_f32_f16 v89, v10, v38, v89
	;;#ASMEND
	s_nop 0
	;;#ASMSTART
	v_dot2_f32_f16 v89, v11, v39, v89
	;;#ASMEND
	global_load_ushort v0, v[40:41], off
	global_load_ushort v1, v[40:41], off offset:64
	global_load_ushort v2, v[42:43], off
	global_load_ushort v3, v[42:43], off offset:64
	s_barrier
	global_load_dwordx4 v[12:15], v[4:5], off
	global_load_dwordx4 v[16:19], v[6:7], off
	s_waitcnt vmcnt(5)
	v_cvt_f32_f16_e32 v0, v0
	s_waitcnt vmcnt(4)
	v_cvt_f32_f16_e32 v1, v1
	;; [unrolled: 2-line block ×4, first 2 shown]
	v_add_f32_e32 v4, v82, v0
	v_add_f32_e32 v5, v86, v1
	;; [unrolled: 1-line block ×14, first 2 shown]
	v_max3_f32 v0, v91, v0, v1
	v_max3_f32 v1, v90, v2, v3
	v_add_f32_e32 v38, 0x40051340, v10
	v_add_f32_e32 v39, 0x40051340, v11
	v_max3_f32 v2, v93, v36, v37
	ds_bpermute_b32 v36, v100, v0
	ds_bpermute_b32 v37, v100, v1
	v_max3_f32 v3, v92, v38, v39
	ds_bpermute_b32 v38, v100, v2
	ds_bpermute_b32 v39, v100, v3
	s_waitcnt lgkmcnt(3)
	v_max_f32_e32 v36, v36, v36
	s_waitcnt lgkmcnt(2)
	v_max_f32_e32 v37, v37, v37
	v_max_f32_e32 v0, v0, v36
	v_max_f32_e32 v1, v1, v37
	s_waitcnt lgkmcnt(1)
	v_max_f32_e32 v38, v38, v38
	s_waitcnt lgkmcnt(0)
	v_max_f32_e32 v39, v39, v39
	ds_bpermute_b32 v36, v101, v0
	ds_bpermute_b32 v37, v101, v1
	v_max_f32_e32 v2, v2, v38
	v_max_f32_e32 v3, v3, v39
	ds_bpermute_b32 v38, v101, v2
	ds_bpermute_b32 v39, v101, v3
	s_waitcnt lgkmcnt(3)
	v_max_f32_e32 v36, v36, v36
	s_waitcnt lgkmcnt(2)
	v_max_f32_e32 v37, v37, v37
	v_max_f32_e32 v0, v0, v36
	v_max_f32_e32 v1, v1, v37
	s_waitcnt lgkmcnt(1)
	v_max_f32_e32 v38, v38, v38
	s_waitcnt lgkmcnt(0)
	v_max_f32_e32 v39, v39, v39
	ds_bpermute_b32 v36, v102, v0
	ds_bpermute_b32 v37, v102, v1
	v_max_f32_e32 v2, v2, v38
	v_max_f32_e32 v3, v3, v39
	;; [unrolled: 16-line block ×4, first 2 shown]
	ds_bpermute_b32 v38, v95, v2
	ds_bpermute_b32 v39, v95, v3
	s_waitcnt lgkmcnt(3)
	v_max_f32_e32 v36, v36, v36
	s_waitcnt lgkmcnt(2)
	v_max_f32_e32 v37, v37, v37
	v_max_f32_e32 v0, v0, v36
	;; [unrolled: 1-line block ×3, first 2 shown]
	s_waitcnt lgkmcnt(1)
	v_max_f32_e32 v38, v38, v38
	s_waitcnt lgkmcnt(0)
	v_max_f32_e32 v39, v39, v39
	v_sub_f32_e32 v4, v4, v0
	v_sub_f32_e32 v5, v5, v0
	;; [unrolled: 1-line block ×3, first 2 shown]
	v_max_f32_e32 v2, v2, v38
	v_max_f32_e32 v3, v3, v39
	v_mul_f32_e32 v36, 0x3fb8aa3b, v4
	v_mul_f32_e32 v37, 0x3fb8aa3b, v5
	;; [unrolled: 1-line block ×3, first 2 shown]
	v_sub_f32_e32 v7, v7, v1
	v_sub_f32_e32 v8, v8, v2
	;; [unrolled: 1-line block ×5, first 2 shown]
	v_fma_f32 v82, v4, s28, -v36
	v_fma_f32 v83, v5, s28, -v37
	;; [unrolled: 1-line block ×3, first 2 shown]
	v_rndne_f32_e32 v94, v36
	v_rndne_f32_e32 v95, v37
	;; [unrolled: 1-line block ×3, first 2 shown]
	v_mul_f32_e32 v39, 0x3fb8aa3b, v7
	v_mul_f32_e32 v40, 0x3fb8aa3b, v8
	;; [unrolled: 1-line block ×5, first 2 shown]
	v_fmac_f32_e32 v82, 0x32a5705f, v4
	v_sub_f32_e32 v36, v36, v94
	v_fmac_f32_e32 v83, 0x32a5705f, v5
	v_sub_f32_e32 v37, v37, v95
	;; [unrolled: 2-line block ×3, first 2 shown]
	v_fma_f32 v85, v7, s28, -v39
	v_fma_f32 v86, v8, s28, -v40
	;; [unrolled: 1-line block ×5, first 2 shown]
	v_rndne_f32_e32 v97, v39
	v_rndne_f32_e32 v98, v40
	v_add_f32_e32 v36, v36, v82
	v_rndne_f32_e32 v82, v41
	v_add_f32_e32 v37, v37, v83
	;; [unrolled: 2-line block ×3, first 2 shown]
	v_rndne_f32_e32 v84, v43
	v_fmac_f32_e32 v85, 0x32a5705f, v7
	v_fmac_f32_e32 v86, 0x32a5705f, v8
	;; [unrolled: 1-line block ×5, first 2 shown]
	v_sub_f32_e32 v39, v39, v97
	v_sub_f32_e32 v40, v40, v98
	;; [unrolled: 1-line block ×5, first 2 shown]
	v_add_f32_e32 v39, v39, v85
	v_add_f32_e32 v40, v40, v86
	;; [unrolled: 1-line block ×5, first 2 shown]
	v_cvt_i32_f32_e32 v94, v94
	v_cvt_i32_f32_e32 v95, v95
	;; [unrolled: 1-line block ×8, first 2 shown]
	v_exp_f32_e32 v36, v36
	v_exp_f32_e32 v37, v37
	;; [unrolled: 1-line block ×8, first 2 shown]
	v_ldexp_f32 v38, v38, v96
	v_cmp_ngt_f32_e32 vcc, s29, v6
	v_ldexp_f32 v39, v39, v97
	v_cmp_ngt_f32_e64 s[4:5], s29, v7
	v_ldexp_f32 v40, v40, v98
	v_cmp_ngt_f32_e64 s[6:7], s29, v8
	;; [unrolled: 2-line block ×7, first 2 shown]
	s_nop 1
	v_cndmask_b32_e64 v37, 0, v37, s[16:17]
	v_cmp_nlt_f32_e64 s[16:17], s43, v5
	v_cndmask_b32_e32 v5, 0, v38, vcc
	v_cmp_nlt_f32_e32 vcc, s43, v6
	v_cndmask_b32_e64 v38, 0, v39, s[4:5]
	v_cmp_nlt_f32_e64 s[4:5], s43, v7
	v_cndmask_b32_e64 v39, 0, v40, s[6:7]
	v_cmp_nlt_f32_e64 s[6:7], s43, v8
	;; [unrolled: 2-line block ×6, first 2 shown]
	v_cndmask_b32_e32 v5, v69, v5, vcc
	v_cndmask_b32_e64 v7, v69, v38, s[4:5]
	v_cndmask_b32_e64 v4, v69, v6, s[8:9]
	;; [unrolled: 1-line block ×7, first 2 shown]
	v_cvt_pk_f16_f32 v37, v8, v9
	v_cvt_pk_f16_f32 v36, v4, v5
	;; [unrolled: 1-line block ×3, first 2 shown]
	v_pk_add_f32 v[4:5], v[4:5], v[6:7]
	v_pk_add_f32 v[6:7], v[8:9], v[10:11]
	v_sub_f32_e32 v8, v93, v2
	v_mul_f32_e32 v9, 0x3fb8aa3b, v8
	v_cvt_pk_f16_f32 v39, v10, v11
	v_fma_f32 v10, v8, s28, -v9
	v_rndne_f32_e32 v11, v9
	v_fmac_f32_e32 v10, 0x32a5705f, v8
	v_sub_f32_e32 v9, v9, v11
	v_add_f32_e32 v9, v9, v10
	v_sub_f32_e32 v10, v92, v3
	v_mul_f32_e32 v92, 0x3fb8aa3b, v10
	v_cvt_i32_f32_e32 v11, v11
	v_exp_f32_e32 v9, v9
	v_fma_f32 v93, v10, s28, -v92
	v_rndne_f32_e32 v114, v92
	v_fmac_f32_e32 v93, 0x32a5705f, v10
	v_sub_f32_e32 v92, v92, v114
	v_add_f32_e32 v92, v92, v93
	v_ldexp_f32 v9, v9, v11
	v_cvt_i32_f32_e32 v11, v114
	v_exp_f32_e32 v92, v92
	v_cmp_ngt_f32_e32 vcc, s29, v10
	v_cmp_ngt_f32_e64 s[4:5], s29, v8
	ds_write2_b64 v70, v[36:37], v[38:39] offset1:32
	s_waitcnt vmcnt(1)
	ds_write_b128 v67, v[12:15]
	s_waitcnt vmcnt(0)
	ds_write_b128 v68, v[16:19]
	v_ldexp_f32 v11, v92, v11
	v_cndmask_b32_e32 v11, 0, v11, vcc
	v_cmp_nlt_f32_e32 vcc, s43, v10
	v_cndmask_b32_e64 v9, 0, v9, s[4:5]
	v_cmp_nlt_f32_e64 s[4:5], s43, v8
	s_waitcnt lgkmcnt(0)
	s_barrier
	v_cndmask_b32_e64 v8, v69, v9, s[4:5]
	v_cndmask_b32_e32 v9, v69, v11, vcc
	v_pk_fma_f32 v[20:21], v[20:21], v[8:9], v[6:7]
	v_sub_f32_e32 v6, v91, v0
	v_mul_f32_e32 v7, 0x3fb8aa3b, v6
	v_fma_f32 v10, v6, s28, -v7
	v_rndne_f32_e32 v11, v7
	v_fmac_f32_e32 v10, 0x32a5705f, v6
	v_sub_f32_e32 v7, v7, v11
	v_add_f32_e32 v7, v7, v10
	v_sub_f32_e32 v10, v90, v1
	v_mul_f32_e32 v90, 0x3fb8aa3b, v10
	v_cvt_i32_f32_e32 v11, v11
	v_exp_f32_e32 v7, v7
	v_fma_f32 v91, v10, s28, -v90
	v_rndne_f32_e32 v92, v90
	v_fmac_f32_e32 v91, 0x32a5705f, v10
	v_sub_f32_e32 v90, v90, v92
	v_add_f32_e32 v90, v90, v91
	v_ldexp_f32 v7, v7, v11
	v_cvt_i32_f32_e32 v11, v92
	v_exp_f32_e32 v90, v90
	v_cmp_ngt_f32_e32 vcc, s29, v10
	v_cmp_ngt_f32_e64 s[4:5], s29, v6
	v_ldexp_f32 v11, v90, v11
	v_cndmask_b32_e32 v11, 0, v11, vcc
	v_cmp_nlt_f32_e32 vcc, s43, v10
	v_cndmask_b32_e64 v7, 0, v7, s[4:5]
	v_cmp_nlt_f32_e64 s[4:5], s43, v6
	ds_read_b128 v[12:15], v66
	ds_read_b128 v[16:19], v66 offset:16
	ds_read_b128 v[36:39], v66 offset:32
	;; [unrolled: 1-line block ×3, first 2 shown]
	v_cndmask_b32_e64 v6, v69, v7, s[4:5]
	v_cndmask_b32_e32 v7, v69, v11, vcc
	v_pk_fma_f32 v[22:23], v[22:23], v[6:7], v[4:5]
	v_cvt_f16_f32_e32 v4, v6
	s_waitcnt lgkmcnt(3)
	v_mul_u32_u24_sdwa v82, v12, s44 dst_sel:DWORD dst_unused:UNUSED_PAD src0_sel:WORD_0 src1_sel:DWORD
	v_mul_u32_u24_sdwa v83, v12, s44 dst_sel:DWORD dst_unused:UNUSED_PAD src0_sel:WORD_1 src1_sel:DWORD
	v_mul_u32_u24_sdwa v84, v13, s44 dst_sel:DWORD dst_unused:UNUSED_PAD src0_sel:WORD_0 src1_sel:DWORD
	v_mul_u32_u24_sdwa v85, v13, s44 dst_sel:DWORD dst_unused:UNUSED_PAD src0_sel:WORD_1 src1_sel:DWORD
	;; [unrolled: 2-line block ×4, first 2 shown]
	s_waitcnt lgkmcnt(2)
	v_mul_u32_u24_sdwa v94, v16, s44 dst_sel:DWORD dst_unused:UNUSED_PAD src0_sel:WORD_0 src1_sel:DWORD
	v_mul_u32_u24_sdwa v95, v16, s44 dst_sel:DWORD dst_unused:UNUSED_PAD src0_sel:WORD_1 src1_sel:DWORD
	v_mul_u32_u24_sdwa v96, v17, s44 dst_sel:DWORD dst_unused:UNUSED_PAD src0_sel:WORD_0 src1_sel:DWORD
	v_mul_u32_u24_sdwa v97, v17, s44 dst_sel:DWORD dst_unused:UNUSED_PAD src0_sel:WORD_1 src1_sel:DWORD
	;; [unrolled: 2-line block ×4, first 2 shown]
	ds_read_b128 v[12:15], v66 offset:64
	ds_read_b128 v[16:19], v66 offset:80
	v_cvt_f16_f32_e32 v10, v7
	v_mul_u32_u24_e32 v11, 0x10001, v4
	ds_read2_b64 v[4:7], v52 offset1:32
	v_cvt_f16_f32_e32 v9, v9
	v_cvt_f16_f32_e32 v8, v8
	v_mul_u32_u24_e32 v10, 0x10001, v10
	s_waitcnt lgkmcnt(4)
	v_mul_u32_u24_sdwa v102, v36, s44 dst_sel:DWORD dst_unused:UNUSED_PAD src0_sel:WORD_0 src1_sel:DWORD
	s_waitcnt lgkmcnt(0)
	v_pk_mul_f16 v90, v4, v82
	v_mul_u32_u24_e32 v9, 0x10001, v9
	v_pk_fma_f16 v80, v80, v11, v90
	v_pk_mul_f16 v11, v81, v11
	v_pk_mul_f16 v81, v4, v83
	;; [unrolled: 1-line block ×4, first 2 shown]
	v_mul_u32_u24_e32 v8, 0x10001, v8
	v_pk_mul_f16 v74, v4, v84
	v_pk_fma_f16 v79, v79, v10, v81
	v_pk_mul_f16 v10, v78, v10
	v_pk_fma_f16 v74, v77, v8, v74
	;; [unrolled: 2-line block ×3, first 2 shown]
	v_pk_fma_f16 v10, v5, v83, v10
	v_pk_fma_f16 v4, v4, v85, v75
	v_pk_fma_f16 v9, v5, v85, v9
	v_pk_fma_f16 v5, v5, v84, v8
	v_pk_fma_f16 v8, v6, v89, v4
	v_pk_fma_f16 v9, v7, v89, v9
	v_pk_fma_f16 v11, v7, v86, v11
	v_pk_fma_f16 v75, v6, v86, v80
	v_pk_fma_f16 v10, v7, v87, v10
	v_pk_fma_f16 v76, v6, v87, v79
	v_pk_fma_f16 v77, v7, v88, v5
	v_pk_fma_f16 v74, v6, v88, v74
	ds_read2_b64 v[4:7], v52 offset0:64 offset1:96
	v_mul_u32_u24_sdwa v36, v36, s44 dst_sel:DWORD dst_unused:UNUSED_PAD src0_sel:WORD_1 src1_sel:DWORD
	v_mul_u32_u24_sdwa v103, v37, s44 dst_sel:DWORD dst_unused:UNUSED_PAD src0_sel:WORD_0 src1_sel:DWORD
	v_mul_u32_u24_sdwa v37, v37, s44 dst_sel:DWORD dst_unused:UNUSED_PAD src0_sel:WORD_1 src1_sel:DWORD
	v_mul_u32_u24_sdwa v104, v38, s44 dst_sel:DWORD dst_unused:UNUSED_PAD src0_sel:WORD_0 src1_sel:DWORD
	s_waitcnt lgkmcnt(0)
	v_pk_fma_f16 v8, v4, v97, v8
	v_pk_fma_f16 v9, v5, v97, v9
	;; [unrolled: 1-line block ×12, first 2 shown]
	ds_read_b128 v[8:11], v66 offset:96
	v_pk_fma_f16 v75, v6, v98, v75
	v_pk_fma_f16 v76, v6, v99, v76
	;; [unrolled: 1-line block ×4, first 2 shown]
	ds_read_b128 v[4:7], v66 offset:112
	s_waitcnt lgkmcnt(1)
	v_mul_u32_u24_sdwa v86, v8, s44 dst_sel:DWORD dst_unused:UNUSED_PAD src0_sel:WORD_0 src1_sel:DWORD
	v_mul_u32_u24_sdwa v87, v8, s44 dst_sel:DWORD dst_unused:UNUSED_PAD src0_sel:WORD_1 src1_sel:DWORD
	v_mul_u32_u24_sdwa v88, v9, s44 dst_sel:DWORD dst_unused:UNUSED_PAD src0_sel:WORD_0 src1_sel:DWORD
	v_mul_u32_u24_sdwa v89, v9, s44 dst_sel:DWORD dst_unused:UNUSED_PAD src0_sel:WORD_1 src1_sel:DWORD
	;; [unrolled: 2-line block ×4, first 2 shown]
	ds_read2_b64 v[8:11], v52 offset0:128 offset1:160
	v_mul_u32_u24_sdwa v38, v38, s44 dst_sel:DWORD dst_unused:UNUSED_PAD src0_sel:WORD_1 src1_sel:DWORD
	v_mul_u32_u24_sdwa v105, v39, s44 dst_sel:DWORD dst_unused:UNUSED_PAD src0_sel:WORD_0 src1_sel:DWORD
	v_mul_u32_u24_sdwa v39, v39, s44 dst_sel:DWORD dst_unused:UNUSED_PAD src0_sel:WORD_1 src1_sel:DWORD
	s_waitcnt lgkmcnt(1)
	v_mul_u32_u24_sdwa v94, v7, s44 dst_sel:DWORD dst_unused:UNUSED_PAD src0_sel:WORD_0 src1_sel:DWORD
	s_waitcnt lgkmcnt(0)
	v_pk_fma_f16 v74, v8, v37, v74
	v_pk_fma_f16 v37, v9, v37, v77
	;; [unrolled: 1-line block ×13, first 2 shown]
	v_mul_u32_u24_sdwa v38, v4, s44 dst_sel:DWORD dst_unused:UNUSED_PAD src0_sel:WORD_0 src1_sel:DWORD
	v_mul_u32_u24_sdwa v77, v4, s44 dst_sel:DWORD dst_unused:UNUSED_PAD src0_sel:WORD_1 src1_sel:DWORD
	v_mul_u32_u24_sdwa v82, v5, s44 dst_sel:DWORD dst_unused:UNUSED_PAD src0_sel:WORD_0 src1_sel:DWORD
	v_mul_u32_u24_sdwa v83, v5, s44 dst_sel:DWORD dst_unused:UNUSED_PAD src0_sel:WORD_1 src1_sel:DWORD
	v_mul_u32_u24_sdwa v84, v6, s44 dst_sel:DWORD dst_unused:UNUSED_PAD src0_sel:WORD_0 src1_sel:DWORD
	v_mul_u32_u24_sdwa v85, v6, s44 dst_sel:DWORD dst_unused:UNUSED_PAD src0_sel:WORD_1 src1_sel:DWORD
	v_mul_u32_u24_sdwa v95, v7, s44 dst_sel:DWORD dst_unused:UNUSED_PAD src0_sel:WORD_1 src1_sel:DWORD
	ds_read2_b64 v[4:7], v52 offset0:192 offset1:224
	v_mul_u32_u24_sdwa v107, v41, s44 dst_sel:DWORD dst_unused:UNUSED_PAD src0_sel:WORD_0 src1_sel:DWORD
	v_mul_u32_u24_sdwa v41, v41, s44 dst_sel:DWORD dst_unused:UNUSED_PAD src0_sel:WORD_1 src1_sel:DWORD
	v_mul_u32_u24_sdwa v106, v40, s44 dst_sel:DWORD dst_unused:UNUSED_PAD src0_sel:WORD_0 src1_sel:DWORD
	v_mul_u32_u24_sdwa v40, v40, s44 dst_sel:DWORD dst_unused:UNUSED_PAD src0_sel:WORD_1 src1_sel:DWORD
	;; [unrolled: 2-line block ×3, first 2 shown]
	v_pk_fma_f16 v75, v10, v104, v75
	v_pk_fma_f16 v9, v11, v105, v9
	;; [unrolled: 1-line block ×3, first 2 shown]
	s_waitcnt lgkmcnt(0)
	v_pk_fma_f16 v10, v4, v41, v74
	v_pk_fma_f16 v11, v5, v41, v37
	;; [unrolled: 1-line block ×10, first 2 shown]
	ds_read_b128 v[8:11], v66 offset:128
	v_mul_u32_u24_sdwa v108, v42, s44 dst_sel:DWORD dst_unused:UNUSED_PAD src0_sel:WORD_0 src1_sel:DWORD
	v_mul_u32_u24_sdwa v42, v42, s44 dst_sel:DWORD dst_unused:UNUSED_PAD src0_sel:WORD_1 src1_sel:DWORD
	v_pk_fma_f16 v37, v7, v108, v37
	v_pk_fma_f16 v41, v7, v42, v41
	;; [unrolled: 1-line block ×6, first 2 shown]
	ds_read_b128 v[4:7], v66 offset:144
	s_waitcnt lgkmcnt(1)
	v_mul_u32_u24_sdwa v75, v8, s44 dst_sel:DWORD dst_unused:UNUSED_PAD src0_sel:WORD_0 src1_sel:DWORD
	v_mul_u32_u24_sdwa v76, v8, s44 dst_sel:DWORD dst_unused:UNUSED_PAD src0_sel:WORD_1 src1_sel:DWORD
	v_mul_u32_u24_sdwa v96, v9, s44 dst_sel:DWORD dst_unused:UNUSED_PAD src0_sel:WORD_0 src1_sel:DWORD
	v_mul_u32_u24_sdwa v97, v9, s44 dst_sel:DWORD dst_unused:UNUSED_PAD src0_sel:WORD_1 src1_sel:DWORD
	;; [unrolled: 2-line block ×4, first 2 shown]
	ds_read2_b64 v[8:11], v71 offset1:32
	v_mul_u32_u24_sdwa v110, v12, s44 dst_sel:DWORD dst_unused:UNUSED_PAD src0_sel:WORD_0 src1_sel:DWORD
	v_mul_u32_u24_sdwa v12, v12, s44 dst_sel:DWORD dst_unused:UNUSED_PAD src0_sel:WORD_1 src1_sel:DWORD
	v_mul_u32_u24_sdwa v111, v13, s44 dst_sel:DWORD dst_unused:UNUSED_PAD src0_sel:WORD_0 src1_sel:DWORD
	v_mul_u32_u24_sdwa v13, v13, s44 dst_sel:DWORD dst_unused:UNUSED_PAD src0_sel:WORD_1 src1_sel:DWORD
	;; [unrolled: 2-line block ×4, first 2 shown]
	s_waitcnt lgkmcnt(0)
	v_pk_fma_f16 v40, v8, v13, v40
	v_pk_fma_f16 v13, v9, v13, v43
	;; [unrolled: 1-line block ×14, first 2 shown]
	v_mul_u32_u24_sdwa v14, v4, s44 dst_sel:DWORD dst_unused:UNUSED_PAD src0_sel:WORD_0 src1_sel:DWORD
	v_mul_u32_u24_sdwa v40, v4, s44 dst_sel:DWORD dst_unused:UNUSED_PAD src0_sel:WORD_1 src1_sel:DWORD
	v_mul_u32_u24_sdwa v41, v5, s44 dst_sel:DWORD dst_unused:UNUSED_PAD src0_sel:WORD_0 src1_sel:DWORD
	v_mul_u32_u24_sdwa v42, v5, s44 dst_sel:DWORD dst_unused:UNUSED_PAD src0_sel:WORD_1 src1_sel:DWORD
	;; [unrolled: 2-line block ×4, first 2 shown]
	ds_read2_b64 v[4:7], v71 offset0:64 offset1:96
	v_mul_u32_u24_sdwa v79, v17, s44 dst_sel:DWORD dst_unused:UNUSED_PAD src0_sel:WORD_0 src1_sel:DWORD
	v_mul_u32_u24_sdwa v17, v17, s44 dst_sel:DWORD dst_unused:UNUSED_PAD src0_sel:WORD_1 src1_sel:DWORD
	v_mul_u32_u24_sdwa v78, v16, s44 dst_sel:DWORD dst_unused:UNUSED_PAD src0_sel:WORD_0 src1_sel:DWORD
	v_mul_u32_u24_sdwa v16, v16, s44 dst_sel:DWORD dst_unused:UNUSED_PAD src0_sel:WORD_1 src1_sel:DWORD
	;; [unrolled: 2-line block ×3, first 2 shown]
	v_pk_fma_f16 v9, v11, v113, v9
	v_pk_fma_f16 v8, v10, v113, v8
	s_waitcnt lgkmcnt(0)
	v_pk_fma_f16 v10, v4, v17, v36
	v_pk_fma_f16 v11, v5, v17, v13
	v_pk_fma_f16 v13, v5, v78, v15
	v_pk_fma_f16 v15, v4, v78, v37
	v_pk_fma_f16 v17, v5, v16, v39
	v_pk_fma_f16 v12, v4, v16, v12
	v_pk_fma_f16 v5, v5, v79, v9
	v_pk_fma_f16 v4, v4, v79, v8
	v_pk_fma_f16 v16, v6, v19, v10
	v_pk_fma_f16 v19, v7, v19, v11
	ds_read_b128 v[8:11], v66 offset:160
	v_mul_u32_u24_sdwa v80, v18, s44 dst_sel:DWORD dst_unused:UNUSED_PAD src0_sel:WORD_0 src1_sel:DWORD
	v_mul_u32_u24_sdwa v18, v18, s44 dst_sel:DWORD dst_unused:UNUSED_PAD src0_sel:WORD_1 src1_sel:DWORD
	v_pk_fma_f16 v13, v7, v80, v13
	v_pk_fma_f16 v17, v7, v18, v17
	;; [unrolled: 1-line block ×6, first 2 shown]
	ds_read_b128 v[4:7], v66 offset:176
	s_waitcnt lgkmcnt(1)
	v_mul_u32_u24_sdwa v37, v8, s44 dst_sel:DWORD dst_unused:UNUSED_PAD src0_sel:WORD_0 src1_sel:DWORD
	v_mul_u32_u24_sdwa v39, v8, s44 dst_sel:DWORD dst_unused:UNUSED_PAD src0_sel:WORD_1 src1_sel:DWORD
	v_mul_u32_u24_sdwa v78, v9, s44 dst_sel:DWORD dst_unused:UNUSED_PAD src0_sel:WORD_0 src1_sel:DWORD
	v_mul_u32_u24_sdwa v79, v9, s44 dst_sel:DWORD dst_unused:UNUSED_PAD src0_sel:WORD_1 src1_sel:DWORD
	;; [unrolled: 2-line block ×4, first 2 shown]
	ds_read2_b64 v[8:11], v71 offset0:128 offset1:160
	s_or_b32 s4, s2, 32
	s_mul_hi_i32 s5, s4, s22
	s_mul_i32 s4, s4, s22
	s_lshl_b64 s[4:5], s[4:5], 2
	s_waitcnt lgkmcnt(0)
	v_pk_fma_f16 v19, v9, v89, v19
	v_pk_fma_f16 v13, v9, v86, v13
	;; [unrolled: 1-line block ×13, first 2 shown]
	v_mul_u32_u24_sdwa v19, v4, s44 dst_sel:DWORD dst_unused:UNUSED_PAD src0_sel:WORD_0 src1_sel:DWORD
	v_mul_u32_u24_sdwa v36, v4, s44 dst_sel:DWORD dst_unused:UNUSED_PAD src0_sel:WORD_1 src1_sel:DWORD
	v_mul_u32_u24_sdwa v86, v5, s44 dst_sel:DWORD dst_unused:UNUSED_PAD src0_sel:WORD_0 src1_sel:DWORD
	v_mul_u32_u24_sdwa v87, v5, s44 dst_sel:DWORD dst_unused:UNUSED_PAD src0_sel:WORD_1 src1_sel:DWORD
	;; [unrolled: 2-line block ×4, first 2 shown]
	ds_read2_b64 v[4:7], v71 offset0:192 offset1:224
	v_pk_fma_f16 v16, v10, v93, v16
	v_pk_fma_f16 v9, v11, v92, v9
	;; [unrolled: 1-line block ×3, first 2 shown]
	s_add_u32 s4, s41, s4
	s_waitcnt lgkmcnt(0)
	v_pk_fma_f16 v10, v4, v83, v16
	v_pk_fma_f16 v11, v5, v83, v18
	;; [unrolled: 1-line block ×10, first 2 shown]
	ds_read_b128 v[8:11], v66 offset:192
	v_pk_fma_f16 v13, v7, v84, v13
	v_pk_fma_f16 v16, v7, v85, v16
	;; [unrolled: 1-line block ×6, first 2 shown]
	ds_read_b128 v[4:7], v66 offset:208
	s_waitcnt lgkmcnt(1)
	v_mul_u32_u24_sdwa v82, v8, s44 dst_sel:DWORD dst_unused:UNUSED_PAD src0_sel:WORD_0 src1_sel:DWORD
	v_mul_u32_u24_sdwa v83, v8, s44 dst_sel:DWORD dst_unused:UNUSED_PAD src0_sel:WORD_1 src1_sel:DWORD
	v_mul_u32_u24_sdwa v84, v9, s44 dst_sel:DWORD dst_unused:UNUSED_PAD src0_sel:WORD_0 src1_sel:DWORD
	v_mul_u32_u24_sdwa v85, v9, s44 dst_sel:DWORD dst_unused:UNUSED_PAD src0_sel:WORD_1 src1_sel:DWORD
	;; [unrolled: 2-line block ×4, first 2 shown]
	ds_read2_b64 v[8:11], v72 offset1:32
	s_addc_u32 s5, s42, s5
	s_waitcnt lgkmcnt(0)
	v_pk_fma_f16 v13, v9, v75, v13
	v_pk_fma_f16 v15, v8, v75, v15
	;; [unrolled: 1-line block ×12, first 2 shown]
	v_mul_u32_u24_sdwa v38, v4, s44 dst_sel:DWORD dst_unused:UNUSED_PAD src0_sel:WORD_0 src1_sel:DWORD
	v_mul_u32_u24_sdwa v75, v4, s44 dst_sel:DWORD dst_unused:UNUSED_PAD src0_sel:WORD_1 src1_sel:DWORD
	v_mul_u32_u24_sdwa v76, v5, s44 dst_sel:DWORD dst_unused:UNUSED_PAD src0_sel:WORD_0 src1_sel:DWORD
	v_mul_u32_u24_sdwa v77, v5, s44 dst_sel:DWORD dst_unused:UNUSED_PAD src0_sel:WORD_1 src1_sel:DWORD
	;; [unrolled: 2-line block ×4, first 2 shown]
	ds_read2_b64 v[4:7], v72 offset0:64 offset1:96
	v_pk_fma_f16 v17, v10, v101, v17
	v_pk_fma_f16 v18, v11, v101, v18
	;; [unrolled: 1-line block ×4, first 2 shown]
	s_waitcnt lgkmcnt(0)
	v_pk_fma_f16 v10, v4, v42, v17
	v_pk_fma_f16 v11, v5, v42, v18
	;; [unrolled: 1-line block ×10, first 2 shown]
	ds_read_b128 v[8:11], v66 offset:224
	v_pk_fma_f16 v13, v7, v43, v13
	v_pk_fma_f16 v15, v7, v74, v15
	;; [unrolled: 1-line block ×6, first 2 shown]
	ds_read_b128 v[4:7], v66 offset:240
	s_waitcnt lgkmcnt(1)
	v_mul_u32_u24_sdwa v41, v8, s44 dst_sel:DWORD dst_unused:UNUSED_PAD src0_sel:WORD_0 src1_sel:DWORD
	v_mul_u32_u24_sdwa v42, v8, s44 dst_sel:DWORD dst_unused:UNUSED_PAD src0_sel:WORD_1 src1_sel:DWORD
	v_mul_u32_u24_sdwa v43, v9, s44 dst_sel:DWORD dst_unused:UNUSED_PAD src0_sel:WORD_0 src1_sel:DWORD
	v_mul_u32_u24_sdwa v74, v9, s44 dst_sel:DWORD dst_unused:UNUSED_PAD src0_sel:WORD_1 src1_sel:DWORD
	;; [unrolled: 2-line block ×4, first 2 shown]
	ds_read2_b64 v[8:11], v72 offset0:128 offset1:160
	s_waitcnt lgkmcnt(1)
	v_mul_u32_u24_sdwa v106, v7, s44 dst_sel:DWORD dst_unused:UNUSED_PAD src0_sel:WORD_1 src1_sel:DWORD
	s_waitcnt lgkmcnt(0)
	v_pk_fma_f16 v16, v8, v79, v16
	v_pk_fma_f16 v17, v9, v79, v17
	;; [unrolled: 1-line block ×16, first 2 shown]
	v_mul_u32_u24_sdwa v40, v4, s44 dst_sel:DWORD dst_unused:UNUSED_PAD src0_sel:WORD_0 src1_sel:DWORD
	v_mul_u32_u24_sdwa v78, v4, s44 dst_sel:DWORD dst_unused:UNUSED_PAD src0_sel:WORD_1 src1_sel:DWORD
	v_mul_u32_u24_sdwa v79, v5, s44 dst_sel:DWORD dst_unused:UNUSED_PAD src0_sel:WORD_0 src1_sel:DWORD
	v_mul_u32_u24_sdwa v80, v5, s44 dst_sel:DWORD dst_unused:UNUSED_PAD src0_sel:WORD_1 src1_sel:DWORD
	;; [unrolled: 2-line block ×3, first 2 shown]
	v_mul_u32_u24_sdwa v105, v7, s44 dst_sel:DWORD dst_unused:UNUSED_PAD src0_sel:WORD_0 src1_sel:DWORD
	ds_read2_b64 v[4:7], v72 offset0:192 offset1:224
	s_waitcnt lgkmcnt(0)
	v_pk_fma_f16 v10, v4, v87, v16
	v_pk_fma_f16 v11, v5, v87, v17
	;; [unrolled: 1-line block ×8, first 2 shown]
	v_lshl_add_u64 v[4:5], s[4:5], 0, v[30:31]
	v_pk_fma_f16 v10, v6, v91, v10
	v_pk_fma_f16 v11, v7, v91, v11
	;; [unrolled: 1-line block ×6, first 2 shown]
	v_lshl_add_u64 v[16:17], v[4:5], 0, v[32:33]
	v_pk_fma_f16 v18, v7, v90, v18
	v_pk_fma_f16 v19, v6, v90, v19
	ds_read2_b64 v[4:7], v73 offset1:32
	v_lshl_add_u64 v[8:9], s[4:5], 0, v[34:35]
	v_lshl_add_u64 v[36:37], v[8:9], 0, v[32:33]
	s_waitcnt lgkmcnt(0)
	v_pk_fma_f16 v39, v4, v85, v10
	v_pk_fma_f16 v85, v5, v85, v11
	ds_read2_b64 v[8:11], v73 offset0:64 offset1:96
	v_pk_fma_f16 v13, v5, v82, v13
	v_pk_fma_f16 v15, v5, v83, v15
	;; [unrolled: 1-line block ×12, first 2 shown]
	ds_read2_b64 v[12:15], v73 offset0:128 offset1:160
	v_pk_fma_f16 v85, v7, v94, v5
	v_pk_fma_f16 v86, v6, v94, v4
	ds_read2_b64 v[4:7], v73 offset0:192 offset1:224
	s_waitcnt lgkmcnt(0)
	s_barrier
	v_pk_fma_f16 v87, v8, v77, v18
	v_pk_fma_f16 v77, v9, v77, v19
	global_load_dwordx4 v[16:19], v[16:17], off
	v_pk_fma_f16 v88, v9, v38, v39
	v_pk_fma_f16 v83, v8, v38, v83
	global_load_dwordx4 v[36:39], v[36:37], off
	v_pk_fma_f16 v82, v9, v75, v82
	v_pk_fma_f16 v75, v8, v75, v84
	;; [unrolled: 1-line block ×44, first 2 shown]
	s_waitcnt vmcnt(1)
	ds_write_b128 v67, v[16:19]
	s_waitcnt vmcnt(0)
	ds_write_b128 v68, v[36:39]
	s_waitcnt lgkmcnt(0)
	s_barrier
	ds_read_b128 v[4:7], v66 offset:256
	ds_read_b128 v[8:11], v66 offset:272
	;; [unrolled: 1-line block ×5, first 2 shown]
	s_waitcnt lgkmcnt(4)
	v_mul_u32_u24_sdwa v78, v4, s44 dst_sel:DWORD dst_unused:UNUSED_PAD src0_sel:WORD_0 src1_sel:DWORD
	s_waitcnt lgkmcnt(3)
	v_mul_u32_u24_sdwa v86, v8, s44 dst_sel:DWORD dst_unused:UNUSED_PAD src0_sel:WORD_0 src1_sel:DWORD
	v_mul_u32_u24_sdwa v87, v8, s44 dst_sel:DWORD dst_unused:UNUSED_PAD src0_sel:WORD_1 src1_sel:DWORD
	v_mul_u32_u24_sdwa v88, v9, s44 dst_sel:DWORD dst_unused:UNUSED_PAD src0_sel:WORD_0 src1_sel:DWORD
	v_mul_u32_u24_sdwa v89, v9, s44 dst_sel:DWORD dst_unused:UNUSED_PAD src0_sel:WORD_1 src1_sel:DWORD
	;; [unrolled: 2-line block ×4, first 2 shown]
	ds_read2_b64 v[8:11], v52 offset1:32
	v_mul_u32_u24_sdwa v79, v4, s44 dst_sel:DWORD dst_unused:UNUSED_PAD src0_sel:WORD_1 src1_sel:DWORD
	v_mul_u32_u24_sdwa v80, v5, s44 dst_sel:DWORD dst_unused:UNUSED_PAD src0_sel:WORD_0 src1_sel:DWORD
	v_mul_u32_u24_sdwa v81, v5, s44 dst_sel:DWORD dst_unused:UNUSED_PAD src0_sel:WORD_1 src1_sel:DWORD
	v_mul_u32_u24_sdwa v82, v6, s44 dst_sel:DWORD dst_unused:UNUSED_PAD src0_sel:WORD_0 src1_sel:DWORD
	;; [unrolled: 2-line block ×3, first 2 shown]
	v_mul_u32_u24_sdwa v85, v7, s44 dst_sel:DWORD dst_unused:UNUSED_PAD src0_sel:WORD_1 src1_sel:DWORD
	ds_read_b128 v[4:7], v66 offset:336
	s_waitcnt lgkmcnt(1)
	v_pk_fma_f16 v75, v8, v78, v75
	v_pk_fma_f16 v41, v9, v78, v41
	;; [unrolled: 1-line block ×13, first 2 shown]
	s_waitcnt lgkmcnt(0)
	v_mul_u32_u24_sdwa v76, v4, s44 dst_sel:DWORD dst_unused:UNUSED_PAD src0_sel:WORD_0 src1_sel:DWORD
	v_mul_u32_u24_sdwa v77, v4, s44 dst_sel:DWORD dst_unused:UNUSED_PAD src0_sel:WORD_1 src1_sel:DWORD
	v_mul_u32_u24_sdwa v78, v5, s44 dst_sel:DWORD dst_unused:UNUSED_PAD src0_sel:WORD_0 src1_sel:DWORD
	v_mul_u32_u24_sdwa v79, v5, s44 dst_sel:DWORD dst_unused:UNUSED_PAD src0_sel:WORD_1 src1_sel:DWORD
	;; [unrolled: 2-line block ×4, first 2 shown]
	ds_read2_b64 v[4:7], v52 offset0:64 offset1:96
	v_pk_fma_f16 v43, v11, v84, v43
	v_pk_fma_f16 v8, v10, v85, v8
	;; [unrolled: 1-line block ×3, first 2 shown]
	v_mul_u32_u24_sdwa v94, v12, s44 dst_sel:DWORD dst_unused:UNUSED_PAD src0_sel:WORD_0 src1_sel:DWORD
	s_waitcnt lgkmcnt(0)
	v_pk_fma_f16 v10, v4, v86, v40
	v_pk_fma_f16 v11, v5, v86, v41
	;; [unrolled: 1-line block ×10, first 2 shown]
	ds_read_b128 v[8:11], v66 offset:352
	v_pk_fma_f16 v40, v6, v91, v40
	v_pk_fma_f16 v41, v7, v91, v41
	;; [unrolled: 1-line block ×6, first 2 shown]
	ds_read_b128 v[4:7], v66 offset:368
	s_waitcnt lgkmcnt(1)
	v_mul_u32_u24_sdwa v86, v8, s44 dst_sel:DWORD dst_unused:UNUSED_PAD src0_sel:WORD_0 src1_sel:DWORD
	v_mul_u32_u24_sdwa v87, v8, s44 dst_sel:DWORD dst_unused:UNUSED_PAD src0_sel:WORD_1 src1_sel:DWORD
	v_mul_u32_u24_sdwa v88, v9, s44 dst_sel:DWORD dst_unused:UNUSED_PAD src0_sel:WORD_0 src1_sel:DWORD
	v_mul_u32_u24_sdwa v89, v9, s44 dst_sel:DWORD dst_unused:UNUSED_PAD src0_sel:WORD_1 src1_sel:DWORD
	;; [unrolled: 2-line block ×4, first 2 shown]
	ds_read2_b64 v[8:11], v52 offset0:128 offset1:160
	v_mul_u32_u24_sdwa v12, v12, s44 dst_sel:DWORD dst_unused:UNUSED_PAD src0_sel:WORD_1 src1_sel:DWORD
	v_mul_u32_u24_sdwa v95, v13, s44 dst_sel:DWORD dst_unused:UNUSED_PAD src0_sel:WORD_0 src1_sel:DWORD
	v_mul_u32_u24_sdwa v13, v13, s44 dst_sel:DWORD dst_unused:UNUSED_PAD src0_sel:WORD_1 src1_sel:DWORD
	v_mul_u32_u24_sdwa v96, v14, s44 dst_sel:DWORD dst_unused:UNUSED_PAD src0_sel:WORD_0 src1_sel:DWORD
	v_mul_u32_u24_sdwa v14, v14, s44 dst_sel:DWORD dst_unused:UNUSED_PAD src0_sel:WORD_1 src1_sel:DWORD
	v_mul_u32_u24_sdwa v97, v15, s44 dst_sel:DWORD dst_unused:UNUSED_PAD src0_sel:WORD_0 src1_sel:DWORD
	v_mul_u32_u24_sdwa v15, v15, s44 dst_sel:DWORD dst_unused:UNUSED_PAD src0_sel:WORD_1 src1_sel:DWORD
	s_waitcnt lgkmcnt(0)
	v_pk_fma_f16 v74, v8, v94, v74
	v_pk_fma_f16 v75, v9, v94, v75
	;; [unrolled: 1-line block ×16, first 2 shown]
	v_mul_u32_u24_sdwa v15, v4, s44 dst_sel:DWORD dst_unused:UNUSED_PAD src0_sel:WORD_0 src1_sel:DWORD
	v_mul_u32_u24_sdwa v42, v4, s44 dst_sel:DWORD dst_unused:UNUSED_PAD src0_sel:WORD_1 src1_sel:DWORD
	v_mul_u32_u24_sdwa v74, v5, s44 dst_sel:DWORD dst_unused:UNUSED_PAD src0_sel:WORD_0 src1_sel:DWORD
	v_mul_u32_u24_sdwa v75, v5, s44 dst_sel:DWORD dst_unused:UNUSED_PAD src0_sel:WORD_1 src1_sel:DWORD
	v_mul_u32_u24_sdwa v84, v6, s44 dst_sel:DWORD dst_unused:UNUSED_PAD src0_sel:WORD_0 src1_sel:DWORD
	v_mul_u32_u24_sdwa v85, v6, s44 dst_sel:DWORD dst_unused:UNUSED_PAD src0_sel:WORD_1 src1_sel:DWORD
	v_mul_u32_u24_sdwa v94, v7, s44 dst_sel:DWORD dst_unused:UNUSED_PAD src0_sel:WORD_0 src1_sel:DWORD
	v_mul_u32_u24_sdwa v95, v7, s44 dst_sel:DWORD dst_unused:UNUSED_PAD src0_sel:WORD_1 src1_sel:DWORD
	ds_read2_b64 v[4:7], v52 offset0:192 offset1:224
	v_mul_u32_u24_sdwa v98, v16, s44 dst_sel:DWORD dst_unused:UNUSED_PAD src0_sel:WORD_0 src1_sel:DWORD
	v_mul_u32_u24_sdwa v16, v16, s44 dst_sel:DWORD dst_unused:UNUSED_PAD src0_sel:WORD_1 src1_sel:DWORD
	v_mul_u32_u24_sdwa v99, v17, s44 dst_sel:DWORD dst_unused:UNUSED_PAD src0_sel:WORD_0 src1_sel:DWORD
	v_mul_u32_u24_sdwa v17, v17, s44 dst_sel:DWORD dst_unused:UNUSED_PAD src0_sel:WORD_1 src1_sel:DWORD
	v_mul_u32_u24_sdwa v100, v18, s44 dst_sel:DWORD dst_unused:UNUSED_PAD src0_sel:WORD_0 src1_sel:DWORD
	s_waitcnt lgkmcnt(0)
	v_pk_fma_f16 v10, v4, v98, v13
	v_pk_fma_f16 v11, v5, v98, v43
	;; [unrolled: 1-line block ×10, first 2 shown]
	ds_read_b128 v[8:11], v66 offset:384
	v_mul_u32_u24_sdwa v18, v18, s44 dst_sel:DWORD dst_unused:UNUSED_PAD src0_sel:WORD_1 src1_sel:DWORD
	v_mul_u32_u24_sdwa v101, v19, s44 dst_sel:DWORD dst_unused:UNUSED_PAD src0_sel:WORD_0 src1_sel:DWORD
	v_mul_u32_u24_sdwa v19, v19, s44 dst_sel:DWORD dst_unused:UNUSED_PAD src0_sel:WORD_1 src1_sel:DWORD
	v_pk_fma_f16 v13, v6, v18, v13
	v_pk_fma_f16 v12, v7, v18, v12
	;; [unrolled: 1-line block ×6, first 2 shown]
	ds_read_b128 v[4:7], v66 offset:400
	s_waitcnt lgkmcnt(1)
	v_mul_u32_u24_sdwa v41, v8, s44 dst_sel:DWORD dst_unused:UNUSED_PAD src0_sel:WORD_0 src1_sel:DWORD
	v_mul_u32_u24_sdwa v43, v8, s44 dst_sel:DWORD dst_unused:UNUSED_PAD src0_sel:WORD_1 src1_sel:DWORD
	v_mul_u32_u24_sdwa v96, v9, s44 dst_sel:DWORD dst_unused:UNUSED_PAD src0_sel:WORD_0 src1_sel:DWORD
	v_mul_u32_u24_sdwa v97, v9, s44 dst_sel:DWORD dst_unused:UNUSED_PAD src0_sel:WORD_1 src1_sel:DWORD
	;; [unrolled: 2-line block ×4, first 2 shown]
	ds_read2_b64 v[8:11], v71 offset1:32
	v_mul_u32_u24_sdwa v102, v36, s44 dst_sel:DWORD dst_unused:UNUSED_PAD src0_sel:WORD_0 src1_sel:DWORD
	v_mul_u32_u24_sdwa v36, v36, s44 dst_sel:DWORD dst_unused:UNUSED_PAD src0_sel:WORD_1 src1_sel:DWORD
	v_mul_u32_u24_sdwa v103, v37, s44 dst_sel:DWORD dst_unused:UNUSED_PAD src0_sel:WORD_0 src1_sel:DWORD
	v_mul_u32_u24_sdwa v37, v37, s44 dst_sel:DWORD dst_unused:UNUSED_PAD src0_sel:WORD_1 src1_sel:DWORD
	;; [unrolled: 2-line block ×4, first 2 shown]
	s_waitcnt lgkmcnt(0)
	v_pk_fma_f16 v17, v8, v102, v17
	v_pk_fma_f16 v40, v9, v102, v40
	;; [unrolled: 1-line block ×13, first 2 shown]
	v_mul_u32_u24_sdwa v19, v4, s44 dst_sel:DWORD dst_unused:UNUSED_PAD src0_sel:WORD_0 src1_sel:DWORD
	v_mul_u32_u24_sdwa v36, v4, s44 dst_sel:DWORD dst_unused:UNUSED_PAD src0_sel:WORD_1 src1_sel:DWORD
	v_mul_u32_u24_sdwa v37, v5, s44 dst_sel:DWORD dst_unused:UNUSED_PAD src0_sel:WORD_0 src1_sel:DWORD
	v_mul_u32_u24_sdwa v38, v5, s44 dst_sel:DWORD dst_unused:UNUSED_PAD src0_sel:WORD_1 src1_sel:DWORD
	;; [unrolled: 2-line block ×4, first 2 shown]
	ds_read2_b64 v[4:7], v71 offset0:64 offset1:96
	v_pk_fma_f16 v17, v10, v104, v17
	v_pk_fma_f16 v14, v10, v105, v14
	;; [unrolled: 1-line block ×3, first 2 shown]
	s_waitcnt lgkmcnt(0)
	v_pk_fma_f16 v10, v4, v76, v17
	v_pk_fma_f16 v11, v5, v76, v18
	v_pk_fma_f16 v13, v4, v77, v13
	v_pk_fma_f16 v12, v5, v77, v12
	v_pk_fma_f16 v14, v4, v78, v14
	v_pk_fma_f16 v16, v5, v78, v16
	v_pk_fma_f16 v4, v4, v79, v8
	v_pk_fma_f16 v5, v5, v79, v9
	v_pk_fma_f16 v17, v6, v80, v10
	v_pk_fma_f16 v18, v7, v80, v11
	ds_read_b128 v[8:11], v66 offset:416
	v_pk_fma_f16 v13, v6, v81, v13
	v_pk_fma_f16 v12, v7, v81, v12
	;; [unrolled: 1-line block ×6, first 2 shown]
	ds_read_b128 v[4:7], v66 offset:432
	s_waitcnt lgkmcnt(1)
	v_mul_u32_u24_sdwa v78, v8, s44 dst_sel:DWORD dst_unused:UNUSED_PAD src0_sel:WORD_0 src1_sel:DWORD
	v_mul_u32_u24_sdwa v79, v8, s44 dst_sel:DWORD dst_unused:UNUSED_PAD src0_sel:WORD_1 src1_sel:DWORD
	v_mul_u32_u24_sdwa v80, v9, s44 dst_sel:DWORD dst_unused:UNUSED_PAD src0_sel:WORD_0 src1_sel:DWORD
	v_mul_u32_u24_sdwa v81, v9, s44 dst_sel:DWORD dst_unused:UNUSED_PAD src0_sel:WORD_1 src1_sel:DWORD
	;; [unrolled: 2-line block ×4, first 2 shown]
	ds_read2_b64 v[8:11], v71 offset0:128 offset1:160
	s_waitcnt lgkmcnt(0)
	v_pk_fma_f16 v17, v8, v86, v17
	v_pk_fma_f16 v18, v9, v86, v18
	;; [unrolled: 1-line block ×12, first 2 shown]
	v_mul_u32_u24_sdwa v76, v4, s44 dst_sel:DWORD dst_unused:UNUSED_PAD src0_sel:WORD_0 src1_sel:DWORD
	v_mul_u32_u24_sdwa v77, v4, s44 dst_sel:DWORD dst_unused:UNUSED_PAD src0_sel:WORD_1 src1_sel:DWORD
	v_mul_u32_u24_sdwa v86, v5, s44 dst_sel:DWORD dst_unused:UNUSED_PAD src0_sel:WORD_0 src1_sel:DWORD
	v_mul_u32_u24_sdwa v87, v5, s44 dst_sel:DWORD dst_unused:UNUSED_PAD src0_sel:WORD_1 src1_sel:DWORD
	v_mul_u32_u24_sdwa v88, v6, s44 dst_sel:DWORD dst_unused:UNUSED_PAD src0_sel:WORD_0 src1_sel:DWORD
	v_mul_u32_u24_sdwa v89, v6, s44 dst_sel:DWORD dst_unused:UNUSED_PAD src0_sel:WORD_1 src1_sel:DWORD
	v_mul_u32_u24_sdwa v90, v7, s44 dst_sel:DWORD dst_unused:UNUSED_PAD src0_sel:WORD_0 src1_sel:DWORD
	v_mul_u32_u24_sdwa v91, v7, s44 dst_sel:DWORD dst_unused:UNUSED_PAD src0_sel:WORD_1 src1_sel:DWORD
	ds_read2_b64 v[4:7], v71 offset0:192 offset1:224
	v_pk_fma_f16 v14, v10, v92, v14
	v_pk_fma_f16 v16, v11, v92, v16
	;; [unrolled: 1-line block ×4, first 2 shown]
	s_waitcnt lgkmcnt(0)
	v_pk_fma_f16 v10, v4, v15, v17
	v_pk_fma_f16 v11, v5, v15, v18
	;; [unrolled: 1-line block ×10, first 2 shown]
	ds_read_b128 v[8:11], v66 offset:448
	v_pk_fma_f16 v13, v6, v85, v13
	v_pk_fma_f16 v12, v7, v85, v12
	;; [unrolled: 1-line block ×6, first 2 shown]
	ds_read_b128 v[4:7], v66 offset:464
	s_waitcnt lgkmcnt(1)
	v_mul_u32_u24_sdwa v74, v8, s44 dst_sel:DWORD dst_unused:UNUSED_PAD src0_sel:WORD_0 src1_sel:DWORD
	v_mul_u32_u24_sdwa v75, v8, s44 dst_sel:DWORD dst_unused:UNUSED_PAD src0_sel:WORD_1 src1_sel:DWORD
	v_mul_u32_u24_sdwa v84, v9, s44 dst_sel:DWORD dst_unused:UNUSED_PAD src0_sel:WORD_0 src1_sel:DWORD
	v_mul_u32_u24_sdwa v85, v9, s44 dst_sel:DWORD dst_unused:UNUSED_PAD src0_sel:WORD_1 src1_sel:DWORD
	;; [unrolled: 2-line block ×4, first 2 shown]
	ds_read2_b64 v[8:11], v72 offset1:32
	s_waitcnt lgkmcnt(0)
	v_pk_fma_f16 v16, v8, v41, v16
	v_pk_fma_f16 v17, v9, v41, v17
	;; [unrolled: 1-line block ×14, first 2 shown]
	v_mul_u32_u24_sdwa v41, v4, s44 dst_sel:DWORD dst_unused:UNUSED_PAD src0_sel:WORD_0 src1_sel:DWORD
	v_mul_u32_u24_sdwa v42, v4, s44 dst_sel:DWORD dst_unused:UNUSED_PAD src0_sel:WORD_1 src1_sel:DWORD
	v_mul_u32_u24_sdwa v43, v5, s44 dst_sel:DWORD dst_unused:UNUSED_PAD src0_sel:WORD_0 src1_sel:DWORD
	v_mul_u32_u24_sdwa v96, v5, s44 dst_sel:DWORD dst_unused:UNUSED_PAD src0_sel:WORD_1 src1_sel:DWORD
	v_mul_u32_u24_sdwa v97, v6, s44 dst_sel:DWORD dst_unused:UNUSED_PAD src0_sel:WORD_0 src1_sel:DWORD
	v_mul_u32_u24_sdwa v98, v6, s44 dst_sel:DWORD dst_unused:UNUSED_PAD src0_sel:WORD_1 src1_sel:DWORD
	v_mul_u32_u24_sdwa v99, v7, s44 dst_sel:DWORD dst_unused:UNUSED_PAD src0_sel:WORD_0 src1_sel:DWORD
	v_mul_u32_u24_sdwa v100, v7, s44 dst_sel:DWORD dst_unused:UNUSED_PAD src0_sel:WORD_1 src1_sel:DWORD
	ds_read2_b64 v[4:7], v72 offset0:64 offset1:96
	v_pk_fma_f16 v8, v10, v101, v8
	v_pk_fma_f16 v9, v11, v101, v9
	s_waitcnt lgkmcnt(0)
	v_pk_fma_f16 v10, v4, v19, v16
	v_pk_fma_f16 v11, v5, v19, v17
	;; [unrolled: 1-line block ×10, first 2 shown]
	ds_read_b128 v[8:11], v66 offset:480
	v_pk_fma_f16 v13, v6, v40, v13
	v_pk_fma_f16 v12, v7, v40, v12
	;; [unrolled: 1-line block ×6, first 2 shown]
	ds_read_b128 v[4:7], v66 offset:496
	s_waitcnt lgkmcnt(1)
	v_mul_u32_u24_sdwa v36, v8, s44 dst_sel:DWORD dst_unused:UNUSED_PAD src0_sel:WORD_0 src1_sel:DWORD
	v_mul_u32_u24_sdwa v37, v8, s44 dst_sel:DWORD dst_unused:UNUSED_PAD src0_sel:WORD_1 src1_sel:DWORD
	v_mul_u32_u24_sdwa v38, v9, s44 dst_sel:DWORD dst_unused:UNUSED_PAD src0_sel:WORD_0 src1_sel:DWORD
	v_mul_u32_u24_sdwa v39, v9, s44 dst_sel:DWORD dst_unused:UNUSED_PAD src0_sel:WORD_1 src1_sel:DWORD
	;; [unrolled: 2-line block ×4, first 2 shown]
	ds_read2_b64 v[8:11], v72 offset0:128 offset1:160
	s_waitcnt lgkmcnt(0)
	v_pk_fma_f16 v16, v8, v78, v16
	v_pk_fma_f16 v17, v9, v78, v17
	;; [unrolled: 1-line block ×16, first 2 shown]
	v_mul_u32_u24_sdwa v78, v4, s44 dst_sel:DWORD dst_unused:UNUSED_PAD src0_sel:WORD_0 src1_sel:DWORD
	v_mul_u32_u24_sdwa v79, v4, s44 dst_sel:DWORD dst_unused:UNUSED_PAD src0_sel:WORD_1 src1_sel:DWORD
	v_mul_u32_u24_sdwa v80, v5, s44 dst_sel:DWORD dst_unused:UNUSED_PAD src0_sel:WORD_0 src1_sel:DWORD
	v_mul_u32_u24_sdwa v81, v5, s44 dst_sel:DWORD dst_unused:UNUSED_PAD src0_sel:WORD_1 src1_sel:DWORD
	;; [unrolled: 2-line block ×4, first 2 shown]
	ds_read2_b64 v[4:7], v72 offset0:192 offset1:224
	s_waitcnt lgkmcnt(0)
	v_pk_fma_f16 v10, v4, v76, v16
	v_pk_fma_f16 v11, v5, v76, v17
	;; [unrolled: 1-line block ×10, first 2 shown]
	ds_read2_b64 v[8:11], v73 offset1:32
	v_pk_fma_f16 v13, v6, v89, v13
	v_pk_fma_f16 v12, v7, v89, v12
	;; [unrolled: 1-line block ×6, first 2 shown]
	ds_read2_b64 v[4:7], v73 offset0:64 offset1:96
	s_waitcnt lgkmcnt(1)
	v_pk_fma_f16 v16, v8, v74, v16
	v_pk_fma_f16 v17, v9, v74, v17
	;; [unrolled: 1-line block ×6, first 2 shown]
	ds_read2_b64 v[12:15], v73 offset0:128 offset1:160
	v_pk_fma_f16 v8, v8, v85, v18
	v_pk_fma_f16 v9, v9, v85, v19
	;; [unrolled: 1-line block ×4, first 2 shown]
	ds_read2_b64 v[16:19], v73 offset0:192 offset1:224
	s_waitcnt lgkmcnt(0)
	s_barrier
	s_load_dword s4, s[18:19], 0x4
	v_pk_fma_f16 v74, v10, v93, v74
	v_pk_fma_f16 v75, v11, v93, v75
	v_pk_fma_f16 v76, v10, v94, v76
	v_pk_fma_f16 v77, v11, v94, v77
	v_pk_fma_f16 v8, v10, v95, v8
	v_pk_fma_f16 v9, v11, v95, v9
	v_pk_fma_f16 v10, v4, v41, v84
	v_pk_fma_f16 v11, v5, v41, v85
	v_pk_fma_f16 v41, v4, v42, v74
	v_pk_fma_f16 v42, v5, v42, v75
	v_pk_fma_f16 v74, v4, v43, v76
	v_pk_fma_f16 v43, v5, v43, v77
	v_pk_fma_f16 v4, v4, v96, v8
	v_pk_fma_f16 v5, v5, v96, v9
	v_pk_fma_f16 v8, v6, v97, v10
	v_pk_fma_f16 v9, v7, v97, v11
	v_pk_fma_f16 v10, v6, v98, v41
	v_pk_fma_f16 v11, v7, v98, v42
	v_pk_fma_f16 v41, v6, v99, v74
	v_pk_fma_f16 v42, v7, v99, v43
	v_pk_fma_f16 v4, v6, v100, v4
	v_pk_fma_f16 v5, v7, v100, v5
	v_pk_fma_f16 v6, v12, v36, v8
	v_pk_fma_f16 v7, v13, v36, v9
	v_pk_fma_f16 v8, v12, v37, v10
	v_pk_fma_f16 v9, v13, v37, v11
	v_pk_fma_f16 v10, v12, v38, v41
	v_pk_fma_f16 v11, v13, v38, v42
	v_pk_fma_f16 v4, v12, v39, v4
	v_pk_fma_f16 v5, v13, v39, v5
	s_waitcnt lgkmcnt(0)
	s_lshl_b32 s4, s4, 6
	v_pk_fma_f16 v6, v14, v40, v6
	v_pk_fma_f16 v8, v14, v101, v8
	;; [unrolled: 1-line block ×8, first 2 shown]
	s_add_i32 s2, s4, s2
	v_pk_fma_f16 v6, v16, v78, v6
	v_pk_fma_f16 v8, v16, v79, v8
	;; [unrolled: 1-line block ×8, first 2 shown]
	s_cmp_ge_i32 s2, s36
	v_pk_fma_f16 v80, v18, v82, v6
	v_pk_fma_f16 v79, v18, v83, v8
	;; [unrolled: 1-line block ×8, first 2 shown]
	s_cbranch_scc0 .LBB37_9
.LBB37_10:
	v_cmp_lt_i32_e32 vcc, v57, v54
	s_cmp_lg_u64 s[20:21], 0
	s_cselect_b64 s[4:5], -1, 0
	v_cndmask_b32_e32 v4, v53, v57, vcc
	v_cmp_lt_i32_e32 vcc, v58, v54
	v_lshlrev_b32_e32 v7, 2, v4
	ds_bpermute_b32 v5, v7, v23
	v_cndmask_b32_e32 v4, v53, v58, vcc
	v_cmp_lt_i32_e32 vcc, v59, v54
	v_lshlrev_b32_e32 v11, 2, v4
	ds_bpermute_b32 v6, v7, v20
	v_cndmask_b32_e32 v4, v53, v59, vcc
	v_lshlrev_b32_e32 v12, 2, v4
	ds_bpermute_b32 v4, v7, v22
	ds_bpermute_b32 v7, v7, v21
	v_cmp_lt_i32_e32 vcc, v56, v54
	s_cmp_eq_u32 s3, 0
	s_cselect_b64 s[6:7], -1, 0
	s_waitcnt lgkmcnt(1)
	v_pk_add_f32 v[4:5], v[22:23], v[4:5]
	s_waitcnt lgkmcnt(0)
	v_pk_add_f32 v[6:7], v[20:21], v[6:7]
	ds_bpermute_b32 v8, v11, v4
	ds_bpermute_b32 v9, v11, v5
	;; [unrolled: 1-line block ×4, first 2 shown]
	v_cndmask_b32_e32 v13, v53, v56, vcc
	v_lshlrev_b32_e32 v13, 2, v13
	s_waitcnt lgkmcnt(2)
	v_pk_add_f32 v[4:5], v[4:5], v[8:9]
	ds_bpermute_b32 v8, v12, v4
	s_waitcnt lgkmcnt(1)
	v_pk_add_f32 v[6:7], v[6:7], v[10:11]
	ds_bpermute_b32 v9, v12, v5
	ds_bpermute_b32 v10, v12, v6
	;; [unrolled: 1-line block ×3, first 2 shown]
	v_cmp_lt_i32_e32 vcc, v55, v54
	s_and_b64 s[4:5], s[6:7], s[4:5]
	s_waitcnt lgkmcnt(2)
	v_pk_add_f32 v[4:5], v[4:5], v[8:9]
	ds_bpermute_b32 v8, v13, v4
	s_waitcnt lgkmcnt(1)
	v_pk_add_f32 v[6:7], v[6:7], v[10:11]
	ds_bpermute_b32 v9, v13, v5
	ds_bpermute_b32 v10, v13, v6
	;; [unrolled: 1-line block ×3, first 2 shown]
	v_cndmask_b32_e32 v12, v53, v55, vcc
	v_lshlrev_b32_e32 v13, 2, v12
	s_waitcnt lgkmcnt(2)
	v_pk_add_f32 v[4:5], v[4:5], v[8:9]
	ds_bpermute_b32 v8, v13, v4
	s_waitcnt lgkmcnt(1)
	v_pk_add_f32 v[10:11], v[6:7], v[10:11]
	ds_bpermute_b32 v9, v13, v5
	ds_bpermute_b32 v12, v13, v10
	;; [unrolled: 1-line block ×3, first 2 shown]
	s_and_b64 vcc, exec, s[4:5]
	s_waitcnt lgkmcnt(2)
	v_pk_add_f32 v[6:7], v[4:5], v[8:9]
	s_waitcnt lgkmcnt(0)
	v_pk_add_f32 v[4:5], v[10:11], v[12:13]
	s_cbranch_vccz .LBB37_12
; %bb.11:
	s_ashr_i32 s35, s34, 31
	s_lshl_b64 s[4:5], s[34:35], 2
	s_add_u32 s4, s20, s4
	s_addc_u32 s5, s21, s5
	v_mov_b32_e32 v8, 0
	global_load_dwordx2 v[12:13], v8, s[4:5]
	v_max_f32_e32 v8, v0, v0
	v_max_f32_e32 v9, v1, v1
	;; [unrolled: 1-line block ×3, first 2 shown]
	s_mov_b32 s5, 0x3fb8aa3b
	s_mov_b32 s2, 0xc2ce8ed0
	s_mov_b32 s4, 0x42b17218
	v_mov_b32_e32 v16, 0x7f800000
	s_waitcnt vmcnt(0)
	v_max_f32_e32 v11, v12, v12
	v_max_f32_e32 v8, v8, v11
	;; [unrolled: 1-line block ×3, first 2 shown]
	v_sub_f32_e32 v0, v0, v8
	v_max_f32_e32 v9, v9, v17
	v_max_f32_e32 v10, v10, v11
	v_sub_f32_e32 v11, v12, v8
	v_mul_f32_e32 v14, 0x3fb8aa3b, v0
	v_sub_f32_e32 v1, v1, v9
	v_mul_f32_e32 v18, 0x3fb8aa3b, v11
	v_fma_f32 v23, v0, s5, -v14
	v_rndne_f32_e32 v24, v14
	v_sub_f32_e32 v15, v13, v9
	v_mul_f32_e32 v19, 0x3fb8aa3b, v1
	v_fma_f32 v25, v11, s5, -v18
	v_rndne_f32_e32 v26, v18
	v_fmac_f32_e32 v23, 0x32a5705f, v0
	v_sub_f32_e32 v14, v14, v24
	v_sub_f32_e32 v2, v2, v10
	v_mul_f32_e32 v20, 0x3fb8aa3b, v15
	v_fma_f32 v27, v1, s5, -v19
	v_rndne_f32_e32 v28, v19
	v_fmac_f32_e32 v25, 0x32a5705f, v11
	v_sub_f32_e32 v18, v18, v26
	v_add_f32_e32 v14, v14, v23
	v_mul_f32_e32 v21, 0x3fb8aa3b, v2
	v_fma_f32 v29, v15, s5, -v20
	v_rndne_f32_e32 v30, v20
	v_cvt_i32_f32_e32 v24, v24
	v_fmac_f32_e32 v27, 0x32a5705f, v1
	v_sub_f32_e32 v19, v19, v28
	v_add_f32_e32 v18, v18, v25
	v_exp_f32_e32 v14, v14
	v_fma_f32 v31, v2, s5, -v21
	v_rndne_f32_e32 v32, v21
	v_cvt_i32_f32_e32 v26, v26
	v_fmac_f32_e32 v29, 0x32a5705f, v15
	v_sub_f32_e32 v20, v20, v30
	v_add_f32_e32 v19, v19, v27
	v_exp_f32_e32 v18, v18
	v_cvt_i32_f32_e32 v28, v28
	v_fmac_f32_e32 v31, 0x32a5705f, v2
	v_sub_f32_e32 v21, v21, v32
	v_add_f32_e32 v20, v20, v29
	v_exp_f32_e32 v19, v19
	v_cvt_i32_f32_e32 v30, v30
	v_add_f32_e32 v21, v21, v31
	v_exp_f32_e32 v20, v20
	v_cvt_i32_f32_e32 v32, v32
	v_exp_f32_e32 v21, v21
	v_ldexp_f32 v14, v14, v24
	v_cmp_ngt_f32_e32 vcc, s2, v0
	v_ldexp_f32 v18, v18, v26
	v_ldexp_f32 v19, v19, v28
	v_cndmask_b32_e32 v14, 0, v14, vcc
	v_cmp_ngt_f32_e32 vcc, s2, v11
	v_sub_f32_e32 v12, v12, v10
	v_ldexp_f32 v20, v20, v30
	v_cndmask_b32_e32 v18, 0, v18, vcc
	v_cmp_ngt_f32_e32 vcc, s2, v1
	v_mul_f32_e32 v22, 0x3fb8aa3b, v12
	v_ldexp_f32 v21, v21, v32
	v_cndmask_b32_e32 v19, 0, v19, vcc
	v_cmp_ngt_f32_e32 vcc, s2, v15
	v_fma_f32 v33, v12, s5, -v22
	v_rndne_f32_e32 v34, v22
	v_cndmask_b32_e32 v20, 0, v20, vcc
	v_cmp_ngt_f32_e32 vcc, s2, v2
	v_fmac_f32_e32 v33, 0x32a5705f, v12
	v_sub_f32_e32 v22, v22, v34
	v_cndmask_b32_e32 v21, 0, v21, vcc
	v_cmp_nlt_f32_e32 vcc, s4, v0
	v_add_f32_e32 v22, v22, v33
	v_cvt_i32_f32_e32 v34, v34
	v_cndmask_b32_e32 v0, v16, v14, vcc
	v_cmp_nlt_f32_e32 vcc, s4, v11
	v_cvt_f16_f32_e32 v11, v0
	v_exp_f32_e32 v22, v22
	v_cndmask_b32_e32 v14, v16, v18, vcc
	v_cmp_nlt_f32_e32 vcc, s4, v1
	v_mul_u32_u24_e32 v11, 0x10001, v11
	v_pk_mul_f16 v80, v80, v11
	v_cndmask_b32_e32 v1, v16, v19, vcc
	v_cmp_nlt_f32_e32 vcc, s4, v15
	v_pk_mul_f16 v81, v81, v11
	v_ldexp_f32 v11, v22, v34
	v_cndmask_b32_e32 v15, v16, v20, vcc
	v_cmp_nlt_f32_e32 vcc, s4, v2
	v_cvt_f16_f32_e32 v18, v1
	v_pk_fma_f32 v[6:7], v[6:7], v[0:1], v[14:15]
	v_cndmask_b32_e32 v2, v16, v21, vcc
	v_cmp_ngt_f32_e32 vcc, s2, v12
	v_mul_u32_u24_e32 v18, 0x10001, v18
	v_pk_mul_f16 v79, v79, v18
	v_cndmask_b32_e32 v11, 0, v11, vcc
	v_cmp_nlt_f32_e32 vcc, s4, v12
	v_pk_mul_f16 v78, v78, v18
	v_cvt_f16_f32_e32 v18, v2
	v_cndmask_b32_e32 v12, v16, v11, vcc
	v_max_f32_e32 v11, v3, v3
	v_max_f32_e32 v11, v11, v17
	v_sub_f32_e32 v3, v3, v11
	v_mul_f32_e32 v17, 0x3fb8aa3b, v3
	v_fma_f32 v19, v3, s5, -v17
	v_rndne_f32_e32 v20, v17
	v_fmac_f32_e32 v19, 0x32a5705f, v3
	v_sub_f32_e32 v17, v17, v20
	v_add_f32_e32 v17, v17, v19
	v_exp_f32_e32 v17, v17
	v_cvt_i32_f32_e32 v19, v20
	v_mul_u32_u24_e32 v18, 0x10001, v18
	v_sub_f32_e32 v13, v13, v11
	v_pk_mul_f16 v77, v77, v18
	v_pk_mul_f16 v76, v76, v18
	v_mul_f32_e32 v18, 0x3fb8aa3b, v13
	v_ldexp_f32 v17, v17, v19
	v_fma_f32 v19, v13, s5, -v18
	v_rndne_f32_e32 v20, v18
	v_fmac_f32_e32 v19, 0x32a5705f, v13
	v_sub_f32_e32 v18, v18, v20
	v_add_f32_e32 v18, v18, v19
	v_exp_f32_e32 v18, v18
	v_cvt_i32_f32_e32 v19, v20
	v_cmp_ngt_f32_e32 vcc, s2, v3
	s_nop 1
	v_cndmask_b32_e32 v17, 0, v17, vcc
	v_cmp_nlt_f32_e32 vcc, s4, v3
	s_nop 1
	v_cndmask_b32_e32 v3, v16, v17, vcc
	v_ldexp_f32 v17, v18, v19
	v_cvt_f16_f32_e32 v18, v3
	v_cmp_ngt_f32_e32 vcc, s2, v13
	s_nop 1
	v_cndmask_b32_e32 v17, 0, v17, vcc
	v_cmp_nlt_f32_e32 vcc, s4, v13
	s_nop 1
	v_cndmask_b32_e32 v13, v16, v17, vcc
	v_mul_u32_u24_e32 v16, 0x10001, v18
	v_pk_fma_f32 v[4:5], v[4:5], v[2:3], v[12:13]
	v_mov_b64_e32 v[0:1], v[8:9]
	v_pk_mul_f16 v75, v75, v16
	v_pk_mul_f16 v74, v74, v16
	v_mov_b64_e32 v[2:3], v[10:11]
.LBB37_12:
	v_cmp_gt_i32_e32 vcc, s30, v51
	s_and_saveexec_b64 s[4:5], vcc
	s_cbranch_execz .LBB37_31
; %bb.13:
	s_load_dword s2, s[0:1], 0xd4
	v_mov_b32_e32 v8, 1.0
	s_waitcnt lgkmcnt(0)
	s_cmp_lg_u32 s2, 1
	s_cselect_b64 s[0:1], -1, 0
	s_cmp_eq_u32 s2, 1
	s_cselect_b64 s[6:7], -1, 0
	s_and_b64 vcc, exec, s[0:1]
	s_cbranch_vccnz .LBB37_15
; %bb.14:
	v_div_scale_f32 v8, s[4:5], v6, v6, 1.0
	v_rcp_f32_e32 v9, v8
	v_div_scale_f32 v10, vcc, 1.0, v6, 1.0
	v_fma_f32 v11, -v8, v9, 1.0
	v_fmac_f32_e32 v9, v11, v9
	v_mul_f32_e32 v11, v10, v9
	v_fma_f32 v12, -v8, v11, v10
	v_fmac_f32_e32 v11, v12, v9
	v_fma_f32 v8, -v8, v11, v10
	v_div_fmas_f32 v8, v8, v9, v11
	v_div_fixup_f32 v8, v8, v6, 1.0
.LBB37_15:
	s_mul_i32 s8, s33, s30
	s_add_i32 s8, s8, s37
	v_add_u32_e32 v9, s8, v48
	v_mul_lo_u32 v9, v9, s31
	v_add_u32_e32 v10, s34, v9
	v_cvt_f32_f16_sdwa v15, v80 dst_sel:DWORD dst_unused:UNUSED_PAD src0_sel:WORD_1
	v_cvt_f32_f16_e32 v14, v80
	v_cvt_f32_f16_sdwa v17, v81 dst_sel:DWORD dst_unused:UNUSED_PAD src0_sel:WORD_1
	v_cvt_f32_f16_e32 v16, v81
	v_mul_lo_u32 v10, s2, v10
	v_add_u32_e32 v10, s3, v10
	v_cmp_eq_u32_e32 vcc, 0, v49
	v_lshl_add_u32 v12, v10, 7, v50
	v_mov_b32_e32 v13, 0
	v_lshl_add_u64 v[18:19], v[12:13], 2, s[24:25]
	v_pk_mul_f32 v[12:13], v[8:9], v[14:15] op_sel_hi:[0,1]
	v_pk_mul_f32 v[14:15], v[8:9], v[16:17] op_sel_hi:[0,1]
	s_and_b64 s[4:5], vcc, s[0:1]
	global_store_dwordx4 v[18:19], v[12:15], off
	s_and_saveexec_b64 s[0:1], s[4:5]
	s_cbranch_execz .LBB37_17
; %bb.16:
	v_ashrrev_i32_e32 v11, 31, v10
	v_lshl_add_u64 v[10:11], v[10:11], 3, s[26:27]
	v_mov_b32_e32 v12, v0
	v_mov_b32_e32 v13, v6
	global_store_dwordx2 v[10:11], v[12:13], off
.LBB37_17:
	s_or_b64 exec, exec, s[0:1]
	v_cndmask_b32_e64 v0, 0, 1, s[6:7]
	v_cmp_ne_u32_e64 s[0:1], 1, v0
	s_andn2_b64 vcc, exec, s[6:7]
	v_mov_b32_e32 v0, 1.0
	s_cbranch_vccnz .LBB37_19
; %bb.18:
	v_div_scale_f32 v0, s[6:7], v7, v7, 1.0
	v_rcp_f32_e32 v6, v0
	v_div_scale_f32 v8, vcc, 1.0, v7, 1.0
	v_fma_f32 v10, -v0, v6, 1.0
	v_fmac_f32_e32 v6, v10, v6
	v_mul_f32_e32 v10, v8, v6
	v_fma_f32 v11, -v0, v10, v8
	v_fmac_f32_e32 v10, v11, v6
	v_fma_f32 v0, -v0, v10, v8
	v_div_fmas_f32 v0, v0, v6, v10
	v_div_fixup_f32 v0, v0, v7, 1.0
.LBB37_19:
	s_add_i32 s9, s34, 1
	v_add_u32_e32 v6, s9, v9
	v_cvt_f32_f16_sdwa v13, v79 dst_sel:DWORD dst_unused:UNUSED_PAD src0_sel:WORD_1
	v_cvt_f32_f16_e32 v12, v79
	v_cvt_f32_f16_sdwa v15, v78 dst_sel:DWORD dst_unused:UNUSED_PAD src0_sel:WORD_1
	v_cvt_f32_f16_e32 v14, v78
	v_mul_lo_u32 v6, s2, v6
	v_add_u32_e32 v8, s3, v6
	v_lshl_add_u32 v10, v8, 7, v50
	v_mov_b32_e32 v11, 0
	v_lshl_add_u64 v[16:17], v[10:11], 2, s[24:25]
	v_pk_mul_f32 v[10:11], v[0:1], v[12:13] op_sel_hi:[0,1]
	v_pk_mul_f32 v[12:13], v[0:1], v[14:15] op_sel_hi:[0,1]
	global_store_dwordx4 v[16:17], v[10:13], off
	s_and_saveexec_b64 s[6:7], s[4:5]
	s_cbranch_execz .LBB37_21
; %bb.20:
	v_ashrrev_i32_e32 v9, 31, v8
	v_lshl_add_u64 v[8:9], v[8:9], 3, s[26:27]
	v_mov_b32_e32 v6, v1
	global_store_dwordx2 v[8:9], v[6:7], off
.LBB37_21:
	s_or_b64 exec, exec, s[6:7]
	v_cmp_gt_i32_e32 vcc, s30, v47
	s_and_b64 exec, exec, vcc
	s_cbranch_execz .LBB37_31
; %bb.22:
	s_and_b64 vcc, exec, s[0:1]
	v_mov_b32_e32 v6, 1.0
	s_cbranch_vccnz .LBB37_24
; %bb.23:
	v_div_scale_f32 v0, s[6:7], v4, v4, 1.0
	v_rcp_f32_e32 v1, v0
	v_div_scale_f32 v6, vcc, 1.0, v4, 1.0
	v_fma_f32 v7, -v0, v1, 1.0
	v_fmac_f32_e32 v1, v7, v1
	v_mul_f32_e32 v7, v6, v1
	v_fma_f32 v8, -v0, v7, v6
	v_fmac_f32_e32 v7, v8, v1
	v_fma_f32 v0, -v0, v7, v6
	v_div_fmas_f32 v0, v0, v1, v7
	v_div_fixup_f32 v6, v0, v4, 1.0
.LBB37_24:
	v_add_u32_e32 v0, s8, v46
	v_mul_lo_u32 v0, v0, s31
	v_add_u32_e32 v0, s34, v0
	v_cvt_f32_f16_sdwa v11, v77 dst_sel:DWORD dst_unused:UNUSED_PAD src0_sel:WORD_1
	v_cvt_f32_f16_e32 v10, v77
	v_cvt_f32_f16_sdwa v13, v76 dst_sel:DWORD dst_unused:UNUSED_PAD src0_sel:WORD_1
	v_cvt_f32_f16_e32 v12, v76
	v_mul_lo_u32 v0, s2, v0
	v_add_u32_e32 v0, s3, v0
	v_lshl_add_u32 v8, v0, 7, v50
	v_mov_b32_e32 v9, 0
	v_lshl_add_u64 v[14:15], v[8:9], 2, s[24:25]
	v_pk_mul_f32 v[8:9], v[6:7], v[10:11] op_sel_hi:[0,1]
	v_pk_mul_f32 v[10:11], v[6:7], v[12:13] op_sel_hi:[0,1]
	global_store_dwordx4 v[14:15], v[8:11], off
	s_and_saveexec_b64 s[6:7], s[4:5]
	s_cbranch_execz .LBB37_26
; %bb.25:
	v_ashrrev_i32_e32 v1, 31, v0
	v_lshl_add_u64 v[0:1], v[0:1], 3, s[26:27]
	v_mov_b32_e32 v6, v2
	v_mov_b32_e32 v7, v4
	global_store_dwordx2 v[0:1], v[6:7], off
.LBB37_26:
	s_or_b64 exec, exec, s[6:7]
	v_cmp_gt_i32_e32 vcc, s30, v45
	s_and_b64 exec, exec, vcc
	s_cbranch_execz .LBB37_31
; %bb.27:
	s_and_b64 vcc, exec, s[0:1]
	v_mov_b32_e32 v2, 1.0
	s_cbranch_vccnz .LBB37_29
; %bb.28:
	v_div_scale_f32 v0, s[0:1], v5, v5, 1.0
	v_rcp_f32_e32 v1, v0
	v_div_scale_f32 v2, vcc, 1.0, v5, 1.0
	v_fma_f32 v4, -v0, v1, 1.0
	v_fmac_f32_e32 v1, v4, v1
	v_mul_f32_e32 v4, v2, v1
	v_fma_f32 v6, -v0, v4, v2
	v_fmac_f32_e32 v4, v6, v1
	v_fma_f32 v0, -v0, v4, v2
	v_div_fmas_f32 v0, v0, v1, v4
	v_div_fixup_f32 v2, v0, v5, 1.0
.LBB37_29:
	v_add_u32_e32 v0, s8, v44
	v_mul_lo_u32 v0, v0, s31
	v_add_u32_e32 v0, s9, v0
	v_cvt_f32_f16_sdwa v9, v75 dst_sel:DWORD dst_unused:UNUSED_PAD src0_sel:WORD_1
	v_cvt_f32_f16_e32 v8, v75
	v_cvt_f32_f16_sdwa v11, v74 dst_sel:DWORD dst_unused:UNUSED_PAD src0_sel:WORD_1
	v_cvt_f32_f16_e32 v10, v74
	v_mul_lo_u32 v0, s2, v0
	v_add_u32_e32 v0, s3, v0
	v_lshl_add_u32 v6, v0, 7, v50
	v_mov_b32_e32 v7, 0
	v_lshl_add_u64 v[12:13], v[6:7], 2, s[24:25]
	v_pk_mul_f32 v[6:7], v[2:3], v[8:9] op_sel_hi:[0,1]
	v_pk_mul_f32 v[8:9], v[2:3], v[10:11] op_sel_hi:[0,1]
	global_store_dwordx4 v[12:13], v[6:9], off
	s_and_b64 exec, exec, s[4:5]
	s_cbranch_execz .LBB37_31
; %bb.30:
	v_ashrrev_i32_e32 v1, 31, v0
	v_lshl_add_u64 v[0:1], v[0:1], 3, s[26:27]
	v_mov_b32_e32 v4, v3
	global_store_dwordx2 v[0:1], v[4:5], off
.LBB37_31:
	s_endpgm
	.section	.rodata,"a",@progbits
	.p2align	6, 0x0
	.amdhsa_kernel _ZL15flash_attn_tileILi128ELi128ELi16ELi2ELb0EEvPKcS1_S1_S1_S1_PKiPfP15HIP_vector_typeIfLj2EEffffjfiS5_IjLj3EEiiiiiiiiiiiliiliiiiil
		.amdhsa_group_segment_fixed_size 21504
		.amdhsa_private_segment_fixed_size 0
		.amdhsa_kernarg_size 464
		.amdhsa_user_sgpr_count 2
		.amdhsa_user_sgpr_dispatch_ptr 0
		.amdhsa_user_sgpr_queue_ptr 0
		.amdhsa_user_sgpr_kernarg_segment_ptr 1
		.amdhsa_user_sgpr_dispatch_id 0
		.amdhsa_user_sgpr_kernarg_preload_length 0
		.amdhsa_user_sgpr_kernarg_preload_offset 0
		.amdhsa_user_sgpr_private_segment_size 0
		.amdhsa_uses_dynamic_stack 0
		.amdhsa_enable_private_segment 0
		.amdhsa_system_sgpr_workgroup_id_x 1
		.amdhsa_system_sgpr_workgroup_id_y 1
		.amdhsa_system_sgpr_workgroup_id_z 1
		.amdhsa_system_sgpr_workgroup_info 0
		.amdhsa_system_vgpr_workitem_id 1
		.amdhsa_next_free_vgpr 115
		.amdhsa_next_free_sgpr 75
		.amdhsa_accum_offset 116
		.amdhsa_reserve_vcc 1
		.amdhsa_float_round_mode_32 0
		.amdhsa_float_round_mode_16_64 0
		.amdhsa_float_denorm_mode_32 3
		.amdhsa_float_denorm_mode_16_64 3
		.amdhsa_dx10_clamp 1
		.amdhsa_ieee_mode 1
		.amdhsa_fp16_overflow 0
		.amdhsa_tg_split 0
		.amdhsa_exception_fp_ieee_invalid_op 0
		.amdhsa_exception_fp_denorm_src 0
		.amdhsa_exception_fp_ieee_div_zero 0
		.amdhsa_exception_fp_ieee_overflow 0
		.amdhsa_exception_fp_ieee_underflow 0
		.amdhsa_exception_fp_ieee_inexact 0
		.amdhsa_exception_int_div_zero 0
	.end_amdhsa_kernel
	.section	.text._ZL15flash_attn_tileILi128ELi128ELi16ELi2ELb0EEvPKcS1_S1_S1_S1_PKiPfP15HIP_vector_typeIfLj2EEffffjfiS5_IjLj3EEiiiiiiiiiiiliiliiiiil,"axG",@progbits,_ZL15flash_attn_tileILi128ELi128ELi16ELi2ELb0EEvPKcS1_S1_S1_S1_PKiPfP15HIP_vector_typeIfLj2EEffffjfiS5_IjLj3EEiiiiiiiiiiiliiliiiiil,comdat
.Lfunc_end37:
	.size	_ZL15flash_attn_tileILi128ELi128ELi16ELi2ELb0EEvPKcS1_S1_S1_S1_PKiPfP15HIP_vector_typeIfLj2EEffffjfiS5_IjLj3EEiiiiiiiiiiiliiliiiiil, .Lfunc_end37-_ZL15flash_attn_tileILi128ELi128ELi16ELi2ELb0EEvPKcS1_S1_S1_S1_PKiPfP15HIP_vector_typeIfLj2EEffffjfiS5_IjLj3EEiiiiiiiiiiiliiliiiiil
                                        ; -- End function
	.set _ZL15flash_attn_tileILi128ELi128ELi16ELi2ELb0EEvPKcS1_S1_S1_S1_PKiPfP15HIP_vector_typeIfLj2EEffffjfiS5_IjLj3EEiiiiiiiiiiiliiliiiiil.num_vgpr, 115
	.set _ZL15flash_attn_tileILi128ELi128ELi16ELi2ELb0EEvPKcS1_S1_S1_S1_PKiPfP15HIP_vector_typeIfLj2EEffffjfiS5_IjLj3EEiiiiiiiiiiiliiliiiiil.num_agpr, 0
	.set _ZL15flash_attn_tileILi128ELi128ELi16ELi2ELb0EEvPKcS1_S1_S1_S1_PKiPfP15HIP_vector_typeIfLj2EEffffjfiS5_IjLj3EEiiiiiiiiiiiliiliiiiil.numbered_sgpr, 45
	.set _ZL15flash_attn_tileILi128ELi128ELi16ELi2ELb0EEvPKcS1_S1_S1_S1_PKiPfP15HIP_vector_typeIfLj2EEffffjfiS5_IjLj3EEiiiiiiiiiiiliiliiiiil.num_named_barrier, 0
	.set _ZL15flash_attn_tileILi128ELi128ELi16ELi2ELb0EEvPKcS1_S1_S1_S1_PKiPfP15HIP_vector_typeIfLj2EEffffjfiS5_IjLj3EEiiiiiiiiiiiliiliiiiil.private_seg_size, 0
	.set _ZL15flash_attn_tileILi128ELi128ELi16ELi2ELb0EEvPKcS1_S1_S1_S1_PKiPfP15HIP_vector_typeIfLj2EEffffjfiS5_IjLj3EEiiiiiiiiiiiliiliiiiil.uses_vcc, 1
	.set _ZL15flash_attn_tileILi128ELi128ELi16ELi2ELb0EEvPKcS1_S1_S1_S1_PKiPfP15HIP_vector_typeIfLj2EEffffjfiS5_IjLj3EEiiiiiiiiiiiliiliiiiil.uses_flat_scratch, 0
	.set _ZL15flash_attn_tileILi128ELi128ELi16ELi2ELb0EEvPKcS1_S1_S1_S1_PKiPfP15HIP_vector_typeIfLj2EEffffjfiS5_IjLj3EEiiiiiiiiiiiliiliiiiil.has_dyn_sized_stack, 0
	.set _ZL15flash_attn_tileILi128ELi128ELi16ELi2ELb0EEvPKcS1_S1_S1_S1_PKiPfP15HIP_vector_typeIfLj2EEffffjfiS5_IjLj3EEiiiiiiiiiiiliiliiiiil.has_recursion, 0
	.set _ZL15flash_attn_tileILi128ELi128ELi16ELi2ELb0EEvPKcS1_S1_S1_S1_PKiPfP15HIP_vector_typeIfLj2EEffffjfiS5_IjLj3EEiiiiiiiiiiiliiliiiiil.has_indirect_call, 0
	.section	.AMDGPU.csdata,"",@progbits
; Kernel info:
; codeLenInByte = 24192
; TotalNumSgprs: 51
; NumVgprs: 115
; NumAgprs: 0
; TotalNumVgprs: 115
; ScratchSize: 0
; MemoryBound: 0
; FloatMode: 240
; IeeeMode: 1
; LDSByteSize: 21504 bytes/workgroup (compile time only)
; SGPRBlocks: 10
; VGPRBlocks: 14
; NumSGPRsForWavesPerEU: 81
; NumVGPRsForWavesPerEU: 115
; AccumOffset: 116
; Occupancy: 4
; WaveLimiterHint : 1
; COMPUTE_PGM_RSRC2:SCRATCH_EN: 0
; COMPUTE_PGM_RSRC2:USER_SGPR: 2
; COMPUTE_PGM_RSRC2:TRAP_HANDLER: 0
; COMPUTE_PGM_RSRC2:TGID_X_EN: 1
; COMPUTE_PGM_RSRC2:TGID_Y_EN: 1
; COMPUTE_PGM_RSRC2:TGID_Z_EN: 1
; COMPUTE_PGM_RSRC2:TIDIG_COMP_CNT: 1
; COMPUTE_PGM_RSRC3_GFX90A:ACCUM_OFFSET: 28
; COMPUTE_PGM_RSRC3_GFX90A:TG_SPLIT: 0
	.section	.text._ZL33flash_attn_stream_k_fixup_uniformILi128ELi16ELi2EEvPfPK15HIP_vector_typeIfLj2EEiiiiiiS1_IjLj3EES5_S5_,"axG",@progbits,_ZL33flash_attn_stream_k_fixup_uniformILi128ELi16ELi2EEvPfPK15HIP_vector_typeIfLj2EEiiiiiiS1_IjLj3EES5_S5_,comdat
	.globl	_ZL33flash_attn_stream_k_fixup_uniformILi128ELi16ELi2EEvPfPK15HIP_vector_typeIfLj2EEiiiiiiS1_IjLj3EES5_S5_ ; -- Begin function _ZL33flash_attn_stream_k_fixup_uniformILi128ELi16ELi2EEvPfPK15HIP_vector_typeIfLj2EEiiiiiiS1_IjLj3EES5_S5_
	.p2align	8
	.type	_ZL33flash_attn_stream_k_fixup_uniformILi128ELi16ELi2EEvPfPK15HIP_vector_typeIfLj2EEiiiiiiS1_IjLj3EES5_S5_,@function
_ZL33flash_attn_stream_k_fixup_uniformILi128ELi16ELi2EEvPfPK15HIP_vector_typeIfLj2EEiiiiiiS1_IjLj3EES5_S5_: ; @_ZL33flash_attn_stream_k_fixup_uniformILi128ELi16ELi2EEvPfPK15HIP_vector_typeIfLj2EEiiiiiiS1_IjLj3EES5_S5_
; %bb.0:
	s_load_dwordx8 s[8:15], s[0:1], 0x1c
	s_load_dwordx2 s[6:7], s[0:1], 0x10
	s_load_dwordx4 s[20:23], s[0:1], 0x3c
	s_waitcnt lgkmcnt(0)
	s_mul_hi_u32 s5, s11, s2
	s_add_i32 s5, s2, s5
	s_lshr_b32 s5, s5, s12
	s_mul_i32 s11, s5, s13
	s_sub_i32 s11, s2, s11
	s_mul_hi_u32 s12, s11, s14
	s_add_i32 s12, s11, s12
	s_lshr_b32 s16, s12, s15
	s_mul_i32 s12, s16, s20
	s_sub_i32 s11, s11, s12
	;; [unrolled: 5-line block ×3, first 2 shown]
	s_lshl_b32 s11, s12, 1
	s_lshl_b32 s12, s17, 4
	s_add_i32 s12, s12, s3
	s_cmp_lt_i32 s12, s6
	s_cselect_b64 s[12:13], -1, 0
	s_add_i32 s14, s11, s4
	s_cmp_lt_i32 s14, s9
	s_cselect_b64 s[14:15], -1, 0
	s_and_b64 s[12:13], s[12:13], s[14:15]
	s_andn2_b64 vcc, exec, s[12:13]
	s_cbranch_vccnz .LBB38_6
; %bb.1:
	s_load_dwordx4 s[12:15], s[0:1], 0x0
	s_mul_i32 s0, s5, s6
	s_add_i32 s0, s0, s3
	s_mul_i32 s0, s0, s7
	s_mul_i32 s16, s16, s9
	s_add_i32 s0, s0, s4
	s_add_i32 s0, s0, s16
	s_mul_i32 s1, s7, s17
	s_add_i32 s0, s0, s11
	s_lshl_b32 s1, s1, 11
	s_lshl_b32 s0, s0, 7
	s_add_i32 s1, s1, s0
	v_or_b32_e32 v4, s1, v0
	s_waitcnt lgkmcnt(0)
	v_mov_b32_e32 v2, s12
	v_mov_b32_e32 v3, s13
	v_ashrrev_i32_e32 v5, 31, v4
	v_lshl_add_u64 v[2:3], v[4:5], 2, v[2:3]
	global_load_dword v5, v[2:3], off
	s_mul_i32 s5, s10, s2
	s_lshl_b32 s11, s3, 1
	s_add_i32 s9, s5, s10
	s_add_i32 s0, s11, s4
	s_lshl_b32 s1, s9, 5
	s_add_i32 s0, s0, s1
	s_sub_i32 s0, s0, 32
	s_ashr_i32 s1, s0, 31
	s_lshl_b64 s[0:1], s[0:1], 3
	s_add_u32 s0, s14, s0
	s_addc_u32 s1, s15, s1
	s_load_dword s12, s[0:1], 0x4
	s_add_i32 s6, s9, -2
	s_cmp_lt_i32 s6, s5
	s_cbranch_scc1 .LBB38_4
; %bb.2:
	s_lshl_b32 s6, s8, 7
	s_ashr_i32 s7, s6, 31
	s_lshl_b64 s[6:7], s[6:7], 2
	s_add_u32 s6, s14, s6
	s_addc_u32 s7, s15, s7
	s_add_i32 s2, s2, 1
	s_load_dword s0, s[0:1], 0x0
	s_mul_i32 s1, s10, s2
	s_lshl_b32 s3, s3, 8
	s_lshl_b32 s10, s4, 7
	s_lshl_b32 s2, s1, 12
	s_add_i32 s3, s10, s3
	s_lshl_b32 s1, s1, 5
	s_add_i32 s3, s3, s2
	s_add_i32 s1, s4, s1
	s_lshl_b32 s2, s8, 5
	s_add_i32 s1, s1, s2
	v_or_b32_e32 v0, s3, v0
	s_add_i32 s1, s1, s11
	s_add_i32 s9, s9, -1
	v_add_u32_e32 v0, 0xffffe000, v0
	s_sub_i32 s2, s1, 64
	s_waitcnt lgkmcnt(0)
	v_mov_b32_e32 v7, s0
	v_mov_b32_e32 v4, s12
	s_mov_b32 s4, 0x3fb8aa3b
	s_mov_b32 s8, 0xc2ce8ed0
	;; [unrolled: 1-line block ×3, first 2 shown]
	v_mov_b32_e32 v6, 0x7f800000
	s_mov_b32 s11, 0xc1a00000
.LBB38_3:                               ; =>This Inner Loop Header: Depth=1
	v_ashrrev_i32_e32 v1, 31, v0
	v_lshl_add_u64 v[8:9], v[0:1], 2, s[6:7]
	global_load_dword v9, v[8:9], off
	s_ashr_i32 s3, s2, 31
	s_lshl_b64 s[0:1], s[2:3], 3
	s_add_u32 s0, s14, s0
	s_addc_u32 s1, s15, s1
	s_load_dwordx2 s[0:1], s[0:1], 0x0
	v_max_f32_e32 v1, v7, v7
	s_add_i32 s9, s9, -1
	s_sub_i32 s2, s2, 32
	v_add_u32_e32 v0, 0xfffff000, v0
	s_waitcnt lgkmcnt(0)
	v_max_f32_e64 v10, s0, s0
	v_max_f32_e32 v1, v1, v10
	v_sub_f32_e32 v11, s0, v1
	v_sub_f32_e32 v10, v7, v1
	v_mul_f32_e32 v12, 0x3fb8aa3b, v11
	v_mov_b32_e32 v7, v1
	v_mul_f32_e32 v1, 0x3fb8aa3b, v10
	v_fma_f32 v15, v11, s4, -v12
	v_rndne_f32_e32 v16, v12
	v_fma_f32 v13, v10, s4, -v1
	v_rndne_f32_e32 v14, v1
	v_fmac_f32_e32 v15, 0x32a5705f, v11
	v_sub_f32_e32 v12, v12, v16
	v_fmac_f32_e32 v13, 0x32a5705f, v10
	v_sub_f32_e32 v1, v1, v14
	v_add_f32_e32 v12, v12, v15
	v_cvt_i32_f32_e32 v16, v16
	v_add_f32_e32 v1, v1, v13
	v_exp_f32_e32 v12, v12
	v_cvt_i32_f32_e32 v14, v14
	v_exp_f32_e32 v1, v1
	v_cmp_ngt_f32_e32 vcc, s8, v11
	v_ldexp_f32 v12, v12, v16
	v_mov_b32_e32 v8, s1
	v_ldexp_f32 v1, v1, v14
	v_cmp_ngt_f32_e64 s[0:1], s8, v10
	v_cndmask_b32_e32 v12, 0, v12, vcc
	v_cmp_nlt_f32_e32 vcc, s10, v11
	v_cndmask_b32_e64 v1, 0, v1, s[0:1]
	v_cmp_nlt_f32_e64 s[0:1], s10, v10
	v_cndmask_b32_e32 v12, v6, v12, vcc
	v_cmp_le_f32_e32 vcc, s11, v11
	v_cndmask_b32_e64 v1, v6, v1, s[0:1]
	v_cmp_le_f32_e64 s[0:1], s11, v10
	v_cndmask_b32_e32 v12, 0, v12, vcc
	s_cmp_le_i32 s9, s5
	v_cndmask_b32_e64 v10, 0, v1, s[0:1]
	s_waitcnt vmcnt(0)
	v_pk_mul_f32 v[8:9], v[8:9], v[12:13] op_sel_hi:[1,0]
	s_nop 0
	v_pk_fma_f32 v[4:5], v[4:5], v[10:11], v[8:9] op_sel_hi:[1,0,1]
	s_cbranch_scc0 .LBB38_3
	s_branch .LBB38_5
.LBB38_4:
	s_waitcnt lgkmcnt(0)
	v_mov_b32_e32 v4, s12
.LBB38_5:
	s_waitcnt vmcnt(0)
	v_div_scale_f32 v0, s[0:1], v4, v4, v5
	v_rcp_f32_e32 v1, v0
	v_div_scale_f32 v6, vcc, v5, v4, v5
	v_fma_f32 v7, -v0, v1, 1.0
	v_fmac_f32_e32 v1, v7, v1
	v_mul_f32_e32 v7, v6, v1
	v_fma_f32 v8, -v0, v7, v6
	v_fmac_f32_e32 v7, v8, v1
	v_fma_f32 v0, -v0, v7, v6
	v_div_fmas_f32 v0, v0, v1, v7
	v_div_fixup_f32 v0, v0, v4, v5
	global_store_dword v[2:3], v0, off
.LBB38_6:
	s_endpgm
	.section	.rodata,"a",@progbits
	.p2align	6, 0x0
	.amdhsa_kernel _ZL33flash_attn_stream_k_fixup_uniformILi128ELi16ELi2EEvPfPK15HIP_vector_typeIfLj2EEiiiiiiS1_IjLj3EES5_S5_
		.amdhsa_group_segment_fixed_size 0
		.amdhsa_private_segment_fixed_size 0
		.amdhsa_kernarg_size 76
		.amdhsa_user_sgpr_count 2
		.amdhsa_user_sgpr_dispatch_ptr 0
		.amdhsa_user_sgpr_queue_ptr 0
		.amdhsa_user_sgpr_kernarg_segment_ptr 1
		.amdhsa_user_sgpr_dispatch_id 0
		.amdhsa_user_sgpr_kernarg_preload_length 0
		.amdhsa_user_sgpr_kernarg_preload_offset 0
		.amdhsa_user_sgpr_private_segment_size 0
		.amdhsa_uses_dynamic_stack 0
		.amdhsa_enable_private_segment 0
		.amdhsa_system_sgpr_workgroup_id_x 1
		.amdhsa_system_sgpr_workgroup_id_y 1
		.amdhsa_system_sgpr_workgroup_id_z 1
		.amdhsa_system_sgpr_workgroup_info 0
		.amdhsa_system_vgpr_workitem_id 0
		.amdhsa_next_free_vgpr 17
		.amdhsa_next_free_sgpr 24
		.amdhsa_accum_offset 20
		.amdhsa_reserve_vcc 1
		.amdhsa_float_round_mode_32 0
		.amdhsa_float_round_mode_16_64 0
		.amdhsa_float_denorm_mode_32 3
		.amdhsa_float_denorm_mode_16_64 3
		.amdhsa_dx10_clamp 1
		.amdhsa_ieee_mode 1
		.amdhsa_fp16_overflow 0
		.amdhsa_tg_split 0
		.amdhsa_exception_fp_ieee_invalid_op 0
		.amdhsa_exception_fp_denorm_src 0
		.amdhsa_exception_fp_ieee_div_zero 0
		.amdhsa_exception_fp_ieee_overflow 0
		.amdhsa_exception_fp_ieee_underflow 0
		.amdhsa_exception_fp_ieee_inexact 0
		.amdhsa_exception_int_div_zero 0
	.end_amdhsa_kernel
	.section	.text._ZL33flash_attn_stream_k_fixup_uniformILi128ELi16ELi2EEvPfPK15HIP_vector_typeIfLj2EEiiiiiiS1_IjLj3EES5_S5_,"axG",@progbits,_ZL33flash_attn_stream_k_fixup_uniformILi128ELi16ELi2EEvPfPK15HIP_vector_typeIfLj2EEiiiiiiS1_IjLj3EES5_S5_,comdat
.Lfunc_end38:
	.size	_ZL33flash_attn_stream_k_fixup_uniformILi128ELi16ELi2EEvPfPK15HIP_vector_typeIfLj2EEiiiiiiS1_IjLj3EES5_S5_, .Lfunc_end38-_ZL33flash_attn_stream_k_fixup_uniformILi128ELi16ELi2EEvPfPK15HIP_vector_typeIfLj2EEiiiiiiS1_IjLj3EES5_S5_
                                        ; -- End function
	.set _ZL33flash_attn_stream_k_fixup_uniformILi128ELi16ELi2EEvPfPK15HIP_vector_typeIfLj2EEiiiiiiS1_IjLj3EES5_S5_.num_vgpr, 17
	.set _ZL33flash_attn_stream_k_fixup_uniformILi128ELi16ELi2EEvPfPK15HIP_vector_typeIfLj2EEiiiiiiS1_IjLj3EES5_S5_.num_agpr, 0
	.set _ZL33flash_attn_stream_k_fixup_uniformILi128ELi16ELi2EEvPfPK15HIP_vector_typeIfLj2EEiiiiiiS1_IjLj3EES5_S5_.numbered_sgpr, 24
	.set _ZL33flash_attn_stream_k_fixup_uniformILi128ELi16ELi2EEvPfPK15HIP_vector_typeIfLj2EEiiiiiiS1_IjLj3EES5_S5_.num_named_barrier, 0
	.set _ZL33flash_attn_stream_k_fixup_uniformILi128ELi16ELi2EEvPfPK15HIP_vector_typeIfLj2EEiiiiiiS1_IjLj3EES5_S5_.private_seg_size, 0
	.set _ZL33flash_attn_stream_k_fixup_uniformILi128ELi16ELi2EEvPfPK15HIP_vector_typeIfLj2EEiiiiiiS1_IjLj3EES5_S5_.uses_vcc, 1
	.set _ZL33flash_attn_stream_k_fixup_uniformILi128ELi16ELi2EEvPfPK15HIP_vector_typeIfLj2EEiiiiiiS1_IjLj3EES5_S5_.uses_flat_scratch, 0
	.set _ZL33flash_attn_stream_k_fixup_uniformILi128ELi16ELi2EEvPfPK15HIP_vector_typeIfLj2EEiiiiiiS1_IjLj3EES5_S5_.has_dyn_sized_stack, 0
	.set _ZL33flash_attn_stream_k_fixup_uniformILi128ELi16ELi2EEvPfPK15HIP_vector_typeIfLj2EEiiiiiiS1_IjLj3EES5_S5_.has_recursion, 0
	.set _ZL33flash_attn_stream_k_fixup_uniformILi128ELi16ELi2EEvPfPK15HIP_vector_typeIfLj2EEiiiiiiS1_IjLj3EES5_S5_.has_indirect_call, 0
	.section	.AMDGPU.csdata,"",@progbits
; Kernel info:
; codeLenInByte = 836
; TotalNumSgprs: 30
; NumVgprs: 17
; NumAgprs: 0
; TotalNumVgprs: 17
; ScratchSize: 0
; MemoryBound: 0
; FloatMode: 240
; IeeeMode: 1
; LDSByteSize: 0 bytes/workgroup (compile time only)
; SGPRBlocks: 3
; VGPRBlocks: 2
; NumSGPRsForWavesPerEU: 30
; NumVGPRsForWavesPerEU: 17
; AccumOffset: 20
; Occupancy: 8
; WaveLimiterHint : 0
; COMPUTE_PGM_RSRC2:SCRATCH_EN: 0
; COMPUTE_PGM_RSRC2:USER_SGPR: 2
; COMPUTE_PGM_RSRC2:TRAP_HANDLER: 0
; COMPUTE_PGM_RSRC2:TGID_X_EN: 1
; COMPUTE_PGM_RSRC2:TGID_Y_EN: 1
; COMPUTE_PGM_RSRC2:TGID_Z_EN: 1
; COMPUTE_PGM_RSRC2:TIDIG_COMP_CNT: 0
; COMPUTE_PGM_RSRC3_GFX90A:ACCUM_OFFSET: 4
; COMPUTE_PGM_RSRC3_GFX90A:TG_SPLIT: 0
	.section	.text._ZL33flash_attn_stream_k_fixup_generalILi128ELi16ELi2EEvPfPK15HIP_vector_typeIfLj2EEiiiiS1_IjLj3EES5_S5_S5_,"axG",@progbits,_ZL33flash_attn_stream_k_fixup_generalILi128ELi16ELi2EEvPfPK15HIP_vector_typeIfLj2EEiiiiS1_IjLj3EES5_S5_S5_,comdat
	.globl	_ZL33flash_attn_stream_k_fixup_generalILi128ELi16ELi2EEvPfPK15HIP_vector_typeIfLj2EEiiiiS1_IjLj3EES5_S5_S5_ ; -- Begin function _ZL33flash_attn_stream_k_fixup_generalILi128ELi16ELi2EEvPfPK15HIP_vector_typeIfLj2EEiiiiS1_IjLj3EES5_S5_S5_
	.p2align	8
	.type	_ZL33flash_attn_stream_k_fixup_generalILi128ELi16ELi2EEvPfPK15HIP_vector_typeIfLj2EEiiiiS1_IjLj3EES5_S5_S5_,@function
_ZL33flash_attn_stream_k_fixup_generalILi128ELi16ELi2EEvPfPK15HIP_vector_typeIfLj2EEiiiiS1_IjLj3EES5_S5_S5_: ; @_ZL33flash_attn_stream_k_fixup_generalILi128ELi16ELi2EEvPfPK15HIP_vector_typeIfLj2EEiiiiS1_IjLj3EES5_S5_S5_
; %bb.0:
	s_load_dwordx4 s[8:11], s[0:1], 0x10
	s_load_dword s22, s[0:1], 0x50
	s_mov_b32 s12, 0
	s_waitcnt lgkmcnt(0)
	s_mul_hi_i32 s13, s11, s2
	s_cmp_lg_u64 s[12:13], 0
	s_mul_i32 s5, s11, s2
	s_cbranch_scc0 .LBB39_20
; %bb.1:
	s_add_u32 s6, s22, 0
	s_addc_u32 s7, 0, 0
	s_xor_b64 s[6:7], s[6:7], 0
	v_cvt_f32_u32_e32 v1, s6
	v_cvt_f32_u32_e32 v2, s7
	s_sub_u32 s12, 0, s6
	s_subb_u32 s18, 0, s7
	v_fmamk_f32 v1, v2, 0x4f800000, v1
	v_rcp_f32_e32 v1, v1
	s_nop 0
	v_mul_f32_e32 v1, 0x5f7ffffc, v1
	v_mul_f32_e32 v2, 0x2f800000, v1
	v_trunc_f32_e32 v2, v2
	v_fmamk_f32 v1, v2, 0xcf800000, v1
	v_cvt_u32_f32_e32 v2, v2
	v_cvt_u32_f32_e32 v1, v1
	v_readfirstlane_b32 s19, v2
	v_readfirstlane_b32 s14, v1
	s_mul_i32 s15, s12, s19
	s_mul_hi_u32 s21, s12, s14
	s_mul_i32 s20, s18, s14
	s_add_i32 s15, s21, s15
	s_add_i32 s15, s15, s20
	s_mul_i32 s23, s12, s14
	s_mul_i32 s21, s14, s15
	s_mul_hi_u32 s24, s14, s23
	s_mul_hi_u32 s20, s14, s15
	s_add_u32 s21, s24, s21
	s_addc_u32 s20, 0, s20
	s_mul_hi_u32 s25, s19, s23
	s_mul_i32 s23, s19, s23
	s_add_u32 s21, s21, s23
	s_mul_hi_u32 s24, s19, s15
	s_addc_u32 s20, s20, s25
	s_addc_u32 s21, s24, 0
	s_mul_i32 s15, s19, s15
	s_add_u32 s15, s20, s15
	s_addc_u32 s20, 0, s21
	s_add_u32 s21, s14, s15
	s_cselect_b64 s[14:15], -1, 0
	s_cmp_lg_u64 s[14:15], 0
	s_addc_u32 s19, s19, s20
	s_mul_i32 s14, s12, s19
	s_mul_hi_u32 s15, s12, s21
	s_add_i32 s14, s15, s14
	s_mul_i32 s18, s18, s21
	s_add_i32 s14, s14, s18
	s_mul_i32 s12, s12, s21
	s_mul_hi_u32 s18, s19, s12
	s_mul_i32 s20, s19, s12
	s_mul_i32 s24, s21, s14
	s_mul_hi_u32 s12, s21, s12
	s_mul_hi_u32 s23, s21, s14
	s_add_u32 s12, s12, s24
	s_addc_u32 s23, 0, s23
	s_add_u32 s12, s12, s20
	s_mul_hi_u32 s15, s19, s14
	s_addc_u32 s12, s23, s18
	s_addc_u32 s15, s15, 0
	s_mul_i32 s14, s19, s14
	s_add_u32 s12, s12, s14
	s_addc_u32 s18, 0, s15
	s_add_u32 s20, s21, s12
	s_cselect_b64 s[14:15], -1, 0
	s_cmp_lg_u64 s[14:15], 0
	s_addc_u32 s18, s19, s18
	s_ashr_i32 s14, s13, 31
	s_add_u32 s12, s5, s14
	s_mov_b32 s15, s14
	s_addc_u32 s13, s13, s14
	s_xor_b64 s[12:13], s[12:13], s[14:15]
	s_mul_i32 s21, s12, s18
	s_mul_hi_u32 s23, s12, s20
	s_mul_hi_u32 s19, s12, s18
	s_add_u32 s21, s23, s21
	s_addc_u32 s19, 0, s19
	s_mul_hi_u32 s24, s13, s20
	s_mul_i32 s20, s13, s20
	s_add_u32 s20, s21, s20
	s_mul_hi_u32 s23, s13, s18
	s_addc_u32 s19, s19, s24
	s_addc_u32 s20, s23, 0
	s_mul_i32 s18, s13, s18
	s_add_u32 s23, s19, s18
	s_addc_u32 s24, 0, s20
	s_mul_i32 s18, s6, s24
	s_mul_hi_u32 s19, s6, s23
	s_add_i32 s18, s19, s18
	s_mul_i32 s19, s7, s23
	s_add_i32 s25, s18, s19
	s_sub_i32 s20, s13, s25
	s_mul_i32 s18, s6, s23
	s_sub_u32 s12, s12, s18
	s_cselect_b64 s[18:19], -1, 0
	s_cmp_lg_u64 s[18:19], 0
	s_subb_u32 s26, s20, s7
	s_sub_u32 s27, s12, s6
	s_cselect_b64 s[20:21], -1, 0
	s_cmp_lg_u64 s[20:21], 0
	s_subb_u32 s20, s26, 0
	s_cmp_ge_u32 s20, s7
	s_cselect_b32 s21, -1, 0
	s_cmp_ge_u32 s27, s6
	s_cselect_b32 s26, -1, 0
	s_cmp_eq_u32 s20, s7
	s_cselect_b32 s20, s26, s21
	s_add_u32 s21, s23, 1
	s_addc_u32 s26, s24, 0
	s_add_u32 s27, s23, 2
	s_addc_u32 s28, s24, 0
	s_cmp_lg_u32 s20, 0
	s_cselect_b32 s20, s27, s21
	s_cselect_b32 s21, s28, s26
	s_cmp_lg_u64 s[18:19], 0
	s_subb_u32 s13, s13, s25
	s_cmp_ge_u32 s13, s7
	s_cselect_b32 s18, -1, 0
	s_cmp_ge_u32 s12, s6
	s_cselect_b32 s6, -1, 0
	s_cmp_eq_u32 s13, s7
	s_cselect_b32 s6, s6, s18
	s_cmp_lg_u32 s6, 0
	s_cselect_b32 s7, s21, s24
	s_cselect_b32 s6, s20, s23
	s_xor_b64 s[12:13], s[14:15], 0
	s_xor_b64 s[6:7], s[6:7], s[12:13]
	s_sub_u32 s6, s6, s12
	s_load_dwordx4 s[12:15], s[0:1], 0x44
	s_cbranch_execnz .LBB39_3
.LBB39_2:
	v_cvt_f32_u32_e32 v1, s22
	s_sub_i32 s6, 0, s22
	v_rcp_iflag_f32_e32 v1, v1
	s_nop 0
	v_mul_f32_e32 v1, 0x4f7ffffe, v1
	v_cvt_u32_f32_e32 v1, v1
	s_nop 0
	v_readfirstlane_b32 s7, v1
	s_mul_i32 s6, s6, s7
	s_mul_hi_u32 s6, s7, s6
	s_add_i32 s7, s7, s6
	s_mul_hi_u32 s6, s5, s7
	s_waitcnt lgkmcnt(0)
	s_mul_i32 s15, s6, s22
	s_sub_i32 s5, s5, s15
	s_add_i32 s7, s6, 1
	s_sub_i32 s15, s5, s22
	s_cmp_ge_u32 s5, s22
	s_cselect_b32 s6, s7, s6
	s_cselect_b32 s5, s15, s5
	s_add_i32 s7, s6, 1
	s_cmp_ge_u32 s5, s22
	s_cselect_b32 s6, s7, s6
.LBB39_3:
	s_add_i32 s5, s2, 1
	s_mul_hi_i32 s21, s11, s5
	s_mov_b32 s20, 0
	s_cmp_lg_u64 s[20:21], 0
	s_mul_i32 s5, s11, s5
	s_cbranch_scc0 .LBB39_21
; %bb.4:
	s_add_u32 s16, s22, 0
	s_addc_u32 s17, 0, 0
	s_xor_b64 s[18:19], s[16:17], 0
	v_cvt_f32_u32_e32 v1, s18
	v_cvt_f32_u32_e32 v2, s19
	s_sub_u32 s7, 0, s18
	s_waitcnt lgkmcnt(0)
	s_subb_u32 s15, 0, s19
	v_fmamk_f32 v1, v2, 0x4f800000, v1
	v_rcp_f32_e32 v1, v1
	s_nop 0
	v_mul_f32_e32 v1, 0x5f7ffffc, v1
	v_mul_f32_e32 v2, 0x2f800000, v1
	v_trunc_f32_e32 v2, v2
	v_fmamk_f32 v1, v2, 0xcf800000, v1
	v_cvt_u32_f32_e32 v2, v2
	v_cvt_u32_f32_e32 v1, v1
	v_readfirstlane_b32 s20, v2
	v_readfirstlane_b32 s23, v1
	s_mul_i32 s24, s7, s20
	s_mul_hi_u32 s26, s7, s23
	s_mul_i32 s25, s15, s23
	s_add_i32 s24, s26, s24
	s_add_i32 s24, s24, s25
	s_mul_i32 s27, s7, s23
	s_mul_i32 s26, s23, s24
	s_mul_hi_u32 s28, s23, s27
	s_mul_hi_u32 s25, s23, s24
	s_add_u32 s26, s28, s26
	s_addc_u32 s25, 0, s25
	s_mul_hi_u32 s29, s20, s27
	s_mul_i32 s27, s20, s27
	s_add_u32 s26, s26, s27
	s_mul_hi_u32 s28, s20, s24
	s_addc_u32 s25, s25, s29
	s_addc_u32 s26, s28, 0
	s_mul_i32 s24, s20, s24
	s_add_u32 s24, s25, s24
	s_addc_u32 s26, 0, s26
	s_add_u32 s23, s23, s24
	s_cselect_b64 s[24:25], -1, 0
	s_cmp_lg_u64 s[24:25], 0
	s_addc_u32 s20, s20, s26
	s_mul_i32 s24, s7, s20
	s_mul_hi_u32 s25, s7, s23
	s_add_i32 s24, s25, s24
	s_mul_i32 s15, s15, s23
	s_add_i32 s24, s24, s15
	s_mul_i32 s7, s7, s23
	s_mul_hi_u32 s25, s20, s7
	s_mul_i32 s26, s20, s7
	s_mul_i32 s28, s23, s24
	s_mul_hi_u32 s7, s23, s7
	s_mul_hi_u32 s27, s23, s24
	s_add_u32 s7, s7, s28
	s_addc_u32 s27, 0, s27
	s_add_u32 s7, s7, s26
	s_mul_hi_u32 s15, s20, s24
	s_addc_u32 s7, s27, s25
	s_addc_u32 s15, s15, 0
	s_mul_i32 s24, s20, s24
	s_add_u32 s7, s7, s24
	s_addc_u32 s15, 0, s15
	s_add_u32 s7, s23, s7
	s_cselect_b64 s[24:25], -1, 0
	s_cmp_lg_u64 s[24:25], 0
	s_addc_u32 s15, s20, s15
	s_ashr_i32 s24, s21, 31
	s_add_u32 s20, s5, s24
	s_mov_b32 s25, s24
	s_addc_u32 s21, s21, s24
	s_xor_b64 s[20:21], s[20:21], s[24:25]
	s_mul_i32 s26, s20, s15
	s_mul_hi_u32 s27, s20, s7
	s_mul_hi_u32 s23, s20, s15
	s_add_u32 s26, s27, s26
	s_addc_u32 s23, 0, s23
	s_mul_hi_u32 s28, s21, s7
	s_mul_i32 s7, s21, s7
	s_add_u32 s7, s26, s7
	s_mul_hi_u32 s27, s21, s15
	s_addc_u32 s7, s23, s28
	s_addc_u32 s23, s27, 0
	s_mul_i32 s15, s21, s15
	s_add_u32 s7, s7, s15
	s_addc_u32 s15, 0, s23
	s_mul_i32 s23, s18, s15
	s_mul_hi_u32 s26, s18, s7
	s_add_i32 s23, s26, s23
	s_mul_i32 s26, s19, s7
	s_add_i32 s23, s23, s26
	s_sub_i32 s28, s21, s23
	s_mul_i32 s26, s18, s7
	s_sub_u32 s20, s20, s26
	s_cselect_b64 s[26:27], -1, 0
	s_cmp_lg_u64 s[26:27], 0
	s_subb_u32 s30, s28, s19
	s_sub_u32 s31, s20, s18
	s_cselect_b64 s[28:29], -1, 0
	s_cmp_lg_u64 s[28:29], 0
	s_subb_u32 s28, s30, 0
	s_cmp_ge_u32 s28, s19
	s_cselect_b32 s29, -1, 0
	s_cmp_ge_u32 s31, s18
	s_cselect_b32 s30, -1, 0
	s_cmp_eq_u32 s28, s19
	s_cselect_b32 s28, s30, s29
	s_add_u32 s29, s7, 1
	s_addc_u32 s30, s15, 0
	s_add_u32 s31, s7, 2
	s_addc_u32 s33, s15, 0
	s_cmp_lg_u32 s28, 0
	s_cselect_b32 s28, s31, s29
	s_cselect_b32 s29, s33, s30
	s_cmp_lg_u64 s[26:27], 0
	s_subb_u32 s21, s21, s23
	s_cmp_ge_u32 s21, s19
	s_cselect_b32 s23, -1, 0
	s_cmp_ge_u32 s20, s18
	s_cselect_b32 s18, -1, 0
	s_cmp_eq_u32 s21, s19
	s_cselect_b32 s18, s18, s23
	s_cmp_lg_u32 s18, 0
	s_cselect_b32 s19, s29, s15
	s_cselect_b32 s18, s28, s7
	s_xor_b64 s[20:21], s[24:25], 0
	s_xor_b64 s[18:19], s[18:19], s[20:21]
	s_sub_u32 s18, s18, s20
	s_cbranch_execnz .LBB39_6
.LBB39_5:
	v_cvt_f32_u32_e32 v1, s22
	s_sub_i32 s7, 0, s22
	v_rcp_iflag_f32_e32 v1, v1
	s_nop 0
	v_mul_f32_e32 v1, 0x4f7ffffe, v1
	v_cvt_u32_f32_e32 v1, v1
	s_waitcnt lgkmcnt(0)
	v_readfirstlane_b32 s15, v1
	s_mul_i32 s7, s7, s15
	s_mul_hi_u32 s7, s15, s7
	s_add_i32 s15, s15, s7
	s_mul_hi_u32 s7, s5, s15
	s_mul_i32 s16, s7, s22
	s_sub_i32 s5, s5, s16
	s_add_i32 s15, s7, 1
	s_sub_i32 s16, s5, s22
	s_cmp_ge_u32 s5, s22
	s_cselect_b32 s7, s15, s7
	s_cselect_b32 s5, s16, s5
	s_add_i32 s15, s7, 1
	s_cmp_ge_u32 s5, s22
	s_cselect_b32 s18, s15, s7
.LBB39_6:
	s_cmp_eq_u32 s6, s18
	s_waitcnt lgkmcnt(0)
	s_mul_hi_u32 s5, s6, s12
	s_cselect_b64 s[16:17], -1, 0
	s_add_i32 s5, s5, s6
	s_lshr_b32 s7, s5, s13
	s_mul_i32 s5, s7, s14
	s_cmp_eq_u32 s5, s6
	s_mul_hi_u32 s5, s18, s12
	s_cselect_b64 s[20:21], -1, 0
	s_add_i32 s5, s5, s18
	s_lshr_b32 s5, s5, s13
	s_cmp_eq_u32 s7, s5
	s_mul_i32 s5, s5, s14
	s_cselect_b64 s[24:25], -1, 0
	s_cmp_lg_u32 s5, s18
	s_cselect_b64 s[18:19], -1, 0
	s_and_b64 s[18:19], s[24:25], s[18:19]
	s_or_b64 s[16:17], s[16:17], s[20:21]
	s_or_b64 s[16:17], s[16:17], s[18:19]
	s_and_b64 vcc, exec, s[16:17]
	s_cbranch_vccnz .LBB39_23
; %bb.7:
	s_load_dwordx8 s[24:31], s[0:1], 0x20
	s_load_dword s15, s[0:1], 0x40
	s_waitcnt lgkmcnt(0)
	s_mul_hi_u32 s5, s6, s24
	s_add_i32 s5, s5, s6
	s_lshr_b32 s5, s5, s25
	s_mul_i32 s16, s5, s26
	s_sub_i32 s16, s6, s16
	s_mul_hi_u32 s17, s16, s27
	s_add_i32 s17, s16, s17
	s_lshr_b32 s20, s17, s28
	s_mul_i32 s17, s20, s29
	s_sub_i32 s16, s16, s17
	;; [unrolled: 5-line block ×3, first 2 shown]
	s_mul_hi_u32 s16, s15, s12
	s_add_i32 s15, s15, s16
	s_lshr_b32 s23, s15, s13
	s_lshl_b32 s15, s23, 4
	s_lshl_b32 s21, s17, 1
	s_add_i32 s15, s15, s3
	s_cmp_lt_i32 s15, s8
	s_cselect_b64 s[16:17], -1, 0
	s_add_i32 s15, s21, s4
	s_cmp_lt_i32 s15, s10
	s_cselect_b64 s[18:19], -1, 0
	s_and_b64 s[16:17], s[16:17], s[18:19]
	s_andn2_b64 vcc, exec, s[16:17]
	s_cbranch_vccnz .LBB39_23
; %bb.8:
	s_load_dwordx4 s[16:19], s[0:1], 0x0
	s_mov_b32 s0, 0
	s_lshl_b32 s15, s3, 1
	s_lshl_b32 s24, s22, 7
	s_mov_b32 s25, s0
	s_add_i32 s15, s15, s4
	s_waitcnt lgkmcnt(0)
	v_mov_b32_e32 v2, s16
	v_mov_b32_e32 v3, s17
	s_lshl_b64 s[16:17], s[24:25], 2
	s_add_u32 s16, s18, s16
	s_mul_i32 s1, s5, s8
	s_addc_u32 s17, s19, s17
	s_add_i32 s1, s1, s3
	s_mul_i32 s1, s1, s9
	s_mul_i32 s20, s20, s10
	s_add_i32 s1, s1, s4
	s_add_i32 s1, s1, s20
	s_mul_i32 s5, s9, s23
	s_add_i32 s1, s1, s21
	s_lshl_b32 s5, s5, 11
	s_lshl_b32 s1, s1, 7
	s_add_i32 s5, s5, s1
	v_or_b32_e32 v4, s5, v0
	v_ashrrev_i32_e32 v5, 31, v4
	v_lshl_add_u64 v[2:3], v[4:5], 2, v[2:3]
	global_load_dword v1, v[2:3], off
	v_cvt_f32_u32_e32 v4, s22
	s_lshl_b32 s1, s2, 5
	s_add_i32 s4, s15, s1
	s_ashr_i32 s5, s4, 31
	s_lshl_b64 s[4:5], s[4:5], 3
	v_rcp_iflag_f32_e32 v4, v4
	s_add_u32 s4, s18, s4
	s_addc_u32 s5, s19, s5
	s_load_dwordx2 s[4:5], s[4:5], 0x0
	v_mul_f32_e32 v4, 0x4f7ffffe, v4
	v_cvt_u32_f32_e32 v7, v4
	s_add_i32 s24, s2, -1
	v_lshl_or_b32 v6, s15, 7, v0
	s_waitcnt lgkmcnt(0)
	v_mov_b32_e32 v0, s5
	v_mov_b32_e32 v9, s4
	s_mov_b32 s10, 0x3fb8aa3b
	s_mov_b32 s20, 0xc2ce8ed0
	s_mov_b32 s21, 0x42b17218
	s_mov_b32 s23, 0xc1a00000
	v_mov_b32_e32 v8, 0x7f800000
	s_mul_hi_i32 s1, s24, s11
	s_cmp_lg_u64 s[0:1], 0
	s_mul_i32 s8, s24, s11
	s_cbranch_scc0 .LBB39_19
.LBB39_9:
	s_add_u32 s2, s22, 0
	s_addc_u32 s3, 0, 0
	s_xor_b64 s[2:3], s[2:3], 0
	v_cvt_f32_u32_e32 v4, s2
	v_cvt_f32_u32_e32 v5, s3
	s_sub_u32 s9, 0, s2
	s_subb_u32 s25, 0, s3
	v_fmac_f32_e32 v4, 0x4f800000, v5
	v_rcp_f32_e32 v4, v4
	s_nop 0
	v_mul_f32_e32 v4, 0x5f7ffffc, v4
	v_mul_f32_e32 v5, 0x2f800000, v4
	v_trunc_f32_e32 v5, v5
	v_fmac_f32_e32 v4, 0xcf800000, v5
	v_cvt_u32_f32_e32 v5, v5
	v_cvt_u32_f32_e32 v4, v4
	v_readfirstlane_b32 s26, v5
	v_readfirstlane_b32 s4, v4
	s_mul_i32 s5, s9, s26
	s_mul_hi_u32 s28, s9, s4
	s_mul_i32 s27, s25, s4
	s_add_i32 s5, s28, s5
	s_mul_i32 s29, s9, s4
	s_add_i32 s5, s5, s27
	s_mul_i32 s28, s4, s5
	s_mul_hi_u32 s30, s4, s29
	s_mul_hi_u32 s27, s4, s5
	s_add_u32 s28, s30, s28
	s_addc_u32 s27, 0, s27
	s_mul_hi_u32 s31, s26, s29
	s_mul_i32 s29, s26, s29
	s_add_u32 s28, s28, s29
	s_mul_hi_u32 s30, s26, s5
	s_addc_u32 s27, s27, s31
	s_addc_u32 s28, s30, 0
	s_mul_i32 s5, s26, s5
	s_add_u32 s5, s27, s5
	s_addc_u32 s27, 0, s28
	s_add_u32 s28, s4, s5
	s_cselect_b64 s[4:5], -1, 0
	s_cmp_lg_u64 s[4:5], 0
	s_addc_u32 s26, s26, s27
	s_mul_i32 s4, s9, s26
	s_mul_hi_u32 s5, s9, s28
	s_add_i32 s4, s5, s4
	s_mul_i32 s25, s25, s28
	s_add_i32 s4, s4, s25
	s_mul_i32 s9, s9, s28
	s_mul_hi_u32 s25, s26, s9
	s_mul_i32 s27, s26, s9
	s_mul_i32 s30, s28, s4
	s_mul_hi_u32 s9, s28, s9
	s_mul_hi_u32 s29, s28, s4
	s_add_u32 s9, s9, s30
	s_addc_u32 s29, 0, s29
	s_add_u32 s9, s9, s27
	s_mul_hi_u32 s5, s26, s4
	s_addc_u32 s9, s29, s25
	s_addc_u32 s5, s5, 0
	s_mul_i32 s4, s26, s4
	s_add_u32 s4, s9, s4
	s_addc_u32 s9, 0, s5
	s_add_u32 s25, s28, s4
	s_cselect_b64 s[4:5], -1, 0
	s_cmp_lg_u64 s[4:5], 0
	s_addc_u32 s9, s26, s9
	s_ashr_i32 s4, s1, 31
	s_add_u32 s26, s8, s4
	s_mov_b32 s5, s4
	s_addc_u32 s27, s1, s4
	s_xor_b64 s[26:27], s[26:27], s[4:5]
	s_mul_i32 s28, s26, s9
	s_mul_hi_u32 s29, s26, s25
	s_mul_hi_u32 s1, s26, s9
	s_add_u32 s28, s29, s28
	s_addc_u32 s1, 0, s1
	s_mul_hi_u32 s30, s27, s25
	s_mul_i32 s25, s27, s25
	s_add_u32 s25, s28, s25
	s_mul_hi_u32 s29, s27, s9
	s_addc_u32 s1, s1, s30
	s_addc_u32 s25, s29, 0
	s_mul_i32 s9, s27, s9
	s_add_u32 s1, s1, s9
	s_addc_u32 s9, 0, s25
	s_mul_i32 s25, s2, s9
	s_mul_hi_u32 s28, s2, s1
	s_add_i32 s25, s28, s25
	s_mul_i32 s28, s3, s1
	s_add_i32 s25, s25, s28
	s_sub_i32 s30, s27, s25
	s_mul_i32 s28, s2, s1
	s_sub_u32 s26, s26, s28
	s_cselect_b64 s[28:29], -1, 0
	s_cmp_lg_u64 s[28:29], 0
	s_subb_u32 s33, s30, s3
	s_sub_u32 s34, s26, s2
	s_cselect_b64 s[30:31], -1, 0
	s_cmp_lg_u64 s[30:31], 0
	s_subb_u32 s30, s33, 0
	s_cmp_ge_u32 s30, s3
	s_cselect_b32 s31, -1, 0
	s_cmp_ge_u32 s34, s2
	s_cselect_b32 s33, -1, 0
	s_cmp_eq_u32 s30, s3
	s_cselect_b32 s30, s33, s31
	s_add_u32 s31, s1, 1
	s_addc_u32 s33, s9, 0
	s_add_u32 s34, s1, 2
	s_addc_u32 s35, s9, 0
	s_cmp_lg_u32 s30, 0
	s_cselect_b32 s30, s34, s31
	s_cselect_b32 s31, s35, s33
	s_cmp_lg_u64 s[28:29], 0
	s_subb_u32 s25, s27, s25
	s_cmp_ge_u32 s25, s3
	s_cselect_b32 s27, -1, 0
	s_cmp_ge_u32 s26, s2
	s_cselect_b32 s2, -1, 0
	s_cmp_eq_u32 s25, s3
	s_cselect_b32 s2, s2, s27
	s_cmp_lg_u32 s2, 0
	s_cselect_b32 s3, s31, s9
	s_cselect_b32 s2, s30, s1
	s_xor_b64 s[4:5], s[4:5], 0
	s_xor_b64 s[2:3], s[2:3], s[4:5]
	s_sub_u32 s4, s2, s4
	s_cbranch_execnz .LBB39_11
.LBB39_10:
	s_sub_i32 s1, 0, s22
	v_readfirstlane_b32 s2, v7
	s_mul_i32 s1, s1, s2
	s_mul_hi_u32 s1, s2, s1
	s_add_i32 s2, s2, s1
	s_mul_hi_u32 s1, s8, s2
	s_mul_i32 s3, s1, s22
	s_sub_i32 s3, s8, s3
	s_add_i32 s2, s1, 1
	s_sub_i32 s4, s3, s22
	s_cmp_ge_u32 s3, s22
	s_cselect_b32 s1, s2, s1
	s_cselect_b32 s3, s4, s3
	s_add_i32 s2, s1, 1
	s_cmp_ge_u32 s3, s22
	s_cselect_b32 s4, s2, s1
.LBB39_11:
	s_cmp_lg_u32 s6, s4
	s_cbranch_scc0 .LBB39_15
; %bb.12:
	s_add_i32 s1, s24, s22
	s_lshl_b32 s1, s1, 5
	s_add_i32 s2, s1, s15
	s_mov_b32 s3, s0
	s_lshl_b64 s[2:3], s[2:3], 3
	s_add_u32 s8, s18, s2
	s_mul_hi_u32 s1, s4, s12
	s_addc_u32 s9, s19, s3
	s_add_i32 s1, s1, s4
	s_lshr_b32 s1, s1, s13
	s_mul_i32 s2, s1, s14
	s_cmp_eq_u32 s2, s4
	s_cselect_b64 s[2:3], -1, 0
	s_cmp_lt_u32 s1, s7
	s_cselect_b64 s[26:27], -1, 0
	s_or_b64 s[26:27], s[26:27], s[2:3]
	s_mov_b64 s[2:3], -1
	s_and_b64 vcc, exec, s[26:27]
	s_mov_b32 s1, s24
	s_mov_b32 s25, s6
	s_cbranch_vccnz .LBB39_14
; %bb.13:
	s_add_i32 s1, s24, -1
	s_mov_b64 s[2:3], 0
	s_mov_b32 s25, s4
.LBB39_14:
	v_lshl_add_u32 v4, s24, 12, v6
	v_ashrrev_i32_e32 v5, 31, v4
	v_lshl_add_u64 v[4:5], v[4:5], 2, s[16:17]
	global_load_dword v5, v[4:5], off
	s_load_dwordx2 s[4:5], s[8:9], 0x0
	v_max_f32_e32 v4, v9, v9
	s_waitcnt lgkmcnt(0)
	v_max_f32_e64 v10, s4, s4
	v_max_f32_e32 v10, v4, v10
	v_sub_f32_e32 v11, v9, v10
	v_sub_f32_e32 v13, s4, v10
	v_mul_f32_e32 v4, 0x3fb8aa3b, v11
	v_mul_f32_e32 v12, 0x3fb8aa3b, v13
	v_fma_f32 v14, v11, s10, -v4
	v_rndne_f32_e32 v15, v4
	v_fma_f32 v16, v13, s10, -v12
	v_rndne_f32_e32 v17, v12
	v_fmac_f32_e32 v14, 0x32a5705f, v11
	v_sub_f32_e32 v4, v4, v15
	v_fmac_f32_e32 v16, 0x32a5705f, v13
	v_sub_f32_e32 v12, v12, v17
	v_add_f32_e32 v4, v4, v14
	v_cvt_i32_f32_e32 v15, v15
	v_add_f32_e32 v12, v12, v16
	v_exp_f32_e32 v14, v4
	v_cvt_i32_f32_e32 v17, v17
	v_exp_f32_e32 v12, v12
	v_cmp_ngt_f32_e32 vcc, s20, v11
	v_ldexp_f32 v14, v14, v15
	v_mov_b32_e32 v4, s5
	v_ldexp_f32 v12, v12, v17
	v_cndmask_b32_e32 v14, 0, v14, vcc
	v_cmp_ngt_f32_e32 vcc, s20, v13
	s_nop 1
	v_cndmask_b32_e32 v12, 0, v12, vcc
	v_cmp_nlt_f32_e32 vcc, s21, v11
	s_nop 1
	v_cndmask_b32_e32 v14, v8, v14, vcc
	v_cmp_nlt_f32_e32 vcc, s21, v13
	s_nop 1
	v_cndmask_b32_e32 v15, v8, v12, vcc
	v_cmp_le_f32_e32 vcc, s23, v11
	s_nop 1
	v_cndmask_b32_e32 v12, 0, v14, vcc
	v_cmp_le_f32_e32 vcc, s23, v13
	s_nop 1
	v_cndmask_b32_e32 v14, 0, v15, vcc
	s_waitcnt vmcnt(0)
	v_pk_mul_f32 v[4:5], v[4:5], v[14:15] op_sel_hi:[1,0]
	s_nop 0
	v_pk_fma_f32 v[4:5], v[0:1], v[12:13], v[4:5] op_sel_hi:[1,0,1]
	s_cbranch_execz .LBB39_16
	s_branch .LBB39_17
.LBB39_15:
                                        ; implicit-def: $vgpr4_vgpr5
                                        ; implicit-def: $sgpr2_sgpr3
                                        ; implicit-def: $vgpr10
                                        ; implicit-def: $sgpr1
                                        ; implicit-def: $sgpr25
.LBB39_16:
	s_add_i32 s1, s24, -1
	s_mov_b64 s[2:3], 0
	s_mov_b32 s25, s6
	v_mov_b32_e32 v10, v9
	s_waitcnt vmcnt(0)
	v_mov_b64_e32 v[4:5], v[0:1]
.LBB39_17:
	s_andn2_b64 vcc, exec, s[2:3]
	s_cbranch_vccz .LBB39_22
; %bb.18:
	s_mov_b32 s6, s25
	s_mov_b32 s24, s1
	v_mov_b32_e32 v9, v10
	s_waitcnt vmcnt(0)
	v_mov_b64_e32 v[0:1], v[4:5]
	s_mul_hi_i32 s1, s24, s11
	s_cmp_lg_u64 s[0:1], 0
	s_mul_i32 s8, s24, s11
	s_cbranch_scc1 .LBB39_9
.LBB39_19:
                                        ; implicit-def: $sgpr4_sgpr5
	s_branch .LBB39_10
.LBB39_20:
                                        ; implicit-def: $sgpr6_sgpr7
	s_load_dwordx4 s[12:15], s[0:1], 0x44
	s_branch .LBB39_2
.LBB39_21:
                                        ; implicit-def: $sgpr18_sgpr19
	s_branch .LBB39_5
.LBB39_22:
	v_div_scale_f32 v0, s[0:1], v4, v4, v5
	s_waitcnt vmcnt(0)
	v_rcp_f32_e32 v1, v0
	v_div_scale_f32 v6, vcc, v5, v4, v5
	v_fma_f32 v7, -v0, v1, 1.0
	v_fmac_f32_e32 v1, v7, v1
	v_mul_f32_e32 v7, v6, v1
	v_fma_f32 v8, -v0, v7, v6
	v_fmac_f32_e32 v7, v8, v1
	v_fma_f32 v0, -v0, v7, v6
	v_div_fmas_f32 v0, v0, v1, v7
	v_div_fixup_f32 v0, v0, v4, v5
	global_store_dword v[2:3], v0, off
.LBB39_23:
	s_endpgm
	.section	.rodata,"a",@progbits
	.p2align	6, 0x0
	.amdhsa_kernel _ZL33flash_attn_stream_k_fixup_generalILi128ELi16ELi2EEvPfPK15HIP_vector_typeIfLj2EEiiiiS1_IjLj3EES5_S5_S5_
		.amdhsa_group_segment_fixed_size 0
		.amdhsa_private_segment_fixed_size 0
		.amdhsa_kernarg_size 336
		.amdhsa_user_sgpr_count 2
		.amdhsa_user_sgpr_dispatch_ptr 0
		.amdhsa_user_sgpr_queue_ptr 0
		.amdhsa_user_sgpr_kernarg_segment_ptr 1
		.amdhsa_user_sgpr_dispatch_id 0
		.amdhsa_user_sgpr_kernarg_preload_length 0
		.amdhsa_user_sgpr_kernarg_preload_offset 0
		.amdhsa_user_sgpr_private_segment_size 0
		.amdhsa_uses_dynamic_stack 0
		.amdhsa_enable_private_segment 0
		.amdhsa_system_sgpr_workgroup_id_x 1
		.amdhsa_system_sgpr_workgroup_id_y 1
		.amdhsa_system_sgpr_workgroup_id_z 1
		.amdhsa_system_sgpr_workgroup_info 0
		.amdhsa_system_vgpr_workitem_id 0
		.amdhsa_next_free_vgpr 18
		.amdhsa_next_free_sgpr 36
		.amdhsa_accum_offset 20
		.amdhsa_reserve_vcc 1
		.amdhsa_float_round_mode_32 0
		.amdhsa_float_round_mode_16_64 0
		.amdhsa_float_denorm_mode_32 3
		.amdhsa_float_denorm_mode_16_64 3
		.amdhsa_dx10_clamp 1
		.amdhsa_ieee_mode 1
		.amdhsa_fp16_overflow 0
		.amdhsa_tg_split 0
		.amdhsa_exception_fp_ieee_invalid_op 0
		.amdhsa_exception_fp_denorm_src 0
		.amdhsa_exception_fp_ieee_div_zero 0
		.amdhsa_exception_fp_ieee_overflow 0
		.amdhsa_exception_fp_ieee_underflow 0
		.amdhsa_exception_fp_ieee_inexact 0
		.amdhsa_exception_int_div_zero 0
	.end_amdhsa_kernel
	.section	.text._ZL33flash_attn_stream_k_fixup_generalILi128ELi16ELi2EEvPfPK15HIP_vector_typeIfLj2EEiiiiS1_IjLj3EES5_S5_S5_,"axG",@progbits,_ZL33flash_attn_stream_k_fixup_generalILi128ELi16ELi2EEvPfPK15HIP_vector_typeIfLj2EEiiiiS1_IjLj3EES5_S5_S5_,comdat
.Lfunc_end39:
	.size	_ZL33flash_attn_stream_k_fixup_generalILi128ELi16ELi2EEvPfPK15HIP_vector_typeIfLj2EEiiiiS1_IjLj3EES5_S5_S5_, .Lfunc_end39-_ZL33flash_attn_stream_k_fixup_generalILi128ELi16ELi2EEvPfPK15HIP_vector_typeIfLj2EEiiiiS1_IjLj3EES5_S5_S5_
                                        ; -- End function
	.set _ZL33flash_attn_stream_k_fixup_generalILi128ELi16ELi2EEvPfPK15HIP_vector_typeIfLj2EEiiiiS1_IjLj3EES5_S5_S5_.num_vgpr, 18
	.set _ZL33flash_attn_stream_k_fixup_generalILi128ELi16ELi2EEvPfPK15HIP_vector_typeIfLj2EEiiiiS1_IjLj3EES5_S5_S5_.num_agpr, 0
	.set _ZL33flash_attn_stream_k_fixup_generalILi128ELi16ELi2EEvPfPK15HIP_vector_typeIfLj2EEiiiiS1_IjLj3EES5_S5_S5_.numbered_sgpr, 36
	.set _ZL33flash_attn_stream_k_fixup_generalILi128ELi16ELi2EEvPfPK15HIP_vector_typeIfLj2EEiiiiS1_IjLj3EES5_S5_S5_.num_named_barrier, 0
	.set _ZL33flash_attn_stream_k_fixup_generalILi128ELi16ELi2EEvPfPK15HIP_vector_typeIfLj2EEiiiiS1_IjLj3EES5_S5_S5_.private_seg_size, 0
	.set _ZL33flash_attn_stream_k_fixup_generalILi128ELi16ELi2EEvPfPK15HIP_vector_typeIfLj2EEiiiiS1_IjLj3EES5_S5_S5_.uses_vcc, 1
	.set _ZL33flash_attn_stream_k_fixup_generalILi128ELi16ELi2EEvPfPK15HIP_vector_typeIfLj2EEiiiiS1_IjLj3EES5_S5_S5_.uses_flat_scratch, 0
	.set _ZL33flash_attn_stream_k_fixup_generalILi128ELi16ELi2EEvPfPK15HIP_vector_typeIfLj2EEiiiiS1_IjLj3EES5_S5_S5_.has_dyn_sized_stack, 0
	.set _ZL33flash_attn_stream_k_fixup_generalILi128ELi16ELi2EEvPfPK15HIP_vector_typeIfLj2EEiiiiS1_IjLj3EES5_S5_S5_.has_recursion, 0
	.set _ZL33flash_attn_stream_k_fixup_generalILi128ELi16ELi2EEvPfPK15HIP_vector_typeIfLj2EEiiiiS1_IjLj3EES5_S5_S5_.has_indirect_call, 0
	.section	.AMDGPU.csdata,"",@progbits
; Kernel info:
; codeLenInByte = 2940
; TotalNumSgprs: 42
; NumVgprs: 18
; NumAgprs: 0
; TotalNumVgprs: 18
; ScratchSize: 0
; MemoryBound: 0
; FloatMode: 240
; IeeeMode: 1
; LDSByteSize: 0 bytes/workgroup (compile time only)
; SGPRBlocks: 5
; VGPRBlocks: 2
; NumSGPRsForWavesPerEU: 42
; NumVGPRsForWavesPerEU: 18
; AccumOffset: 20
; Occupancy: 8
; WaveLimiterHint : 0
; COMPUTE_PGM_RSRC2:SCRATCH_EN: 0
; COMPUTE_PGM_RSRC2:USER_SGPR: 2
; COMPUTE_PGM_RSRC2:TRAP_HANDLER: 0
; COMPUTE_PGM_RSRC2:TGID_X_EN: 1
; COMPUTE_PGM_RSRC2:TGID_Y_EN: 1
; COMPUTE_PGM_RSRC2:TGID_Z_EN: 1
; COMPUTE_PGM_RSRC2:TIDIG_COMP_CNT: 0
; COMPUTE_PGM_RSRC3_GFX90A:ACCUM_OFFSET: 4
; COMPUTE_PGM_RSRC3_GFX90A:TG_SPLIT: 0
	.section	.text._ZL15flash_attn_tileILi128ELi128ELi8ELi2ELb0EEvPKcS1_S1_S1_S1_PKiPfP15HIP_vector_typeIfLj2EEffffjfiS5_IjLj3EEiiiiiiiiiiiliiliiiiil,"axG",@progbits,_ZL15flash_attn_tileILi128ELi128ELi8ELi2ELb0EEvPKcS1_S1_S1_S1_PKiPfP15HIP_vector_typeIfLj2EEffffjfiS5_IjLj3EEiiiiiiiiiiiliiliiiiil,comdat
	.globl	_ZL15flash_attn_tileILi128ELi128ELi8ELi2ELb0EEvPKcS1_S1_S1_S1_PKiPfP15HIP_vector_typeIfLj2EEffffjfiS5_IjLj3EEiiiiiiiiiiiliiliiiiil ; -- Begin function _ZL15flash_attn_tileILi128ELi128ELi8ELi2ELb0EEvPKcS1_S1_S1_S1_PKiPfP15HIP_vector_typeIfLj2EEffffjfiS5_IjLj3EEiiiiiiiiiiiliiliiiiil
	.p2align	8
	.type	_ZL15flash_attn_tileILi128ELi128ELi8ELi2ELb0EEvPKcS1_S1_S1_S1_PKiPfP15HIP_vector_typeIfLj2EEffffjfiS5_IjLj3EEiiiiiiiiiiiliiliiiiil,@function
_ZL15flash_attn_tileILi128ELi128ELi8ELi2ELb0EEvPKcS1_S1_S1_S1_PKiPfP15HIP_vector_typeIfLj2EEffffjfiS5_IjLj3EEiiiiiiiiiiiliiliiiiil: ; @_ZL15flash_attn_tileILi128ELi128ELi8ELi2ELb0EEvPKcS1_S1_S1_S1_PKiPfP15HIP_vector_typeIfLj2EEffffjfiS5_IjLj3EEiiiiiiiiiiiliiliiiiil
; %bb.0:
	s_load_dwordx4 s[24:27], s[0:1], 0x5c
	s_load_dwordx2 s[30:31], s[0:1], 0x80
	s_load_dwordx2 s[36:37], s[0:1], 0xb8
	s_mov_b64 s[34:35], 0
	s_waitcnt lgkmcnt(0)
	s_lshr_b32 s5, s27, 31
	s_add_i32 s5, s27, s5
	s_ashr_i32 s5, s5, 1
	v_cvt_f32_u32_e32 v1, s5
	s_sub_i32 s6, 0, s5
	v_rcp_iflag_f32_e32 v1, v1
	s_nop 0
	v_mul_f32_e32 v1, 0x4f7ffffe, v1
	v_cvt_u32_f32_e32 v1, v1
	s_nop 0
	v_readfirstlane_b32 s7, v1
	s_mul_i32 s6, s6, s7
	s_mul_hi_u32 s6, s7, s6
	s_add_i32 s7, s7, s6
	s_mul_hi_u32 s6, s4, s7
	s_mul_i32 s7, s6, s5
	s_sub_i32 s7, s4, s7
	s_add_i32 s8, s6, 1
	s_sub_i32 s9, s7, s5
	s_cmp_ge_u32 s7, s5
	s_cselect_b32 s6, s8, s6
	s_cselect_b32 s7, s9, s7
	s_add_i32 s8, s6, 1
	s_cmp_ge_u32 s7, s5
	s_cselect_b32 s33, s8, s6
	s_abs_i32 s5, s31
	v_cvt_f32_u32_e32 v1, s5
	s_lshl_b32 s4, s4, 1
	s_mul_i32 s8, s33, s27
	s_sub_i32 s9, 0, s5
	v_rcp_iflag_f32_e32 v1, v1
	s_sub_i32 s28, s4, s8
	s_abs_i32 s7, s27
	s_xor_b32 s6, s27, s31
	v_mul_f32_e32 v1, 0x4f7ffffe, v1
	v_cvt_u32_f32_e32 v1, v1
	s_ashr_i32 s6, s6, 31
	v_readfirstlane_b32 s4, v1
	s_mul_i32 s9, s9, s4
	s_mul_hi_u32 s8, s4, s9
	s_add_i32 s4, s4, s8
	s_mul_hi_u32 s4, s7, s4
	s_mul_i32 s8, s4, s5
	s_sub_i32 s7, s7, s8
	s_add_i32 s9, s4, 1
	s_sub_i32 s8, s7, s5
	s_cmp_ge_u32 s7, s5
	s_cselect_b32 s4, s9, s4
	s_cselect_b32 s7, s8, s7
	s_add_i32 s8, s4, 1
	s_cmp_ge_u32 s7, s5
	s_cselect_b32 s4, s8, s4
	s_xor_b32 s4, s4, s6
	s_sub_i32 s31, s4, s6
	s_abs_i32 s29, s31
	v_cvt_f32_u32_e32 v1, s29
	s_load_dwordx16 s[8:23], s[0:1], 0x0
	v_rcp_iflag_f32_e32 v1, v1
	s_waitcnt lgkmcnt(0)
	s_cmp_eq_u64 s[14:15], 0
	v_mul_f32_e32 v1, 0x4f7ffffe, v1
	v_cvt_u32_f32_e32 v1, v1
	s_nop 0
	v_readfirstlane_b32 s38, v1
	s_cbranch_scc1 .LBB40_2
; %bb.1:
	s_abs_i32 s6, s36
	v_cvt_f32_u32_e32 v1, s6
	s_sub_i32 s35, 0, s6
	s_abs_i32 s34, s33
	s_ashr_i32 s7, s33, 31
	v_rcp_iflag_f32_e32 v1, v1
	s_load_dwordx2 s[4:5], s[0:1], 0xc8
	v_mul_f32_e32 v1, 0x4f7ffffe, v1
	v_cvt_u32_f32_e32 v1, v1
	s_nop 0
	v_readfirstlane_b32 s36, v1
	s_mul_i32 s35, s35, s36
	s_mul_hi_u32 s35, s36, s35
	s_add_i32 s36, s36, s35
	s_mul_hi_u32 s35, s34, s36
	s_mul_i32 s35, s35, s6
	s_sub_i32 s34, s34, s35
	s_sub_i32 s35, s34, s6
	s_cmp_ge_u32 s34, s6
	s_cselect_b32 s34, s35, s34
	s_sub_i32 s35, s34, s6
	s_cmp_ge_u32 s34, s6
	s_cselect_b32 s6, s35, s34
	s_xor_b32 s6, s6, s7
	s_sub_i32 s6, s6, s7
	s_ashr_i32 s7, s6, 31
	s_waitcnt lgkmcnt(0)
	s_mul_hi_u32 s34, s4, s6
	s_mul_i32 s7, s4, s7
	s_mul_i32 s5, s5, s6
	s_add_i32 s7, s34, s7
	s_add_i32 s7, s7, s5
	s_mul_i32 s4, s4, s6
	s_add_u32 s34, s14, s4
	s_addc_u32 s35, s15, s7
.LBB40_2:
	s_load_dwordx4 s[4:7], s[0:1], 0x70
	v_bfe_u32 v2, v0, 10, 10
	v_lshl_add_u32 v1, s2, 3, v2
	v_mul_hi_u32 v3, s24, v1
	v_add_u32_e32 v3, v1, v3
	s_waitcnt lgkmcnt(0)
	s_mul_i32 s6, s33, s6
	s_ashr_i32 s14, s6, 31
	s_mul_i32 s7, s28, s5
	s_add_u32 s6, s8, s6
	s_addc_u32 s8, s9, s14
	s_ashr_i32 s9, s7, 31
	s_add_u32 s6, s6, s7
	v_lshrrev_b32_e32 v3, s25, v3
	s_addc_u32 s7, s8, s9
	v_mul_lo_u32 v3, v3, s26
	s_ashr_i32 s9, s4, 31
	s_mov_b32 s8, s4
	v_sub_u32_e32 v6, v1, v3
	s_lshr_b64 s[14:15], s[8:9], 2
	v_mad_u64_u32 v[4:5], s[14:15], s14, v6, 0
	v_mov_b32_e32 v8, v5
	s_lshr_b32 s4, s9, 2
	v_mad_u64_u32 v[8:9], s[8:9], s4, v6, v[8:9]
	v_mov_b32_e32 v5, v8
	v_and_b32_e32 v0, 0x3ff, v0
	v_lshl_add_u64 v[4:5], v[4:5], 2, s[6:7]
	v_lshlrev_b32_e32 v8, 4, v0
	v_mov_b32_e32 v9, 0
	v_lshl_add_u64 v[4:5], v[4:5], 0, v[8:9]
	s_ashr_i32 s7, s5, 31
	s_and_b32 s6, s5, -4
	global_load_dwordx4 v[8:11], v[4:5], off
	v_lshl_add_u64 v[4:5], v[4:5], 0, s[6:7]
	global_load_dwordx4 v[12:15], v[4:5], off
	s_load_dword s4, s[0:1], 0x40
	v_mov_b32_e32 v3, 0x4400
	v_lshl_add_u32 v27, v2, 9, v3
	v_lshlrev_b32_e32 v28, 3, v0
	v_add_u32_e32 v3, v27, v28
	s_cmp_eq_u64 s[18:19], 0
	s_waitcnt vmcnt(1) lgkmcnt(0)
	v_fma_mixlo_f16 v4, s4, v8, 0
	v_fma_mixlo_f16 v5, s4, v9, 0
	;; [unrolled: 1-line block ×4, first 2 shown]
	v_lshlrev_b32_e32 v5, 16, v5
	v_and_b32_e32 v4, 0xffff, v4
	v_lshlrev_b32_e32 v8, 16, v8
	v_and_b32_e32 v7, 0xffff, v7
	s_waitcnt vmcnt(0)
	v_fma_mixlo_f16 v9, s4, v12, 0
	v_fma_mixlo_f16 v10, s4, v13, 0
	;; [unrolled: 1-line block ×4, first 2 shown]
	v_or_b32_e32 v4, v5, v4
	v_or3_b32 v5, v8, v7, 0
	v_lshlrev_b32_e32 v7, 16, v10
	v_and_b32_e32 v8, 0xffff, v9
	v_lshlrev_b32_e32 v9, 16, v12
	v_and_b32_e32 v10, 0xffff, v11
	v_or_b32_e32 v7, v7, v8
	v_or3_b32 v4, 0, 0, v4
	v_or3_b32 v9, v9, v10, 0
	v_or3_b32 v8, 0, 0, v7
	ds_write2_b64 v3, v[4:5], v[8:9] offset1:32
	s_waitcnt lgkmcnt(0)
	s_barrier
	s_cbranch_scc1 .LBB40_4
; %bb.3:
	s_load_dword s4, s[0:1], 0xd0
	s_mov_b32 s5, 0
	s_waitcnt lgkmcnt(0)
	s_mul_i32 s4, s4, s33
	s_add_i32 s4, s4, s2
	s_lshl_b64 s[4:5], s[4:5], 2
	s_add_u32 s4, s18, s4
	s_addc_u32 s5, s19, s5
	s_load_dword s30, s[4:5], 0x0
.LBB40_4:
	s_lshl_b32 s2, s3, 6
	s_waitcnt lgkmcnt(0)
	s_cmp_lt_i32 s2, s30
	v_mbcnt_lo_u32_b32 v7, -1, 0
	s_cbranch_scc1 .LBB40_7
; %bb.5:
	v_mbcnt_hi_u32_b32 v15, -1, v7
	v_and_b32_e32 v3, 0x60, v15
	v_add_u32_e32 v29, 32, v3
	v_xor_b32_e32 v34, 16, v15
	v_xor_b32_e32 v33, 8, v15
	;; [unrolled: 1-line block ×5, first 2 shown]
	v_lshlrev_b32_e32 v26, 2, v0
	s_cbranch_execz .LBB40_8
; %bb.6:
	v_mov_b32_e32 v7, 0
	v_mov_b32_e32 v25, 0xfeffffff
	;; [unrolled: 1-line block ×8, first 2 shown]
	s_branch .LBB40_10
.LBB40_7:
                                        ; implicit-def: $vgpr15
                                        ; implicit-def: $vgpr29
                                        ; implicit-def: $vgpr34
                                        ; implicit-def: $vgpr33
                                        ; implicit-def: $vgpr32
                                        ; implicit-def: $vgpr31
                                        ; implicit-def: $vgpr30
	v_lshlrev_b32_e32 v26, 2, v0
.LBB40_8:
	s_sub_i32 s4, 0, s29
	s_mul_i32 s4, s4, s38
	s_mul_hi_u32 s4, s38, s4
	s_add_i32 s38, s38, s4
	s_load_dwordx2 s[8:9], s[0:1], 0x8c
	s_load_dwordx4 s[4:7], s[0:1], 0x98
	s_abs_i32 s24, s28
	s_mul_hi_u32 s25, s24, s38
	s_ashr_i32 s36, s28, 31
	s_waitcnt lgkmcnt(0)
	s_ashr_i32 s19, s8, 2
	s_ashr_i32 s8, s33, 31
	;; [unrolled: 1-line block ×4, first 2 shown]
	s_mul_hi_u32 s37, s4, s33
	s_mul_i32 s38, s4, s8
	s_add_i32 s37, s37, s38
	s_mul_i32 s5, s5, s33
	s_ashr_i32 s31, s31, 31
	s_add_i32 s37, s37, s5
	s_mul_i32 s4, s4, s33
	s_add_u32 s4, s10, s4
	s_addc_u32 s5, s11, s37
	s_mul_i32 s11, s25, s29
	s_sub_i32 s11, s24, s11
	s_xor_b32 s10, s36, s31
	s_add_i32 s24, s25, 1
	s_sub_i32 s31, s11, s29
	s_cmp_ge_u32 s11, s29
	s_cselect_b32 s24, s24, s25
	s_cselect_b32 s11, s31, s11
	s_add_i32 s25, s24, 1
	s_cmp_ge_u32 s11, s29
	s_cselect_b32 s11, s25, s24
	s_load_dwordx2 s[14:15], s[0:1], 0xa8
	s_xor_b32 s11, s11, s10
	s_sub_i32 s10, s11, s10
	s_mul_i32 s9, s10, s9
	s_ashr_i32 s11, s9, 31
	s_add_u32 s24, s4, s9
	s_addc_u32 s25, s5, s11
	s_waitcnt lgkmcnt(0)
	s_mul_hi_u32 s4, s14, s33
	s_mul_i32 s5, s14, s8
	s_add_i32 s4, s4, s5
	s_mul_i32 s5, s15, s33
	s_add_i32 s4, s4, s5
	s_mul_i32 s5, s14, s33
	s_add_u32 s5, s12, s5
	s_mul_i32 s10, s10, s7
	s_addc_u32 s4, s13, s4
	s_ashr_i32 s7, s10, 31
	s_add_u32 s29, s5, s10
	v_lshrrev_b32_e32 v3, 4, v0
	v_and_b32_e32 v30, 60, v26
	s_addc_u32 s31, s4, s7
	v_lshl_add_u32 v16, v2, 1, v3
	v_lshlrev_b32_e32 v17, 2, v30
	s_movk_i32 s4, 0x110
	v_mad_u32_u24 v35, v16, s4, v17
	v_mul_lo_u32 v4, s19, v16
	s_lshl_b32 s4, s19, 4
	v_add_u32_e32 v8, s4, v4
	v_add_u32_e32 v10, s4, v8
	;; [unrolled: 1-line block ×3, first 2 shown]
	v_mad_u64_u32 v[14:15], s[4:5], v6, s6, v[0:1]
	v_lshl_or_b32 v41, v16, 8, v17
	v_mul_lo_u32 v16, s18, v16
	s_lshl_b32 s4, s18, 4
	v_add_u32_e32 v18, s4, v16
	v_mov_b32_e32 v6, 0x5400
	v_add_u32_e32 v20, s4, v18
	v_mbcnt_hi_u32_b32 v15, -1, v7
	v_mov_b32_e32 v3, 0
	v_lshl_add_u32 v40, v2, 8, v6
	v_add_u32_e32 v22, s4, v20
	s_add_u32 s14, s0, 0xd0
	v_mov_b32_e32 v24, 0xfeffffff
	v_and_b32_e32 v6, 0x60, v15
	v_ashrrev_i32_e32 v5, 31, v4
	v_add_u32_e32 v36, 0x1100, v35
	v_ashrrev_i32_e32 v9, 31, v8
	v_add_u32_e32 v37, 0x2200, v35
	;; [unrolled: 2-line block ×3, first 2 shown]
	v_ashrrev_i32_e32 v13, 31, v12
	v_mul_u32_u24_e32 v39, 0x110, v0
	v_ashrrev_i32_e32 v17, 31, v16
	v_add_u32_e32 v42, 0x1000, v41
	v_ashrrev_i32_e32 v19, 31, v18
	v_add_u32_e32 v43, 0x2000, v41
	;; [unrolled: 2-line block ×3, first 2 shown]
	v_ashrrev_i32_e32 v23, 31, v22
	s_addc_u32 s15, s1, 0
	v_lshlrev_b32_e32 v2, 2, v30
	v_add_u32_e32 v29, 32, v6
	v_xor_b32_e32 v34, 16, v15
	v_xor_b32_e32 v33, 8, v15
	;; [unrolled: 1-line block ×5, first 2 shown]
	s_mov_b32 s36, 0x3fb8aa3b
	s_mov_b32 s37, 0xc2ce8ed0
	;; [unrolled: 1-line block ×3, first 2 shown]
	v_mov_b32_e32 v45, 0x7f800000
	s_mov_b32 s39, 0x10001
	v_add_u32_e32 v46, v40, v26
	v_add_u32_e32 v47, 0x800, v28
	;; [unrolled: 1-line block ×8, first 2 shown]
	v_mov_b32_e32 v55, v3
	v_mov_b32_e32 v54, v3
	;; [unrolled: 1-line block ×7, first 2 shown]
.LBB40_9:                               ; =>This Inner Loop Header: Depth=1
	s_mul_hi_i32 s5, s2, s19
	s_mul_i32 s4, s2, s19
	s_lshl_b64 s[4:5], s[4:5], 2
	s_add_u32 s4, s24, s4
	s_addc_u32 s5, s25, s5
	v_lshl_add_u64 v[62:63], v[4:5], 2, s[4:5]
	v_lshl_add_u64 v[64:65], v[8:9], 2, s[4:5]
	;; [unrolled: 1-line block ×8, first 2 shown]
	global_load_dwordx4 v[62:65], v[78:79], off
	global_load_dwordx4 v[66:69], v[80:81], off
	;; [unrolled: 1-line block ×4, first 2 shown]
	v_mov_b32_e32 v59, v24
	v_mov_b32_e32 v24, 0
	;; [unrolled: 1-line block ×6, first 2 shown]
	v_cmp_lt_i32_e32 vcc, v34, v29
	s_mul_hi_i32 s5, s2, s18
	s_mul_i32 s4, s2, s18
	s_lshl_b64 s[4:5], s[4:5], 2
	s_add_u32 s4, s29, s4
	s_addc_u32 s5, s31, s5
	s_waitcnt vmcnt(3)
	ds_write_b128 v35, v[62:65]
	s_waitcnt vmcnt(2)
	ds_write_b128 v36, v[66:69]
	s_waitcnt vmcnt(1)
	ds_write_b128 v37, v[70:73]
	s_waitcnt vmcnt(0)
	ds_write_b128 v38, v[74:77]
	s_waitcnt lgkmcnt(0)
	s_barrier
	ds_read_b128 v[62:65], v27
	ds_read_b128 v[66:69], v39
	ds_read_b128 v[70:73], v39 offset:8704
	ds_read_b128 v[74:77], v27 offset:256
	s_waitcnt lgkmcnt(2)
	;;#ASMSTART
	v_dot2_f32_f16 v24, v66, v62, v24
	;;#ASMEND
	s_nop 0
	;;#ASMSTART
	v_dot2_f32_f16 v24, v67, v63, v24
	;;#ASMEND
	s_nop 0
	;; [unrolled: 4-line block ×3, first 2 shown]
	;;#ASMSTART
	v_dot2_f32_f16 v24, v69, v65, v24
	;;#ASMEND
	s_waitcnt lgkmcnt(0)
	;;#ASMSTART
	v_dot2_f32_f16 v25, v66, v74, v25
	;;#ASMEND
	s_nop 0
	;;#ASMSTART
	v_dot2_f32_f16 v25, v67, v75, v25
	;;#ASMEND
	s_nop 0
	;;#ASMSTART
	v_dot2_f32_f16 v25, v68, v76, v25
	;;#ASMEND
	s_nop 0
	;;#ASMSTART
	v_dot2_f32_f16 v25, v69, v77, v25
	;;#ASMEND
	;;#ASMSTART
	v_dot2_f32_f16 v60, v70, v62, v60
	;;#ASMEND
	s_nop 0
	;;#ASMSTART
	v_dot2_f32_f16 v60, v71, v63, v60
	;;#ASMEND
	s_nop 0
	;;#ASMSTART
	v_dot2_f32_f16 v60, v72, v64, v60
	;;#ASMEND
	s_nop 0
	;;#ASMSTART
	v_dot2_f32_f16 v60, v73, v65, v60
	;;#ASMEND
	;; [unrolled: 15-line block ×3, first 2 shown]
	ds_read_b128 v[62:65], v27 offset:16
	ds_read_b128 v[66:69], v39 offset:16
	;; [unrolled: 1-line block ×4, first 2 shown]
	s_waitcnt lgkmcnt(2)
	;;#ASMSTART
	v_dot2_f32_f16 v24, v66, v62, v24
	;;#ASMEND
	s_nop 0
	;;#ASMSTART
	v_dot2_f32_f16 v24, v67, v63, v24
	;;#ASMEND
	s_nop 0
	;; [unrolled: 4-line block ×3, first 2 shown]
	;;#ASMSTART
	v_dot2_f32_f16 v24, v69, v65, v24
	;;#ASMEND
	s_waitcnt lgkmcnt(0)
	;;#ASMSTART
	v_dot2_f32_f16 v25, v66, v74, v25
	;;#ASMEND
	s_nop 0
	;;#ASMSTART
	v_dot2_f32_f16 v25, v67, v75, v25
	;;#ASMEND
	s_nop 0
	;;#ASMSTART
	v_dot2_f32_f16 v25, v68, v76, v25
	;;#ASMEND
	s_nop 0
	;;#ASMSTART
	v_dot2_f32_f16 v25, v69, v77, v25
	;;#ASMEND
	;;#ASMSTART
	v_dot2_f32_f16 v60, v70, v62, v60
	;;#ASMEND
	s_nop 0
	;;#ASMSTART
	v_dot2_f32_f16 v60, v71, v63, v60
	;;#ASMEND
	s_nop 0
	;;#ASMSTART
	v_dot2_f32_f16 v60, v72, v64, v60
	;;#ASMEND
	s_nop 0
	;;#ASMSTART
	v_dot2_f32_f16 v60, v73, v65, v60
	;;#ASMEND
	;; [unrolled: 15-line block ×3, first 2 shown]
	ds_read_b128 v[62:65], v27 offset:32
	ds_read_b128 v[66:69], v39 offset:32
	;; [unrolled: 1-line block ×4, first 2 shown]
	s_waitcnt lgkmcnt(2)
	;;#ASMSTART
	v_dot2_f32_f16 v24, v66, v62, v24
	;;#ASMEND
	s_nop 0
	;;#ASMSTART
	v_dot2_f32_f16 v24, v67, v63, v24
	;;#ASMEND
	s_nop 0
	;; [unrolled: 4-line block ×3, first 2 shown]
	;;#ASMSTART
	v_dot2_f32_f16 v24, v69, v65, v24
	;;#ASMEND
	s_waitcnt lgkmcnt(0)
	;;#ASMSTART
	v_dot2_f32_f16 v25, v66, v74, v25
	;;#ASMEND
	s_nop 0
	;;#ASMSTART
	v_dot2_f32_f16 v25, v67, v75, v25
	;;#ASMEND
	s_nop 0
	;;#ASMSTART
	v_dot2_f32_f16 v25, v68, v76, v25
	;;#ASMEND
	s_nop 0
	;;#ASMSTART
	v_dot2_f32_f16 v25, v69, v77, v25
	;;#ASMEND
	;;#ASMSTART
	v_dot2_f32_f16 v60, v70, v62, v60
	;;#ASMEND
	s_nop 0
	;;#ASMSTART
	v_dot2_f32_f16 v60, v71, v63, v60
	;;#ASMEND
	s_nop 0
	;;#ASMSTART
	v_dot2_f32_f16 v60, v72, v64, v60
	;;#ASMEND
	s_nop 0
	;;#ASMSTART
	v_dot2_f32_f16 v60, v73, v65, v60
	;;#ASMEND
	;; [unrolled: 15-line block ×3, first 2 shown]
	ds_read_b128 v[62:65], v27 offset:48
	ds_read_b128 v[66:69], v39 offset:48
	;; [unrolled: 1-line block ×4, first 2 shown]
	s_waitcnt lgkmcnt(2)
	;;#ASMSTART
	v_dot2_f32_f16 v24, v66, v62, v24
	;;#ASMEND
	s_nop 0
	;;#ASMSTART
	v_dot2_f32_f16 v24, v67, v63, v24
	;;#ASMEND
	s_nop 0
	;;#ASMSTART
	v_dot2_f32_f16 v24, v68, v64, v24
	;;#ASMEND
	s_nop 0
	;;#ASMSTART
	v_dot2_f32_f16 v24, v69, v65, v24
	;;#ASMEND
	s_waitcnt lgkmcnt(0)
	;;#ASMSTART
	v_dot2_f32_f16 v25, v66, v74, v25
	;;#ASMEND
	s_nop 0
	;;#ASMSTART
	v_dot2_f32_f16 v25, v67, v75, v25
	;;#ASMEND
	s_nop 0
	;;#ASMSTART
	v_dot2_f32_f16 v25, v68, v76, v25
	;;#ASMEND
	s_nop 0
	;;#ASMSTART
	v_dot2_f32_f16 v25, v69, v77, v25
	;;#ASMEND
	;;#ASMSTART
	v_dot2_f32_f16 v60, v70, v62, v60
	;;#ASMEND
	s_nop 0
	;;#ASMSTART
	v_dot2_f32_f16 v60, v71, v63, v60
	;;#ASMEND
	s_nop 0
	;;#ASMSTART
	v_dot2_f32_f16 v60, v72, v64, v60
	;;#ASMEND
	s_nop 0
	;;#ASMSTART
	v_dot2_f32_f16 v60, v73, v65, v60
	;;#ASMEND
	;; [unrolled: 15-line block ×3, first 2 shown]
	ds_read_b128 v[62:65], v27 offset:64
	ds_read_b128 v[66:69], v39 offset:64
	ds_read_b128 v[70:73], v39 offset:8768
	ds_read_b128 v[74:77], v27 offset:320
	s_waitcnt lgkmcnt(2)
	;;#ASMSTART
	v_dot2_f32_f16 v24, v66, v62, v24
	;;#ASMEND
	s_nop 0
	;;#ASMSTART
	v_dot2_f32_f16 v24, v67, v63, v24
	;;#ASMEND
	s_nop 0
	;; [unrolled: 4-line block ×3, first 2 shown]
	;;#ASMSTART
	v_dot2_f32_f16 v24, v69, v65, v24
	;;#ASMEND
	s_waitcnt lgkmcnt(0)
	;;#ASMSTART
	v_dot2_f32_f16 v25, v66, v74, v25
	;;#ASMEND
	s_nop 0
	;;#ASMSTART
	v_dot2_f32_f16 v25, v67, v75, v25
	;;#ASMEND
	s_nop 0
	;;#ASMSTART
	v_dot2_f32_f16 v25, v68, v76, v25
	;;#ASMEND
	s_nop 0
	;;#ASMSTART
	v_dot2_f32_f16 v25, v69, v77, v25
	;;#ASMEND
	;;#ASMSTART
	v_dot2_f32_f16 v60, v70, v62, v60
	;;#ASMEND
	s_nop 0
	;;#ASMSTART
	v_dot2_f32_f16 v60, v71, v63, v60
	;;#ASMEND
	s_nop 0
	;;#ASMSTART
	v_dot2_f32_f16 v60, v72, v64, v60
	;;#ASMEND
	s_nop 0
	;;#ASMSTART
	v_dot2_f32_f16 v60, v73, v65, v60
	;;#ASMEND
	;; [unrolled: 15-line block ×3, first 2 shown]
	ds_read_b128 v[62:65], v27 offset:80
	ds_read_b128 v[66:69], v39 offset:80
	;; [unrolled: 1-line block ×4, first 2 shown]
	s_waitcnt lgkmcnt(2)
	;;#ASMSTART
	v_dot2_f32_f16 v24, v66, v62, v24
	;;#ASMEND
	s_nop 0
	;;#ASMSTART
	v_dot2_f32_f16 v24, v67, v63, v24
	;;#ASMEND
	s_nop 0
	;; [unrolled: 4-line block ×3, first 2 shown]
	;;#ASMSTART
	v_dot2_f32_f16 v24, v69, v65, v24
	;;#ASMEND
	s_waitcnt lgkmcnt(0)
	;;#ASMSTART
	v_dot2_f32_f16 v25, v66, v74, v25
	;;#ASMEND
	s_nop 0
	;;#ASMSTART
	v_dot2_f32_f16 v25, v67, v75, v25
	;;#ASMEND
	s_nop 0
	;;#ASMSTART
	v_dot2_f32_f16 v25, v68, v76, v25
	;;#ASMEND
	s_nop 0
	;;#ASMSTART
	v_dot2_f32_f16 v25, v69, v77, v25
	;;#ASMEND
	;;#ASMSTART
	v_dot2_f32_f16 v60, v70, v62, v60
	;;#ASMEND
	s_nop 0
	;;#ASMSTART
	v_dot2_f32_f16 v60, v71, v63, v60
	;;#ASMEND
	s_nop 0
	;;#ASMSTART
	v_dot2_f32_f16 v60, v72, v64, v60
	;;#ASMEND
	s_nop 0
	;;#ASMSTART
	v_dot2_f32_f16 v60, v73, v65, v60
	;;#ASMEND
	;; [unrolled: 15-line block ×3, first 2 shown]
	ds_read_b128 v[62:65], v27 offset:96
	ds_read_b128 v[66:69], v39 offset:96
	;; [unrolled: 1-line block ×4, first 2 shown]
	s_waitcnt lgkmcnt(2)
	;;#ASMSTART
	v_dot2_f32_f16 v24, v66, v62, v24
	;;#ASMEND
	s_nop 0
	;;#ASMSTART
	v_dot2_f32_f16 v24, v67, v63, v24
	;;#ASMEND
	s_nop 0
	;; [unrolled: 4-line block ×3, first 2 shown]
	;;#ASMSTART
	v_dot2_f32_f16 v24, v69, v65, v24
	;;#ASMEND
	s_waitcnt lgkmcnt(0)
	;;#ASMSTART
	v_dot2_f32_f16 v25, v66, v74, v25
	;;#ASMEND
	s_nop 0
	;;#ASMSTART
	v_dot2_f32_f16 v25, v67, v75, v25
	;;#ASMEND
	s_nop 0
	;;#ASMSTART
	v_dot2_f32_f16 v25, v68, v76, v25
	;;#ASMEND
	s_nop 0
	;;#ASMSTART
	v_dot2_f32_f16 v25, v69, v77, v25
	;;#ASMEND
	;;#ASMSTART
	v_dot2_f32_f16 v60, v70, v62, v60
	;;#ASMEND
	s_nop 0
	;;#ASMSTART
	v_dot2_f32_f16 v60, v71, v63, v60
	;;#ASMEND
	s_nop 0
	;;#ASMSTART
	v_dot2_f32_f16 v60, v72, v64, v60
	;;#ASMEND
	s_nop 0
	;;#ASMSTART
	v_dot2_f32_f16 v60, v73, v65, v60
	;;#ASMEND
	;; [unrolled: 15-line block ×3, first 2 shown]
	ds_read_b128 v[62:65], v27 offset:112
	ds_read_b128 v[66:69], v39 offset:112
	ds_read_b128 v[70:73], v39 offset:8816
	ds_read_b128 v[74:77], v27 offset:368
	s_waitcnt lgkmcnt(2)
	;;#ASMSTART
	v_dot2_f32_f16 v24, v66, v62, v24
	;;#ASMEND
	s_nop 0
	;;#ASMSTART
	v_dot2_f32_f16 v24, v67, v63, v24
	;;#ASMEND
	s_nop 0
	;;#ASMSTART
	v_dot2_f32_f16 v24, v68, v64, v24
	;;#ASMEND
	s_nop 0
	;;#ASMSTART
	v_dot2_f32_f16 v24, v69, v65, v24
	;;#ASMEND
	s_waitcnt lgkmcnt(0)
	;;#ASMSTART
	v_dot2_f32_f16 v25, v66, v74, v25
	;;#ASMEND
	s_nop 0
	;;#ASMSTART
	v_dot2_f32_f16 v25, v67, v75, v25
	;;#ASMEND
	s_nop 0
	;;#ASMSTART
	v_dot2_f32_f16 v25, v68, v76, v25
	;;#ASMEND
	s_nop 0
	;;#ASMSTART
	v_dot2_f32_f16 v25, v69, v77, v25
	;;#ASMEND
	;;#ASMSTART
	v_dot2_f32_f16 v60, v70, v62, v60
	;;#ASMEND
	s_nop 0
	;;#ASMSTART
	v_dot2_f32_f16 v60, v71, v63, v60
	;;#ASMEND
	s_nop 0
	;;#ASMSTART
	v_dot2_f32_f16 v60, v72, v64, v60
	;;#ASMEND
	s_nop 0
	;;#ASMSTART
	v_dot2_f32_f16 v60, v73, v65, v60
	;;#ASMEND
	;;#ASMSTART
	v_dot2_f32_f16 v61, v70, v74, v61
	;;#ASMEND
	s_nop 0
	;;#ASMSTART
	v_dot2_f32_f16 v61, v71, v75, v61
	;;#ASMEND
	s_nop 0
	;;#ASMSTART
	v_dot2_f32_f16 v61, v72, v76, v61
	;;#ASMEND
	s_nop 0
	;;#ASMSTART
	v_dot2_f32_f16 v61, v73, v77, v61
	;;#ASMEND
	ds_read_b128 v[62:65], v27 offset:128
	ds_read_b128 v[66:69], v39 offset:128
	;; [unrolled: 1-line block ×4, first 2 shown]
	s_waitcnt lgkmcnt(2)
	;;#ASMSTART
	v_dot2_f32_f16 v24, v66, v62, v24
	;;#ASMEND
	s_nop 0
	;;#ASMSTART
	v_dot2_f32_f16 v24, v67, v63, v24
	;;#ASMEND
	s_nop 0
	;;#ASMSTART
	v_dot2_f32_f16 v24, v68, v64, v24
	;;#ASMEND
	s_nop 0
	;;#ASMSTART
	v_dot2_f32_f16 v24, v69, v65, v24
	;;#ASMEND
	s_waitcnt lgkmcnt(0)
	;;#ASMSTART
	v_dot2_f32_f16 v25, v66, v74, v25
	;;#ASMEND
	s_nop 0
	;;#ASMSTART
	v_dot2_f32_f16 v25, v67, v75, v25
	;;#ASMEND
	s_nop 0
	;;#ASMSTART
	v_dot2_f32_f16 v25, v68, v76, v25
	;;#ASMEND
	s_nop 0
	;;#ASMSTART
	v_dot2_f32_f16 v25, v69, v77, v25
	;;#ASMEND
	;;#ASMSTART
	v_dot2_f32_f16 v60, v70, v62, v60
	;;#ASMEND
	s_nop 0
	;;#ASMSTART
	v_dot2_f32_f16 v60, v71, v63, v60
	;;#ASMEND
	s_nop 0
	;;#ASMSTART
	v_dot2_f32_f16 v60, v72, v64, v60
	;;#ASMEND
	s_nop 0
	;;#ASMSTART
	v_dot2_f32_f16 v60, v73, v65, v60
	;;#ASMEND
	;; [unrolled: 15-line block ×3, first 2 shown]
	ds_read_b128 v[62:65], v27 offset:144
	ds_read_b128 v[66:69], v39 offset:144
	;; [unrolled: 1-line block ×4, first 2 shown]
	s_waitcnt lgkmcnt(2)
	;;#ASMSTART
	v_dot2_f32_f16 v24, v66, v62, v24
	;;#ASMEND
	s_nop 0
	;;#ASMSTART
	v_dot2_f32_f16 v24, v67, v63, v24
	;;#ASMEND
	s_nop 0
	;; [unrolled: 4-line block ×3, first 2 shown]
	;;#ASMSTART
	v_dot2_f32_f16 v24, v69, v65, v24
	;;#ASMEND
	s_waitcnt lgkmcnt(0)
	;;#ASMSTART
	v_dot2_f32_f16 v25, v66, v74, v25
	;;#ASMEND
	s_nop 0
	;;#ASMSTART
	v_dot2_f32_f16 v25, v67, v75, v25
	;;#ASMEND
	s_nop 0
	;;#ASMSTART
	v_dot2_f32_f16 v25, v68, v76, v25
	;;#ASMEND
	s_nop 0
	;;#ASMSTART
	v_dot2_f32_f16 v25, v69, v77, v25
	;;#ASMEND
	;;#ASMSTART
	v_dot2_f32_f16 v60, v70, v62, v60
	;;#ASMEND
	s_nop 0
	;;#ASMSTART
	v_dot2_f32_f16 v60, v71, v63, v60
	;;#ASMEND
	s_nop 0
	;;#ASMSTART
	v_dot2_f32_f16 v60, v72, v64, v60
	;;#ASMEND
	s_nop 0
	;;#ASMSTART
	v_dot2_f32_f16 v60, v73, v65, v60
	;;#ASMEND
	;; [unrolled: 15-line block ×3, first 2 shown]
	ds_read_b128 v[62:65], v27 offset:160
	ds_read_b128 v[66:69], v39 offset:160
	ds_read_b128 v[70:73], v39 offset:8864
	ds_read_b128 v[74:77], v27 offset:416
	s_waitcnt lgkmcnt(2)
	;;#ASMSTART
	v_dot2_f32_f16 v24, v66, v62, v24
	;;#ASMEND
	s_nop 0
	;;#ASMSTART
	v_dot2_f32_f16 v24, v67, v63, v24
	;;#ASMEND
	s_nop 0
	;; [unrolled: 4-line block ×3, first 2 shown]
	;;#ASMSTART
	v_dot2_f32_f16 v24, v69, v65, v24
	;;#ASMEND
	s_waitcnt lgkmcnt(0)
	;;#ASMSTART
	v_dot2_f32_f16 v25, v66, v74, v25
	;;#ASMEND
	s_nop 0
	;;#ASMSTART
	v_dot2_f32_f16 v25, v67, v75, v25
	;;#ASMEND
	s_nop 0
	;;#ASMSTART
	v_dot2_f32_f16 v25, v68, v76, v25
	;;#ASMEND
	s_nop 0
	;;#ASMSTART
	v_dot2_f32_f16 v25, v69, v77, v25
	;;#ASMEND
	;;#ASMSTART
	v_dot2_f32_f16 v60, v70, v62, v60
	;;#ASMEND
	s_nop 0
	;;#ASMSTART
	v_dot2_f32_f16 v60, v71, v63, v60
	;;#ASMEND
	s_nop 0
	;;#ASMSTART
	v_dot2_f32_f16 v60, v72, v64, v60
	;;#ASMEND
	s_nop 0
	;;#ASMSTART
	v_dot2_f32_f16 v60, v73, v65, v60
	;;#ASMEND
	;; [unrolled: 15-line block ×3, first 2 shown]
	ds_read_b128 v[62:65], v27 offset:176
	ds_read_b128 v[66:69], v39 offset:176
	;; [unrolled: 1-line block ×4, first 2 shown]
	s_waitcnt lgkmcnt(2)
	;;#ASMSTART
	v_dot2_f32_f16 v24, v66, v62, v24
	;;#ASMEND
	s_nop 0
	;;#ASMSTART
	v_dot2_f32_f16 v24, v67, v63, v24
	;;#ASMEND
	s_nop 0
	;; [unrolled: 4-line block ×3, first 2 shown]
	;;#ASMSTART
	v_dot2_f32_f16 v24, v69, v65, v24
	;;#ASMEND
	s_waitcnt lgkmcnt(0)
	;;#ASMSTART
	v_dot2_f32_f16 v25, v66, v74, v25
	;;#ASMEND
	s_nop 0
	;;#ASMSTART
	v_dot2_f32_f16 v25, v67, v75, v25
	;;#ASMEND
	s_nop 0
	;;#ASMSTART
	v_dot2_f32_f16 v25, v68, v76, v25
	;;#ASMEND
	s_nop 0
	;;#ASMSTART
	v_dot2_f32_f16 v25, v69, v77, v25
	;;#ASMEND
	;;#ASMSTART
	v_dot2_f32_f16 v60, v70, v62, v60
	;;#ASMEND
	s_nop 0
	;;#ASMSTART
	v_dot2_f32_f16 v60, v71, v63, v60
	;;#ASMEND
	s_nop 0
	;;#ASMSTART
	v_dot2_f32_f16 v60, v72, v64, v60
	;;#ASMEND
	s_nop 0
	;;#ASMSTART
	v_dot2_f32_f16 v60, v73, v65, v60
	;;#ASMEND
	;; [unrolled: 15-line block ×3, first 2 shown]
	ds_read_b128 v[62:65], v27 offset:192
	ds_read_b128 v[66:69], v39 offset:192
	;; [unrolled: 1-line block ×4, first 2 shown]
	s_waitcnt lgkmcnt(2)
	;;#ASMSTART
	v_dot2_f32_f16 v24, v66, v62, v24
	;;#ASMEND
	s_nop 0
	;;#ASMSTART
	v_dot2_f32_f16 v24, v67, v63, v24
	;;#ASMEND
	s_nop 0
	;; [unrolled: 4-line block ×3, first 2 shown]
	;;#ASMSTART
	v_dot2_f32_f16 v24, v69, v65, v24
	;;#ASMEND
	s_waitcnt lgkmcnt(0)
	;;#ASMSTART
	v_dot2_f32_f16 v25, v66, v74, v25
	;;#ASMEND
	s_nop 0
	;;#ASMSTART
	v_dot2_f32_f16 v25, v67, v75, v25
	;;#ASMEND
	s_nop 0
	;;#ASMSTART
	v_dot2_f32_f16 v25, v68, v76, v25
	;;#ASMEND
	s_nop 0
	;;#ASMSTART
	v_dot2_f32_f16 v25, v69, v77, v25
	;;#ASMEND
	;;#ASMSTART
	v_dot2_f32_f16 v60, v70, v62, v60
	;;#ASMEND
	s_nop 0
	;;#ASMSTART
	v_dot2_f32_f16 v60, v71, v63, v60
	;;#ASMEND
	s_nop 0
	;;#ASMSTART
	v_dot2_f32_f16 v60, v72, v64, v60
	;;#ASMEND
	s_nop 0
	;;#ASMSTART
	v_dot2_f32_f16 v60, v73, v65, v60
	;;#ASMEND
	;; [unrolled: 15-line block ×3, first 2 shown]
	ds_read_b128 v[62:65], v27 offset:208
	ds_read_b128 v[66:69], v39 offset:208
	ds_read_b128 v[70:73], v39 offset:8912
	ds_read_b128 v[74:77], v27 offset:464
	s_waitcnt lgkmcnt(2)
	;;#ASMSTART
	v_dot2_f32_f16 v24, v66, v62, v24
	;;#ASMEND
	s_nop 0
	;;#ASMSTART
	v_dot2_f32_f16 v24, v67, v63, v24
	;;#ASMEND
	s_nop 0
	;; [unrolled: 4-line block ×3, first 2 shown]
	;;#ASMSTART
	v_dot2_f32_f16 v24, v69, v65, v24
	;;#ASMEND
	s_waitcnt lgkmcnt(0)
	;;#ASMSTART
	v_dot2_f32_f16 v25, v66, v74, v25
	;;#ASMEND
	s_nop 0
	;;#ASMSTART
	v_dot2_f32_f16 v25, v67, v75, v25
	;;#ASMEND
	s_nop 0
	;;#ASMSTART
	v_dot2_f32_f16 v25, v68, v76, v25
	;;#ASMEND
	s_nop 0
	;;#ASMSTART
	v_dot2_f32_f16 v25, v69, v77, v25
	;;#ASMEND
	;;#ASMSTART
	v_dot2_f32_f16 v60, v70, v62, v60
	;;#ASMEND
	s_nop 0
	;;#ASMSTART
	v_dot2_f32_f16 v60, v71, v63, v60
	;;#ASMEND
	s_nop 0
	;;#ASMSTART
	v_dot2_f32_f16 v60, v72, v64, v60
	;;#ASMEND
	s_nop 0
	;;#ASMSTART
	v_dot2_f32_f16 v60, v73, v65, v60
	;;#ASMEND
	;; [unrolled: 15-line block ×3, first 2 shown]
	ds_read_b128 v[62:65], v27 offset:224
	ds_read_b128 v[66:69], v39 offset:224
	;; [unrolled: 1-line block ×4, first 2 shown]
	s_waitcnt lgkmcnt(2)
	;;#ASMSTART
	v_dot2_f32_f16 v24, v66, v62, v24
	;;#ASMEND
	s_nop 0
	;;#ASMSTART
	v_dot2_f32_f16 v24, v67, v63, v24
	;;#ASMEND
	s_nop 0
	;; [unrolled: 4-line block ×3, first 2 shown]
	;;#ASMSTART
	v_dot2_f32_f16 v24, v69, v65, v24
	;;#ASMEND
	s_waitcnt lgkmcnt(0)
	;;#ASMSTART
	v_dot2_f32_f16 v25, v66, v74, v25
	;;#ASMEND
	s_nop 0
	;;#ASMSTART
	v_dot2_f32_f16 v25, v67, v75, v25
	;;#ASMEND
	s_nop 0
	;;#ASMSTART
	v_dot2_f32_f16 v25, v68, v76, v25
	;;#ASMEND
	s_nop 0
	;;#ASMSTART
	v_dot2_f32_f16 v25, v69, v77, v25
	;;#ASMEND
	;;#ASMSTART
	v_dot2_f32_f16 v60, v70, v62, v60
	;;#ASMEND
	s_nop 0
	;;#ASMSTART
	v_dot2_f32_f16 v60, v71, v63, v60
	;;#ASMEND
	s_nop 0
	;;#ASMSTART
	v_dot2_f32_f16 v60, v72, v64, v60
	;;#ASMEND
	s_nop 0
	;;#ASMSTART
	v_dot2_f32_f16 v60, v73, v65, v60
	;;#ASMEND
	;; [unrolled: 15-line block ×3, first 2 shown]
	ds_read_b128 v[62:65], v27 offset:240
	ds_read_b128 v[66:69], v39 offset:240
	;; [unrolled: 1-line block ×4, first 2 shown]
	s_waitcnt lgkmcnt(2)
	;;#ASMSTART
	v_dot2_f32_f16 v24, v66, v62, v24
	;;#ASMEND
	s_nop 0
	;;#ASMSTART
	v_dot2_f32_f16 v24, v67, v63, v24
	;;#ASMEND
	s_nop 0
	;; [unrolled: 4-line block ×3, first 2 shown]
	;;#ASMSTART
	v_dot2_f32_f16 v24, v69, v65, v24
	;;#ASMEND
	s_waitcnt lgkmcnt(0)
	;;#ASMSTART
	v_dot2_f32_f16 v25, v66, v74, v25
	;;#ASMEND
	v_add_u32_e32 v66, s2, v14
	;;#ASMSTART
	v_dot2_f32_f16 v25, v67, v75, v25
	;;#ASMEND
	v_cndmask_b32_e32 v67, v15, v34, vcc
	;;#ASMSTART
	v_dot2_f32_f16 v25, v68, v76, v25
	;;#ASMEND
	v_cmp_lt_i32_e32 vcc, v33, v29
	;;#ASMSTART
	v_dot2_f32_f16 v25, v69, v77, v25
	;;#ASMEND
	;;#ASMSTART
	v_dot2_f32_f16 v60, v70, v62, v60
	;;#ASMEND
	s_nop 0
	;;#ASMSTART
	v_dot2_f32_f16 v60, v71, v63, v60
	;;#ASMEND
	s_nop 0
	v_cndmask_b32_e32 v68, v15, v33, vcc
	v_cmp_lt_i32_e32 vcc, v32, v29
	;;#ASMSTART
	v_dot2_f32_f16 v60, v72, v64, v60
	;;#ASMEND
	v_lshlrev_b32_e32 v68, 2, v68
	;;#ASMSTART
	v_dot2_f32_f16 v60, v73, v65, v60
	;;#ASMEND
	;;#ASMSTART
	v_dot2_f32_f16 v61, v70, v74, v61
	;;#ASMEND
	v_lshlrev_b32_e32 v65, 2, v67
	v_cndmask_b32_e32 v62, v15, v32, vcc
	v_cmp_lt_i32_e32 vcc, v31, v29
	v_ashrrev_i32_e32 v67, 31, v66
	;;#ASMSTART
	v_dot2_f32_f16 v61, v71, v75, v61
	;;#ASMEND
	v_lshlrev_b32_e32 v69, 2, v62
	v_cndmask_b32_e32 v63, v15, v31, vcc
	v_lshlrev_b32_e32 v78, 2, v63
	v_lshl_add_u64 v[62:63], v[66:67], 1, s[34:35]
	;;#ASMSTART
	v_dot2_f32_f16 v61, v72, v76, v61
	;;#ASMEND
	v_cmp_lt_i32_e32 vcc, v30, v29
	;;#ASMSTART
	v_dot2_f32_f16 v61, v73, v77, v61
	;;#ASMEND
	global_load_ushort v66, v[62:63], off
	global_load_ushort v67, v[62:63], off offset:64
	v_cndmask_b32_e32 v64, v15, v30, vcc
	v_lshlrev_b32_e32 v64, 2, v64
	s_barrier
	s_waitcnt vmcnt(1)
	v_cvt_f32_f16_e32 v62, v66
	s_waitcnt vmcnt(0)
	v_cvt_f32_f16_e32 v63, v67
	v_add_f32_e32 v66, v24, v62
	v_add_f32_e32 v60, v60, v63
	;; [unrolled: 1-line block ×8, first 2 shown]
	v_max3_f32 v24, v59, v24, v25
	v_max3_f32 v25, v58, v63, v67
	ds_bpermute_b32 v63, v65, v24
	ds_bpermute_b32 v65, v65, v25
	s_waitcnt lgkmcnt(1)
	v_max_f32_e32 v63, v63, v63
	v_max_f32_e32 v24, v24, v63
	s_waitcnt lgkmcnt(0)
	v_max_f32_e32 v65, v65, v65
	ds_bpermute_b32 v63, v68, v24
	v_max_f32_e32 v25, v25, v65
	ds_bpermute_b32 v65, v68, v25
	s_waitcnt lgkmcnt(1)
	v_max_f32_e32 v63, v63, v63
	v_max_f32_e32 v24, v24, v63
	s_waitcnt lgkmcnt(0)
	v_max_f32_e32 v65, v65, v65
	ds_bpermute_b32 v63, v69, v24
	v_max_f32_e32 v25, v25, v65
	;; [unrolled: 8-line block ×4, first 2 shown]
	ds_bpermute_b32 v64, v64, v25
	s_waitcnt lgkmcnt(1)
	v_max_f32_e32 v63, v63, v63
	v_max_f32_e32 v24, v24, v63
	s_waitcnt lgkmcnt(0)
	v_max_f32_e32 v64, v64, v64
	v_sub_f32_e32 v74, v60, v24
	v_max_f32_e32 v25, v25, v64
	v_sub_f32_e32 v72, v59, v24
	v_sub_f32_e32 v73, v66, v24
	v_mul_f32_e32 v59, 0x3fb8aa3b, v74
	v_sub_f32_e32 v75, v58, v25
	v_sub_f32_e32 v76, v62, v25
	v_mul_f32_e32 v58, 0x3fb8aa3b, v73
	v_mul_f32_e32 v60, 0x3fb8aa3b, v72
	v_fma_f32 v66, v74, s36, -v59
	v_rndne_f32_e32 v67, v59
	v_sub_f32_e32 v77, v61, v25
	v_mul_f32_e32 v61, 0x3fb8aa3b, v76
	v_fma_f32 v64, v73, s36, -v58
	v_rndne_f32_e32 v65, v58
	v_fma_f32 v68, v72, s36, -v60
	v_rndne_f32_e32 v69, v60
	v_fmac_f32_e32 v66, 0x32a5705f, v74
	v_sub_f32_e32 v59, v59, v67
	v_mul_f32_e32 v62, 0x3fb8aa3b, v77
	v_mul_f32_e32 v63, 0x3fb8aa3b, v75
	v_fma_f32 v70, v76, s36, -v61
	v_rndne_f32_e32 v71, v61
	v_fmac_f32_e32 v64, 0x32a5705f, v73
	v_sub_f32_e32 v58, v58, v65
	v_add_f32_e32 v66, v59, v66
	v_fmac_f32_e32 v68, 0x32a5705f, v72
	v_sub_f32_e32 v59, v60, v69
	v_add_f32_e32 v64, v58, v64
	v_fma_f32 v58, v77, s36, -v62
	v_rndne_f32_e32 v78, v62
	v_add_f32_e32 v68, v59, v68
	v_fma_f32 v59, v75, s36, -v63
	v_fmac_f32_e32 v70, 0x32a5705f, v76
	v_sub_f32_e32 v60, v61, v71
	v_rndne_f32_e32 v79, v63
	v_add_f32_e32 v70, v60, v70
	v_fmac_f32_e32 v58, 0x32a5705f, v77
	v_sub_f32_e32 v60, v62, v78
	v_fmac_f32_e32 v59, 0x32a5705f, v75
	v_sub_f32_e32 v61, v63, v79
	v_add_f32_e32 v80, v60, v58
	v_add_f32_e32 v81, v61, v59
	v_cvt_i32_f32_e32 v60, v65
	v_cvt_i32_f32_e32 v61, v67
	v_exp_f32_e32 v62, v64
	v_exp_f32_e32 v63, v66
	;; [unrolled: 1-line block ×4, first 2 shown]
	v_ldexp_f32 v82, v62, v60
	v_ldexp_f32 v83, v63, v61
	v_cvt_i32_f32_e32 v62, v69
	v_cvt_i32_f32_e32 v63, v71
	v_exp_f32_e32 v66, v80
	v_exp_f32_e32 v67, v81
	v_ldexp_f32 v84, v64, v62
	v_ldexp_f32 v85, v65, v63
	v_cvt_i32_f32_e32 v64, v78
	v_cvt_i32_f32_e32 v65, v79
	v_lshl_add_u64 v[58:59], v[16:17], 2, s[4:5]
	v_lshl_add_u64 v[60:61], v[18:19], 2, s[4:5]
	;; [unrolled: 1-line block ×3, first 2 shown]
	v_ldexp_f32 v78, v66, v64
	v_ldexp_f32 v79, v67, v65
	v_lshl_add_u64 v[64:65], v[22:23], 2, s[4:5]
	v_lshl_add_u64 v[58:59], v[58:59], 0, v[2:3]
	;; [unrolled: 1-line block ×3, first 2 shown]
	v_cmp_ngt_f32_e64 s[4:5], s37, v74
	v_cmp_ngt_f32_e64 s[6:7], s37, v77
	;; [unrolled: 1-line block ×4, first 2 shown]
	v_lshl_add_u64 v[68:69], v[62:63], 0, v[2:3]
	v_lshl_add_u64 v[70:71], v[64:65], 0, v[2:3]
	v_cmp_ngt_f32_e32 vcc, s37, v72
	v_cndmask_b32_e64 v80, 0, v83, s[4:5]
	v_cmp_nlt_f32_e64 s[4:5], s38, v74
	global_load_dwordx4 v[58:61], v[58:59], off
	v_cndmask_b32_e64 v83, 0, v85, s[8:9]
	v_cmp_nlt_f32_e64 s[8:9], s38, v76
	v_cndmask_b32_e64 v76, 0, v78, s[6:7]
	v_cmp_nlt_f32_e64 s[6:7], s38, v77
	global_load_dwordx4 v[62:65], v[66:67], off
	v_cmp_ngt_f32_e64 s[10:11], s37, v75
	v_cndmask_b32_e64 v66, 0, v82, s[12:13]
	v_cmp_nlt_f32_e64 s[12:13], s38, v73
	v_cndmask_b32_e32 v81, 0, v84, vcc
	v_cmp_nlt_f32_e32 vcc, s38, v72
	v_cndmask_b32_e64 v67, 0, v79, s[10:11]
	v_cmp_nlt_f32_e64 s[10:11], s38, v75
	v_cndmask_b32_e64 v72, v45, v66, s[12:13]
	v_cndmask_b32_e64 v74, v45, v80, s[4:5]
	;; [unrolled: 1-line block ×4, first 2 shown]
	v_cndmask_b32_e32 v66, v45, v81, vcc
	v_cndmask_b32_e64 v67, v45, v67, s[10:11]
	v_pk_add_f32 v[76:77], v[72:73], v[74:75]
	v_cvt_pk_f16_f32 v78, v72, v73
	v_pk_fma_f32 v[6:7], v[6:7], v[66:67], v[76:77]
	v_cvt_f16_f32_e32 v76, v66
	v_cvt_f16_f32_e32 v77, v67
	global_load_dwordx4 v[66:69], v[68:69], off
	v_cvt_pk_f16_f32 v74, v74, v75
	global_load_dwordx4 v[70:73], v[70:71], off
	ds_write2_b32 v46, v78, v74 offset1:32
	s_waitcnt vmcnt(3)
	ds_write_b128 v41, v[58:61]
	s_waitcnt vmcnt(2)
	ds_write_b128 v42, v[62:65]
	;; [unrolled: 2-line block ×4, first 2 shown]
	s_waitcnt lgkmcnt(0)
	s_barrier
	ds_read2_b64 v[58:61], v28 offset1:32
	ds_read_b128 v[62:65], v40
	ds_read_b128 v[66:69], v40 offset:16
	ds_read_b128 v[70:73], v40 offset:32
	v_mul_u32_u24_e32 v74, 0x10001, v76
	v_mul_u32_u24_e32 v75, 0x10001, v77
	s_waitcnt lgkmcnt(2)
	v_mul_u32_u24_sdwa v76, v62, s39 dst_sel:DWORD dst_unused:UNUSED_PAD src0_sel:WORD_0 src1_sel:DWORD
	v_mul_u32_u24_sdwa v62, v62, s39 dst_sel:DWORD dst_unused:UNUSED_PAD src0_sel:WORD_1 src1_sel:DWORD
	v_pk_mul_f16 v57, v57, v74
	v_pk_mul_f16 v55, v55, v75
	;; [unrolled: 1-line block ×4, first 2 shown]
	v_pk_fma_f16 v56, v56, v74, v77
	v_mul_u32_u24_sdwa v74, v63, s39 dst_sel:DWORD dst_unused:UNUSED_PAD src0_sel:WORD_0 src1_sel:DWORD
	v_pk_fma_f16 v57, v59, v76, v57
	v_mul_u32_u24_sdwa v63, v63, s39 dst_sel:DWORD dst_unused:UNUSED_PAD src0_sel:WORD_1 src1_sel:DWORD
	v_pk_fma_f16 v55, v59, v62, v55
	v_pk_fma_f16 v54, v54, v75, v58
	;; [unrolled: 1-line block ×6, first 2 shown]
	ds_read2_b64 v[54:57], v28 offset0:64 offset1:96
	v_mul_u32_u24_sdwa v76, v64, s39 dst_sel:DWORD dst_unused:UNUSED_PAD src0_sel:WORD_0 src1_sel:DWORD
	v_mul_u32_u24_sdwa v64, v64, s39 dst_sel:DWORD dst_unused:UNUSED_PAD src0_sel:WORD_1 src1_sel:DWORD
	v_mul_u32_u24_sdwa v77, v65, s39 dst_sel:DWORD dst_unused:UNUSED_PAD src0_sel:WORD_0 src1_sel:DWORD
	v_mul_u32_u24_sdwa v65, v65, s39 dst_sel:DWORD dst_unused:UNUSED_PAD src0_sel:WORD_1 src1_sel:DWORD
	s_waitcnt lgkmcnt(0)
	v_pk_fma_f16 v62, v55, v76, v62
	v_pk_fma_f16 v55, v55, v64, v75
	;; [unrolled: 1-line block ×8, first 2 shown]
	ds_read2_b64 v[54:57], v28 offset0:128 offset1:160
	v_mul_u32_u24_sdwa v74, v66, s39 dst_sel:DWORD dst_unused:UNUSED_PAD src0_sel:WORD_0 src1_sel:DWORD
	v_mul_u32_u24_sdwa v66, v66, s39 dst_sel:DWORD dst_unused:UNUSED_PAD src0_sel:WORD_1 src1_sel:DWORD
	v_mul_u32_u24_sdwa v75, v67, s39 dst_sel:DWORD dst_unused:UNUSED_PAD src0_sel:WORD_0 src1_sel:DWORD
	v_mul_u32_u24_sdwa v67, v67, s39 dst_sel:DWORD dst_unused:UNUSED_PAD src0_sel:WORD_1 src1_sel:DWORD
	s_waitcnt lgkmcnt(0)
	v_pk_fma_f16 v62, v55, v74, v62
	v_pk_fma_f16 v55, v55, v66, v63
	;; [unrolled: 1-line block ×8, first 2 shown]
	ds_read2_b64 v[54:57], v28 offset0:192 offset1:224
	ds_read2_b64 v[62:65], v47 offset1:32
	v_mul_u32_u24_sdwa v76, v68, s39 dst_sel:DWORD dst_unused:UNUSED_PAD src0_sel:WORD_0 src1_sel:DWORD
	v_mul_u32_u24_sdwa v68, v68, s39 dst_sel:DWORD dst_unused:UNUSED_PAD src0_sel:WORD_1 src1_sel:DWORD
	v_mul_u32_u24_sdwa v77, v69, s39 dst_sel:DWORD dst_unused:UNUSED_PAD src0_sel:WORD_0 src1_sel:DWORD
	v_mul_u32_u24_sdwa v69, v69, s39 dst_sel:DWORD dst_unused:UNUSED_PAD src0_sel:WORD_1 src1_sel:DWORD
	s_waitcnt lgkmcnt(1)
	v_pk_fma_f16 v66, v55, v76, v66
	v_pk_fma_f16 v55, v55, v68, v74
	;; [unrolled: 1-line block ×8, first 2 shown]
	ds_read2_b64 v[54:57], v47 offset0:64 offset1:96
	v_mul_u32_u24_sdwa v74, v70, s39 dst_sel:DWORD dst_unused:UNUSED_PAD src0_sel:WORD_0 src1_sel:DWORD
	v_mul_u32_u24_sdwa v70, v70, s39 dst_sel:DWORD dst_unused:UNUSED_PAD src0_sel:WORD_1 src1_sel:DWORD
	ds_read_b128 v[58:61], v40 offset:48
	v_mul_u32_u24_sdwa v75, v71, s39 dst_sel:DWORD dst_unused:UNUSED_PAD src0_sel:WORD_0 src1_sel:DWORD
	v_mul_u32_u24_sdwa v71, v71, s39 dst_sel:DWORD dst_unused:UNUSED_PAD src0_sel:WORD_1 src1_sel:DWORD
	s_waitcnt lgkmcnt(2)
	v_pk_fma_f16 v66, v63, v74, v66
	v_pk_fma_f16 v63, v63, v70, v67
	v_pk_fma_f16 v67, v62, v74, v68
	v_pk_fma_f16 v62, v62, v70, v69
	v_pk_fma_f16 v70, v65, v75, v66
	v_pk_fma_f16 v74, v65, v71, v63
	v_pk_fma_f16 v75, v64, v75, v67
	v_pk_fma_f16 v71, v64, v71, v62
	ds_read2_b64 v[62:65], v47 offset0:128 offset1:160
	v_mul_u32_u24_sdwa v76, v72, s39 dst_sel:DWORD dst_unused:UNUSED_PAD src0_sel:WORD_0 src1_sel:DWORD
	v_mul_u32_u24_sdwa v72, v72, s39 dst_sel:DWORD dst_unused:UNUSED_PAD src0_sel:WORD_1 src1_sel:DWORD
	v_mul_u32_u24_sdwa v77, v73, s39 dst_sel:DWORD dst_unused:UNUSED_PAD src0_sel:WORD_0 src1_sel:DWORD
	v_mul_u32_u24_sdwa v73, v73, s39 dst_sel:DWORD dst_unused:UNUSED_PAD src0_sel:WORD_1 src1_sel:DWORD
	s_waitcnt lgkmcnt(2)
	v_pk_fma_f16 v70, v55, v76, v70
	v_pk_fma_f16 v55, v55, v72, v74
	v_pk_fma_f16 v74, v54, v76, v75
	v_pk_fma_f16 v54, v54, v72, v71
	v_pk_fma_f16 v70, v57, v77, v70
	v_pk_fma_f16 v71, v57, v73, v55
	v_pk_fma_f16 v72, v56, v77, v74
	v_pk_fma_f16 v73, v56, v73, v54
	s_waitcnt lgkmcnt(1)
	v_mul_u32_u24_sdwa v74, v58, s39 dst_sel:DWORD dst_unused:UNUSED_PAD src0_sel:WORD_0 src1_sel:DWORD
	v_mul_u32_u24_sdwa v58, v58, s39 dst_sel:DWORD dst_unused:UNUSED_PAD src0_sel:WORD_1 src1_sel:DWORD
	ds_read2_b64 v[66:69], v47 offset0:192 offset1:224
	v_mul_u32_u24_sdwa v75, v59, s39 dst_sel:DWORD dst_unused:UNUSED_PAD src0_sel:WORD_0 src1_sel:DWORD
	v_mul_u32_u24_sdwa v59, v59, s39 dst_sel:DWORD dst_unused:UNUSED_PAD src0_sel:WORD_1 src1_sel:DWORD
	s_waitcnt lgkmcnt(1)
	v_pk_fma_f16 v70, v63, v74, v70
	v_pk_fma_f16 v63, v63, v58, v71
	v_pk_fma_f16 v71, v62, v74, v72
	v_pk_fma_f16 v58, v62, v58, v73
	v_pk_fma_f16 v70, v65, v75, v70
	v_pk_fma_f16 v72, v65, v59, v63
	v_pk_fma_f16 v71, v64, v75, v71
	v_pk_fma_f16 v73, v64, v59, v58
	ds_read_b128 v[62:65], v40 offset:64
	ds_read2_b64 v[54:57], v48 offset1:32
	v_mul_u32_u24_sdwa v74, v60, s39 dst_sel:DWORD dst_unused:UNUSED_PAD src0_sel:WORD_0 src1_sel:DWORD
	v_mul_u32_u24_sdwa v75, v60, s39 dst_sel:DWORD dst_unused:UNUSED_PAD src0_sel:WORD_1 src1_sel:DWORD
	v_mul_u32_u24_sdwa v76, v61, s39 dst_sel:DWORD dst_unused:UNUSED_PAD src0_sel:WORD_0 src1_sel:DWORD
	v_mul_u32_u24_sdwa v77, v61, s39 dst_sel:DWORD dst_unused:UNUSED_PAD src0_sel:WORD_1 src1_sel:DWORD
	s_waitcnt lgkmcnt(2)
	v_pk_fma_f16 v70, v67, v74, v70
	v_pk_fma_f16 v67, v67, v75, v72
	v_pk_fma_f16 v71, v66, v74, v71
	v_pk_fma_f16 v66, v66, v75, v73
	ds_read2_b64 v[58:61], v48 offset0:64 offset1:96
	v_pk_fma_f16 v70, v69, v76, v70
	v_pk_fma_f16 v72, v69, v77, v67
	v_pk_fma_f16 v71, v68, v76, v71
	v_pk_fma_f16 v73, v68, v77, v66
	ds_read_b128 v[66:69], v40 offset:80
	s_waitcnt lgkmcnt(3)
	v_mul_u32_u24_sdwa v74, v62, s39 dst_sel:DWORD dst_unused:UNUSED_PAD src0_sel:WORD_0 src1_sel:DWORD
	v_mul_u32_u24_sdwa v62, v62, s39 dst_sel:DWORD dst_unused:UNUSED_PAD src0_sel:WORD_1 src1_sel:DWORD
	v_mul_u32_u24_sdwa v75, v63, s39 dst_sel:DWORD dst_unused:UNUSED_PAD src0_sel:WORD_0 src1_sel:DWORD
	v_mul_u32_u24_sdwa v63, v63, s39 dst_sel:DWORD dst_unused:UNUSED_PAD src0_sel:WORD_1 src1_sel:DWORD
	s_waitcnt lgkmcnt(2)
	v_pk_fma_f16 v70, v55, v74, v70
	v_pk_fma_f16 v55, v55, v62, v72
	v_pk_fma_f16 v71, v54, v74, v71
	v_pk_fma_f16 v54, v54, v62, v73
	v_pk_fma_f16 v70, v57, v75, v70
	v_pk_fma_f16 v72, v57, v63, v55
	v_pk_fma_f16 v71, v56, v75, v71
	v_pk_fma_f16 v73, v56, v63, v54
	ds_read2_b64 v[54:57], v48 offset0:128 offset1:160
	v_mul_u32_u24_sdwa v74, v64, s39 dst_sel:DWORD dst_unused:UNUSED_PAD src0_sel:WORD_0 src1_sel:DWORD
	v_mul_u32_u24_sdwa v75, v64, s39 dst_sel:DWORD dst_unused:UNUSED_PAD src0_sel:WORD_1 src1_sel:DWORD
	v_mul_u32_u24_sdwa v76, v65, s39 dst_sel:DWORD dst_unused:UNUSED_PAD src0_sel:WORD_0 src1_sel:DWORD
	v_mul_u32_u24_sdwa v77, v65, s39 dst_sel:DWORD dst_unused:UNUSED_PAD src0_sel:WORD_1 src1_sel:DWORD
	s_waitcnt lgkmcnt(2)
	v_pk_fma_f16 v70, v59, v74, v70
	v_pk_fma_f16 v59, v59, v75, v72
	v_pk_fma_f16 v71, v58, v74, v71
	v_pk_fma_f16 v58, v58, v75, v73
	v_pk_fma_f16 v70, v61, v76, v70
	v_pk_fma_f16 v72, v61, v77, v59
	v_pk_fma_f16 v71, v60, v76, v71
	v_pk_fma_f16 v73, v60, v77, v58
	s_waitcnt lgkmcnt(1)
	v_mul_u32_u24_sdwa v74, v66, s39 dst_sel:DWORD dst_unused:UNUSED_PAD src0_sel:WORD_0 src1_sel:DWORD
	v_mul_u32_u24_sdwa v66, v66, s39 dst_sel:DWORD dst_unused:UNUSED_PAD src0_sel:WORD_1 src1_sel:DWORD
	ds_read2_b64 v[62:65], v48 offset0:192 offset1:224
	v_mul_u32_u24_sdwa v75, v67, s39 dst_sel:DWORD dst_unused:UNUSED_PAD src0_sel:WORD_0 src1_sel:DWORD
	v_mul_u32_u24_sdwa v67, v67, s39 dst_sel:DWORD dst_unused:UNUSED_PAD src0_sel:WORD_1 src1_sel:DWORD
	s_waitcnt lgkmcnt(1)
	v_pk_fma_f16 v70, v55, v74, v70
	v_pk_fma_f16 v55, v55, v66, v72
	v_pk_fma_f16 v71, v54, v74, v71
	v_pk_fma_f16 v54, v54, v66, v73
	v_pk_fma_f16 v70, v57, v75, v70
	v_pk_fma_f16 v72, v57, v67, v55
	v_pk_fma_f16 v71, v56, v75, v71
	v_pk_fma_f16 v73, v56, v67, v54
	ds_read_b128 v[54:57], v40 offset:96
	ds_read2_b64 v[58:61], v49 offset1:32
	v_mul_u32_u24_sdwa v74, v68, s39 dst_sel:DWORD dst_unused:UNUSED_PAD src0_sel:WORD_0 src1_sel:DWORD
	v_mul_u32_u24_sdwa v75, v68, s39 dst_sel:DWORD dst_unused:UNUSED_PAD src0_sel:WORD_1 src1_sel:DWORD
	v_mul_u32_u24_sdwa v76, v69, s39 dst_sel:DWORD dst_unused:UNUSED_PAD src0_sel:WORD_0 src1_sel:DWORD
	v_mul_u32_u24_sdwa v77, v69, s39 dst_sel:DWORD dst_unused:UNUSED_PAD src0_sel:WORD_1 src1_sel:DWORD
	s_waitcnt lgkmcnt(2)
	v_pk_fma_f16 v70, v63, v74, v70
	v_pk_fma_f16 v63, v63, v75, v72
	v_pk_fma_f16 v71, v62, v74, v71
	v_pk_fma_f16 v62, v62, v75, v73
	ds_read2_b64 v[66:69], v49 offset0:64 offset1:96
	v_pk_fma_f16 v70, v65, v76, v70
	v_pk_fma_f16 v72, v65, v77, v63
	v_pk_fma_f16 v71, v64, v76, v71
	v_pk_fma_f16 v73, v64, v77, v62
	ds_read_b128 v[62:65], v40 offset:112
	s_waitcnt lgkmcnt(3)
	v_mul_u32_u24_sdwa v74, v54, s39 dst_sel:DWORD dst_unused:UNUSED_PAD src0_sel:WORD_0 src1_sel:DWORD
	v_mul_u32_u24_sdwa v54, v54, s39 dst_sel:DWORD dst_unused:UNUSED_PAD src0_sel:WORD_1 src1_sel:DWORD
	;; [unrolled: 60-line block ×6, first 2 shown]
	v_mul_u32_u24_sdwa v75, v55, s39 dst_sel:DWORD dst_unused:UNUSED_PAD src0_sel:WORD_0 src1_sel:DWORD
	v_mul_u32_u24_sdwa v55, v55, s39 dst_sel:DWORD dst_unused:UNUSED_PAD src0_sel:WORD_1 src1_sel:DWORD
	s_waitcnt lgkmcnt(2)
	v_pk_fma_f16 v70, v59, v74, v70
	v_pk_fma_f16 v59, v59, v54, v72
	;; [unrolled: 1-line block ×8, first 2 shown]
	ds_read2_b64 v[58:61], v53 offset0:128 offset1:160
	ds_read2_b64 v[70:73], v53 offset0:192 offset1:224
	s_waitcnt lgkmcnt(0)
	s_barrier
	s_load_dword s4, s[14:15], 0x4
	v_mul_u32_u24_sdwa v55, v56, s39 dst_sel:DWORD dst_unused:UNUSED_PAD src0_sel:WORD_0 src1_sel:DWORD
	v_mul_u32_u24_sdwa v56, v56, s39 dst_sel:DWORD dst_unused:UNUSED_PAD src0_sel:WORD_1 src1_sel:DWORD
	v_mul_u32_u24_sdwa v77, v57, s39 dst_sel:DWORD dst_unused:UNUSED_PAD src0_sel:WORD_0 src1_sel:DWORD
	v_mul_u32_u24_sdwa v57, v57, s39 dst_sel:DWORD dst_unused:UNUSED_PAD src0_sel:WORD_1 src1_sel:DWORD
	v_pk_fma_f16 v74, v67, v55, v74
	v_pk_fma_f16 v55, v66, v55, v75
	v_pk_fma_f16 v67, v67, v56, v76
	v_pk_fma_f16 v54, v66, v56, v54
	v_mul_u32_u24_sdwa v75, v62, s39 dst_sel:DWORD dst_unused:UNUSED_PAD src0_sel:WORD_0 src1_sel:DWORD
	v_mul_u32_u24_sdwa v56, v62, s39 dst_sel:DWORD dst_unused:UNUSED_PAD src0_sel:WORD_1 src1_sel:DWORD
	v_pk_fma_f16 v62, v69, v77, v74
	v_pk_fma_f16 v55, v68, v77, v55
	v_pk_fma_f16 v67, v69, v57, v67
	v_pk_fma_f16 v54, v68, v57, v54
	;; [unrolled: 6-line block ×3, first 2 shown]
	v_mul_u32_u24_sdwa v63, v64, s39 dst_sel:DWORD dst_unused:UNUSED_PAD src0_sel:WORD_0 src1_sel:DWORD
	v_mul_u32_u24_sdwa v64, v64, s39 dst_sel:DWORD dst_unused:UNUSED_PAD src0_sel:WORD_1 src1_sel:DWORD
	s_waitcnt lgkmcnt(0)
	s_lshl_b32 s4, s4, 6
	v_pk_fma_f16 v56, v61, v66, v62
	v_pk_fma_f16 v58, v61, v57, v59
	;; [unrolled: 1-line block ×4, first 2 shown]
	v_mul_u32_u24_sdwa v68, v65, s39 dst_sel:DWORD dst_unused:UNUSED_PAD src0_sel:WORD_0 src1_sel:DWORD
	v_mul_u32_u24_sdwa v65, v65, s39 dst_sel:DWORD dst_unused:UNUSED_PAD src0_sel:WORD_1 src1_sel:DWORD
	s_add_i32 s2, s4, s2
	v_pk_fma_f16 v56, v71, v63, v56
	v_pk_fma_f16 v58, v71, v64, v58
	;; [unrolled: 1-line block ×4, first 2 shown]
	s_cmp_ge_i32 s2, s30
	v_pk_fma_f16 v57, v73, v68, v56
	v_pk_fma_f16 v55, v73, v65, v58
	;; [unrolled: 1-line block ×4, first 2 shown]
	s_cbranch_scc0 .LBB40_9
.LBB40_10:
	v_cmp_lt_i32_e32 vcc, v34, v29
	s_cmp_lg_u64 s[16:17], 0
	s_cselect_b64 s[4:5], -1, 0
	v_cndmask_b32_e32 v2, v15, v34, vcc
	v_lshlrev_b32_e32 v3, 2, v2
	ds_bpermute_b32 v2, v3, v6
	ds_bpermute_b32 v3, v3, v7
	v_cmp_lt_i32_e32 vcc, v33, v29
	s_cmp_eq_u32 s3, 0
	s_cselect_b64 s[6:7], -1, 0
	v_cndmask_b32_e32 v4, v15, v33, vcc
	v_lshlrev_b32_e32 v5, 2, v4
	s_waitcnt lgkmcnt(0)
	v_pk_add_f32 v[2:3], v[6:7], v[2:3]
	ds_bpermute_b32 v4, v5, v2
	ds_bpermute_b32 v5, v5, v3
	v_cmp_lt_i32_e32 vcc, v32, v29
	s_and_b64 s[4:5], s[6:7], s[4:5]
	s_waitcnt lgkmcnt(0)
	v_pk_add_f32 v[2:3], v[2:3], v[4:5]
	v_cndmask_b32_e32 v6, v15, v32, vcc
	v_lshlrev_b32_e32 v6, 2, v6
	ds_bpermute_b32 v4, v6, v2
	ds_bpermute_b32 v5, v6, v3
	v_cmp_lt_i32_e32 vcc, v31, v29
	s_waitcnt lgkmcnt(0)
	v_pk_add_f32 v[2:3], v[2:3], v[4:5]
	v_cndmask_b32_e32 v6, v15, v31, vcc
	v_lshlrev_b32_e32 v6, 2, v6
	ds_bpermute_b32 v4, v6, v2
	ds_bpermute_b32 v5, v6, v3
	v_cmp_lt_i32_e32 vcc, v30, v29
	s_waitcnt lgkmcnt(0)
	v_pk_add_f32 v[2:3], v[2:3], v[4:5]
	v_cndmask_b32_e32 v6, v15, v30, vcc
	v_lshlrev_b32_e32 v6, 2, v6
	ds_bpermute_b32 v4, v6, v2
	ds_bpermute_b32 v5, v6, v3
	s_and_b64 vcc, exec, s[4:5]
	s_waitcnt lgkmcnt(0)
	v_pk_add_f32 v[2:3], v[2:3], v[4:5]
	s_cbranch_vccz .LBB40_12
; %bb.11:
	s_ashr_i32 s29, s28, 31
	s_lshl_b64 s[4:5], s[28:29], 2
	s_add_u32 s4, s16, s4
	s_addc_u32 s5, s17, s5
	v_mov_b32_e32 v4, 0
	global_load_dwordx2 v[4:5], v4, s[4:5]
	v_max_f32_e32 v6, v24, v24
	v_max_f32_e32 v7, v25, v25
	s_mov_b32 s2, 0x3fb8aa3b
	s_mov_b32 s4, 0xc2ce8ed0
	;; [unrolled: 1-line block ×3, first 2 shown]
	v_mov_b32_e32 v9, 0x7f800000
	s_waitcnt vmcnt(0)
	v_max_f32_e32 v8, v4, v4
	v_max_f32_e32 v6, v6, v8
	v_max_f32_e32 v10, v5, v5
	v_sub_f32_e32 v8, v24, v6
	v_max_f32_e32 v7, v7, v10
	v_sub_f32_e32 v10, v4, v6
	v_mul_f32_e32 v4, 0x3fb8aa3b, v8
	v_sub_f32_e32 v11, v25, v7
	v_sub_f32_e32 v12, v5, v7
	v_mul_f32_e32 v5, 0x3fb8aa3b, v10
	v_fma_f32 v15, v8, s2, -v4
	v_rndne_f32_e32 v16, v4
	v_mul_f32_e32 v13, 0x3fb8aa3b, v11
	v_fma_f32 v17, v10, s2, -v5
	v_rndne_f32_e32 v18, v5
	v_fmac_f32_e32 v15, 0x32a5705f, v8
	v_sub_f32_e32 v4, v4, v16
	v_mul_f32_e32 v14, 0x3fb8aa3b, v12
	v_fma_f32 v19, v11, s2, -v13
	v_rndne_f32_e32 v20, v13
	v_fmac_f32_e32 v17, 0x32a5705f, v10
	v_sub_f32_e32 v5, v5, v18
	v_add_f32_e32 v4, v4, v15
	v_fma_f32 v21, v12, s2, -v14
	v_rndne_f32_e32 v22, v14
	v_cvt_i32_f32_e32 v16, v16
	v_fmac_f32_e32 v19, 0x32a5705f, v11
	v_sub_f32_e32 v13, v13, v20
	v_add_f32_e32 v5, v5, v17
	v_exp_f32_e32 v4, v4
	v_cvt_i32_f32_e32 v18, v18
	v_fmac_f32_e32 v21, 0x32a5705f, v12
	v_sub_f32_e32 v14, v14, v22
	v_add_f32_e32 v13, v13, v19
	v_exp_f32_e32 v5, v5
	v_cvt_i32_f32_e32 v20, v20
	v_add_f32_e32 v14, v14, v21
	v_exp_f32_e32 v13, v13
	v_cvt_i32_f32_e32 v22, v22
	v_exp_f32_e32 v14, v14
	v_ldexp_f32 v4, v4, v16
	v_cmp_ngt_f32_e32 vcc, s4, v8
	v_ldexp_f32 v5, v5, v18
	v_ldexp_f32 v13, v13, v20
	v_cndmask_b32_e32 v4, 0, v4, vcc
	v_cmp_ngt_f32_e32 vcc, s4, v10
	v_ldexp_f32 v14, v14, v22
	v_mov_b64_e32 v[24:25], v[6:7]
	v_cndmask_b32_e32 v5, 0, v5, vcc
	v_cmp_ngt_f32_e32 vcc, s4, v11
	s_nop 1
	v_cndmask_b32_e32 v13, 0, v13, vcc
	v_cmp_ngt_f32_e32 vcc, s4, v12
	s_nop 1
	v_cndmask_b32_e32 v14, 0, v14, vcc
	v_cmp_nlt_f32_e32 vcc, s5, v8
	s_nop 1
	v_cndmask_b32_e32 v4, v9, v4, vcc
	v_cmp_nlt_f32_e32 vcc, s5, v10
	v_cvt_f16_f32_e32 v10, v4
	s_nop 0
	v_cndmask_b32_e32 v8, v9, v5, vcc
	v_cmp_nlt_f32_e32 vcc, s5, v11
	s_nop 1
	v_cndmask_b32_e32 v5, v9, v13, vcc
	v_cvt_f16_f32_e32 v11, v5
	v_cmp_nlt_f32_e32 vcc, s5, v12
	s_nop 1
	v_cndmask_b32_e32 v9, v9, v14, vcc
	v_pk_fma_f32 v[2:3], v[2:3], v[4:5], v[8:9]
	v_mul_u32_u24_e32 v4, 0x10001, v10
	v_mul_u32_u24_e32 v5, 0x10001, v11
	v_pk_mul_f16 v56, v56, v4
	v_pk_mul_f16 v57, v57, v4
	;; [unrolled: 1-line block ×4, first 2 shown]
.LBB40_12:
	v_cmp_gt_i32_e32 vcc, s26, v1
	s_and_saveexec_b64 s[4:5], vcc
	s_cbranch_execz .LBB40_21
; %bb.13:
	s_load_dword s6, s[0:1], 0xd4
	v_mov_b32_e32 v4, 1.0
	s_waitcnt lgkmcnt(0)
	s_cmp_lg_u32 s6, 1
	s_cselect_b64 s[0:1], -1, 0
	s_cmp_eq_u32 s6, 1
	s_cselect_b64 s[4:5], -1, 0
	s_and_b64 vcc, exec, s[0:1]
	s_cbranch_vccnz .LBB40_15
; %bb.14:
	v_div_scale_f32 v4, s[8:9], v2, v2, 1.0
	v_rcp_f32_e32 v5, v4
	v_div_scale_f32 v6, vcc, 1.0, v2, 1.0
	v_fma_f32 v7, -v4, v5, 1.0
	v_fmac_f32_e32 v5, v7, v5
	v_mul_f32_e32 v7, v6, v5
	v_fma_f32 v8, -v4, v7, v6
	v_fmac_f32_e32 v7, v8, v5
	v_fma_f32 v4, -v4, v7, v6
	v_div_fmas_f32 v4, v4, v5, v7
	v_div_fixup_f32 v4, v4, v2, 1.0
.LBB40_15:
	s_mul_i32 s33, s33, s26
	v_add_u32_e32 v1, s33, v1
	v_mul_lo_u32 v1, v1, s27
	v_add_u32_e32 v1, s28, v1
	v_cvt_f32_f16_sdwa v9, v56 dst_sel:DWORD dst_unused:UNUSED_PAD src0_sel:WORD_1
	v_cvt_f32_f16_e32 v8, v56
	v_cvt_f32_f16_sdwa v11, v57 dst_sel:DWORD dst_unused:UNUSED_PAD src0_sel:WORD_1
	v_cvt_f32_f16_e32 v10, v57
	v_cmp_eq_u32_e32 vcc, 0, v0
	v_mul_lo_u32 v0, s6, v1
	v_add_u32_e32 v0, s3, v0
	v_lshl_add_u32 v6, v0, 7, v26
	v_mov_b32_e32 v7, 0
	s_and_b64 s[0:1], vcc, s[0:1]
	v_lshl_add_u64 v[12:13], v[6:7], 2, s[20:21]
	v_pk_mul_f32 v[6:7], v[4:5], v[8:9] op_sel_hi:[0,1]
	v_pk_mul_f32 v[8:9], v[4:5], v[10:11] op_sel_hi:[0,1]
	global_store_dwordx4 v[12:13], v[6:9], off
	s_and_saveexec_b64 s[2:3], s[0:1]
	s_cbranch_execz .LBB40_17
; %bb.16:
	v_ashrrev_i32_e32 v1, 31, v0
	v_lshl_add_u64 v[4:5], v[0:1], 3, s[22:23]
	v_mov_b32_e32 v6, v24
	v_mov_b32_e32 v7, v2
	global_store_dwordx2 v[4:5], v[6:7], off
.LBB40_17:
	s_or_b64 exec, exec, s[2:3]
	s_andn2_b64 vcc, exec, s[4:5]
	v_mov_b32_e32 v2, 1.0
	s_cbranch_vccnz .LBB40_19
; %bb.18:
	v_div_scale_f32 v1, s[2:3], v3, v3, 1.0
	v_rcp_f32_e32 v2, v1
	v_div_scale_f32 v4, vcc, 1.0, v3, 1.0
	v_fma_f32 v5, -v1, v2, 1.0
	v_fmac_f32_e32 v2, v5, v2
	v_mul_f32_e32 v5, v4, v2
	v_fma_f32 v6, -v1, v5, v4
	v_fmac_f32_e32 v5, v6, v2
	v_fma_f32 v1, -v1, v5, v4
	v_div_fmas_f32 v1, v1, v2, v5
	v_div_fixup_f32 v2, v1, v3, 1.0
.LBB40_19:
	v_cvt_f32_f16_sdwa v7, v54 dst_sel:DWORD dst_unused:UNUSED_PAD src0_sel:WORD_1
	v_cvt_f32_f16_e32 v6, v54
	v_cvt_f32_f16_sdwa v9, v55 dst_sel:DWORD dst_unused:UNUSED_PAD src0_sel:WORD_1
	v_cvt_f32_f16_e32 v8, v55
	v_add_u32_e32 v0, s6, v0
	v_lshl_add_u32 v4, v0, 7, v26
	v_mov_b32_e32 v5, 0
	v_lshl_add_u64 v[10:11], v[4:5], 2, s[20:21]
	v_pk_mul_f32 v[4:5], v[2:3], v[6:7] op_sel_hi:[0,1]
	v_pk_mul_f32 v[6:7], v[2:3], v[8:9] op_sel_hi:[0,1]
	global_store_dwordx4 v[10:11], v[4:7], off
	s_and_b64 exec, exec, s[0:1]
	s_cbranch_execz .LBB40_21
; %bb.20:
	v_ashrrev_i32_e32 v1, 31, v0
	v_lshl_add_u64 v[0:1], v[0:1], 3, s[22:23]
	v_mov_b32_e32 v2, v25
	global_store_dwordx2 v[0:1], v[2:3], off
.LBB40_21:
	s_endpgm
	.section	.rodata,"a",@progbits
	.p2align	6, 0x0
	.amdhsa_kernel _ZL15flash_attn_tileILi128ELi128ELi8ELi2ELb0EEvPKcS1_S1_S1_S1_PKiPfP15HIP_vector_typeIfLj2EEffffjfiS5_IjLj3EEiiiiiiiiiiiliiliiiiil
		.amdhsa_group_segment_fixed_size 23552
		.amdhsa_private_segment_fixed_size 0
		.amdhsa_kernarg_size 464
		.amdhsa_user_sgpr_count 2
		.amdhsa_user_sgpr_dispatch_ptr 0
		.amdhsa_user_sgpr_queue_ptr 0
		.amdhsa_user_sgpr_kernarg_segment_ptr 1
		.amdhsa_user_sgpr_dispatch_id 0
		.amdhsa_user_sgpr_kernarg_preload_length 0
		.amdhsa_user_sgpr_kernarg_preload_offset 0
		.amdhsa_user_sgpr_private_segment_size 0
		.amdhsa_uses_dynamic_stack 0
		.amdhsa_enable_private_segment 0
		.amdhsa_system_sgpr_workgroup_id_x 1
		.amdhsa_system_sgpr_workgroup_id_y 1
		.amdhsa_system_sgpr_workgroup_id_z 1
		.amdhsa_system_sgpr_workgroup_info 0
		.amdhsa_system_vgpr_workitem_id 1
		.amdhsa_next_free_vgpr 86
		.amdhsa_next_free_sgpr 91
		.amdhsa_accum_offset 88
		.amdhsa_reserve_vcc 1
		.amdhsa_float_round_mode_32 0
		.amdhsa_float_round_mode_16_64 0
		.amdhsa_float_denorm_mode_32 3
		.amdhsa_float_denorm_mode_16_64 3
		.amdhsa_dx10_clamp 1
		.amdhsa_ieee_mode 1
		.amdhsa_fp16_overflow 0
		.amdhsa_tg_split 0
		.amdhsa_exception_fp_ieee_invalid_op 0
		.amdhsa_exception_fp_denorm_src 0
		.amdhsa_exception_fp_ieee_div_zero 0
		.amdhsa_exception_fp_ieee_overflow 0
		.amdhsa_exception_fp_ieee_underflow 0
		.amdhsa_exception_fp_ieee_inexact 0
		.amdhsa_exception_int_div_zero 0
	.end_amdhsa_kernel
	.section	.text._ZL15flash_attn_tileILi128ELi128ELi8ELi2ELb0EEvPKcS1_S1_S1_S1_PKiPfP15HIP_vector_typeIfLj2EEffffjfiS5_IjLj3EEiiiiiiiiiiiliiliiiiil,"axG",@progbits,_ZL15flash_attn_tileILi128ELi128ELi8ELi2ELb0EEvPKcS1_S1_S1_S1_PKiPfP15HIP_vector_typeIfLj2EEffffjfiS5_IjLj3EEiiiiiiiiiiiliiliiiiil,comdat
.Lfunc_end40:
	.size	_ZL15flash_attn_tileILi128ELi128ELi8ELi2ELb0EEvPKcS1_S1_S1_S1_PKiPfP15HIP_vector_typeIfLj2EEffffjfiS5_IjLj3EEiiiiiiiiiiiliiliiiiil, .Lfunc_end40-_ZL15flash_attn_tileILi128ELi128ELi8ELi2ELb0EEvPKcS1_S1_S1_S1_PKiPfP15HIP_vector_typeIfLj2EEffffjfiS5_IjLj3EEiiiiiiiiiiiliiliiiiil
                                        ; -- End function
	.set _ZL15flash_attn_tileILi128ELi128ELi8ELi2ELb0EEvPKcS1_S1_S1_S1_PKiPfP15HIP_vector_typeIfLj2EEffffjfiS5_IjLj3EEiiiiiiiiiiiliiliiiiil.num_vgpr, 86
	.set _ZL15flash_attn_tileILi128ELi128ELi8ELi2ELb0EEvPKcS1_S1_S1_S1_PKiPfP15HIP_vector_typeIfLj2EEffffjfiS5_IjLj3EEiiiiiiiiiiiliiliiiiil.num_agpr, 0
	.set _ZL15flash_attn_tileILi128ELi128ELi8ELi2ELb0EEvPKcS1_S1_S1_S1_PKiPfP15HIP_vector_typeIfLj2EEffffjfiS5_IjLj3EEiiiiiiiiiiiliiliiiiil.numbered_sgpr, 40
	.set _ZL15flash_attn_tileILi128ELi128ELi8ELi2ELb0EEvPKcS1_S1_S1_S1_PKiPfP15HIP_vector_typeIfLj2EEffffjfiS5_IjLj3EEiiiiiiiiiiiliiliiiiil.num_named_barrier, 0
	.set _ZL15flash_attn_tileILi128ELi128ELi8ELi2ELb0EEvPKcS1_S1_S1_S1_PKiPfP15HIP_vector_typeIfLj2EEffffjfiS5_IjLj3EEiiiiiiiiiiiliiliiiiil.private_seg_size, 0
	.set _ZL15flash_attn_tileILi128ELi128ELi8ELi2ELb0EEvPKcS1_S1_S1_S1_PKiPfP15HIP_vector_typeIfLj2EEffffjfiS5_IjLj3EEiiiiiiiiiiiliiliiiiil.uses_vcc, 1
	.set _ZL15flash_attn_tileILi128ELi128ELi8ELi2ELb0EEvPKcS1_S1_S1_S1_PKiPfP15HIP_vector_typeIfLj2EEffffjfiS5_IjLj3EEiiiiiiiiiiiliiliiiiil.uses_flat_scratch, 0
	.set _ZL15flash_attn_tileILi128ELi128ELi8ELi2ELb0EEvPKcS1_S1_S1_S1_PKiPfP15HIP_vector_typeIfLj2EEffffjfiS5_IjLj3EEiiiiiiiiiiiliiliiiiil.has_dyn_sized_stack, 0
	.set _ZL15flash_attn_tileILi128ELi128ELi8ELi2ELb0EEvPKcS1_S1_S1_S1_PKiPfP15HIP_vector_typeIfLj2EEffffjfiS5_IjLj3EEiiiiiiiiiiiliiliiiiil.has_recursion, 0
	.set _ZL15flash_attn_tileILi128ELi128ELi8ELi2ELb0EEvPKcS1_S1_S1_S1_PKiPfP15HIP_vector_typeIfLj2EEffffjfiS5_IjLj3EEiiiiiiiiiiiliiliiiiil.has_indirect_call, 0
	.section	.AMDGPU.csdata,"",@progbits
; Kernel info:
; codeLenInByte = 13292
; TotalNumSgprs: 46
; NumVgprs: 86
; NumAgprs: 0
; TotalNumVgprs: 86
; ScratchSize: 0
; MemoryBound: 0
; FloatMode: 240
; IeeeMode: 1
; LDSByteSize: 23552 bytes/workgroup (compile time only)
; SGPRBlocks: 12
; VGPRBlocks: 10
; NumSGPRsForWavesPerEU: 97
; NumVGPRsForWavesPerEU: 86
; AccumOffset: 88
; Occupancy: 5
; WaveLimiterHint : 1
; COMPUTE_PGM_RSRC2:SCRATCH_EN: 0
; COMPUTE_PGM_RSRC2:USER_SGPR: 2
; COMPUTE_PGM_RSRC2:TRAP_HANDLER: 0
; COMPUTE_PGM_RSRC2:TGID_X_EN: 1
; COMPUTE_PGM_RSRC2:TGID_Y_EN: 1
; COMPUTE_PGM_RSRC2:TGID_Z_EN: 1
; COMPUTE_PGM_RSRC2:TIDIG_COMP_CNT: 1
; COMPUTE_PGM_RSRC3_GFX90A:ACCUM_OFFSET: 21
; COMPUTE_PGM_RSRC3_GFX90A:TG_SPLIT: 0
	.section	.text._ZL33flash_attn_stream_k_fixup_uniformILi128ELi8ELi2EEvPfPK15HIP_vector_typeIfLj2EEiiiiiiS1_IjLj3EES5_S5_,"axG",@progbits,_ZL33flash_attn_stream_k_fixup_uniformILi128ELi8ELi2EEvPfPK15HIP_vector_typeIfLj2EEiiiiiiS1_IjLj3EES5_S5_,comdat
	.globl	_ZL33flash_attn_stream_k_fixup_uniformILi128ELi8ELi2EEvPfPK15HIP_vector_typeIfLj2EEiiiiiiS1_IjLj3EES5_S5_ ; -- Begin function _ZL33flash_attn_stream_k_fixup_uniformILi128ELi8ELi2EEvPfPK15HIP_vector_typeIfLj2EEiiiiiiS1_IjLj3EES5_S5_
	.p2align	8
	.type	_ZL33flash_attn_stream_k_fixup_uniformILi128ELi8ELi2EEvPfPK15HIP_vector_typeIfLj2EEiiiiiiS1_IjLj3EES5_S5_,@function
_ZL33flash_attn_stream_k_fixup_uniformILi128ELi8ELi2EEvPfPK15HIP_vector_typeIfLj2EEiiiiiiS1_IjLj3EES5_S5_: ; @_ZL33flash_attn_stream_k_fixup_uniformILi128ELi8ELi2EEvPfPK15HIP_vector_typeIfLj2EEiiiiiiS1_IjLj3EES5_S5_
; %bb.0:
	s_load_dwordx8 s[8:15], s[0:1], 0x1c
	s_load_dwordx2 s[6:7], s[0:1], 0x10
	s_load_dwordx4 s[20:23], s[0:1], 0x3c
	s_waitcnt lgkmcnt(0)
	s_mul_hi_u32 s5, s11, s2
	s_add_i32 s5, s2, s5
	s_lshr_b32 s5, s5, s12
	s_mul_i32 s11, s5, s13
	s_sub_i32 s11, s2, s11
	s_mul_hi_u32 s12, s11, s14
	s_add_i32 s12, s11, s12
	s_lshr_b32 s16, s12, s15
	s_mul_i32 s12, s16, s20
	s_sub_i32 s11, s11, s12
	;; [unrolled: 5-line block ×3, first 2 shown]
	s_lshl_b32 s11, s12, 1
	s_lshl_b32 s12, s17, 3
	s_add_i32 s12, s12, s3
	s_cmp_lt_i32 s12, s6
	s_cselect_b64 s[12:13], -1, 0
	s_add_i32 s14, s11, s4
	s_cmp_lt_i32 s14, s9
	s_cselect_b64 s[14:15], -1, 0
	s_and_b64 s[12:13], s[12:13], s[14:15]
	s_andn2_b64 vcc, exec, s[12:13]
	s_cbranch_vccnz .LBB41_6
; %bb.1:
	s_load_dwordx4 s[12:15], s[0:1], 0x0
	s_mul_i32 s0, s5, s6
	s_add_i32 s0, s0, s3
	s_mul_i32 s0, s0, s7
	s_mul_i32 s16, s16, s9
	s_add_i32 s0, s0, s4
	s_add_i32 s0, s0, s16
	s_mul_i32 s1, s7, s17
	s_add_i32 s0, s0, s11
	s_lshl_b32 s1, s1, 10
	s_lshl_b32 s0, s0, 7
	s_add_i32 s1, s1, s0
	v_or_b32_e32 v4, s1, v0
	s_waitcnt lgkmcnt(0)
	v_mov_b32_e32 v2, s12
	v_mov_b32_e32 v3, s13
	v_ashrrev_i32_e32 v5, 31, v4
	v_lshl_add_u64 v[2:3], v[4:5], 2, v[2:3]
	global_load_dword v5, v[2:3], off
	s_mul_i32 s5, s10, s2
	s_lshl_b32 s11, s3, 1
	s_add_i32 s9, s5, s10
	s_add_i32 s0, s11, s4
	s_lshl_b32 s1, s9, 4
	s_add_i32 s0, s0, s1
	s_add_i32 s0, s0, -16
	s_ashr_i32 s1, s0, 31
	s_lshl_b64 s[0:1], s[0:1], 3
	s_add_u32 s0, s14, s0
	s_addc_u32 s1, s15, s1
	s_load_dword s12, s[0:1], 0x4
	s_add_i32 s6, s9, -2
	s_cmp_lt_i32 s6, s5
	s_cbranch_scc1 .LBB41_4
; %bb.2:
	s_lshl_b32 s6, s8, 6
	s_ashr_i32 s7, s6, 31
	s_lshl_b64 s[6:7], s[6:7], 2
	s_add_u32 s6, s14, s6
	s_addc_u32 s7, s15, s7
	s_add_i32 s2, s2, 1
	s_load_dword s0, s[0:1], 0x0
	s_mul_i32 s1, s10, s2
	s_lshl_b32 s3, s3, 8
	s_lshl_b32 s10, s4, 7
	s_lshl_b32 s2, s1, 11
	s_add_i32 s3, s10, s3
	s_lshl_b32 s1, s1, 4
	s_add_i32 s3, s3, s2
	s_add_i32 s1, s4, s1
	s_lshl_b32 s2, s8, 4
	s_add_i32 s1, s1, s2
	v_or_b32_e32 v0, s3, v0
	s_add_i32 s1, s1, s11
	s_add_i32 s9, s9, -1
	v_add_u32_e32 v0, 0xfffff000, v0
	s_sub_i32 s2, s1, 32
	s_waitcnt lgkmcnt(0)
	v_mov_b32_e32 v7, s0
	v_mov_b32_e32 v4, s12
	s_mov_b32 s4, 0x3fb8aa3b
	s_mov_b32 s8, 0xc2ce8ed0
	;; [unrolled: 1-line block ×3, first 2 shown]
	v_mov_b32_e32 v6, 0x7f800000
	s_mov_b32 s11, 0xc1a00000
.LBB41_3:                               ; =>This Inner Loop Header: Depth=1
	v_ashrrev_i32_e32 v1, 31, v0
	v_lshl_add_u64 v[8:9], v[0:1], 2, s[6:7]
	global_load_dword v9, v[8:9], off
	s_ashr_i32 s3, s2, 31
	s_lshl_b64 s[0:1], s[2:3], 3
	s_add_u32 s0, s14, s0
	s_addc_u32 s1, s15, s1
	s_load_dwordx2 s[0:1], s[0:1], 0x0
	v_max_f32_e32 v1, v7, v7
	s_add_i32 s9, s9, -1
	s_add_i32 s2, s2, -16
	v_add_u32_e32 v0, 0xfffff800, v0
	s_waitcnt lgkmcnt(0)
	v_max_f32_e64 v10, s0, s0
	v_max_f32_e32 v1, v1, v10
	v_sub_f32_e32 v11, s0, v1
	v_sub_f32_e32 v10, v7, v1
	v_mul_f32_e32 v12, 0x3fb8aa3b, v11
	v_mov_b32_e32 v7, v1
	v_mul_f32_e32 v1, 0x3fb8aa3b, v10
	v_fma_f32 v15, v11, s4, -v12
	v_rndne_f32_e32 v16, v12
	v_fma_f32 v13, v10, s4, -v1
	v_rndne_f32_e32 v14, v1
	v_fmac_f32_e32 v15, 0x32a5705f, v11
	v_sub_f32_e32 v12, v12, v16
	v_fmac_f32_e32 v13, 0x32a5705f, v10
	v_sub_f32_e32 v1, v1, v14
	v_add_f32_e32 v12, v12, v15
	v_cvt_i32_f32_e32 v16, v16
	v_add_f32_e32 v1, v1, v13
	v_exp_f32_e32 v12, v12
	v_cvt_i32_f32_e32 v14, v14
	v_exp_f32_e32 v1, v1
	v_cmp_ngt_f32_e32 vcc, s8, v11
	v_ldexp_f32 v12, v12, v16
	v_mov_b32_e32 v8, s1
	v_ldexp_f32 v1, v1, v14
	v_cmp_ngt_f32_e64 s[0:1], s8, v10
	v_cndmask_b32_e32 v12, 0, v12, vcc
	v_cmp_nlt_f32_e32 vcc, s10, v11
	v_cndmask_b32_e64 v1, 0, v1, s[0:1]
	v_cmp_nlt_f32_e64 s[0:1], s10, v10
	v_cndmask_b32_e32 v12, v6, v12, vcc
	v_cmp_le_f32_e32 vcc, s11, v11
	v_cndmask_b32_e64 v1, v6, v1, s[0:1]
	v_cmp_le_f32_e64 s[0:1], s11, v10
	v_cndmask_b32_e32 v12, 0, v12, vcc
	s_cmp_le_i32 s9, s5
	v_cndmask_b32_e64 v10, 0, v1, s[0:1]
	s_waitcnt vmcnt(0)
	v_pk_mul_f32 v[8:9], v[8:9], v[12:13] op_sel_hi:[1,0]
	s_nop 0
	v_pk_fma_f32 v[4:5], v[4:5], v[10:11], v[8:9] op_sel_hi:[1,0,1]
	s_cbranch_scc0 .LBB41_3
	s_branch .LBB41_5
.LBB41_4:
	s_waitcnt lgkmcnt(0)
	v_mov_b32_e32 v4, s12
.LBB41_5:
	s_waitcnt vmcnt(0)
	v_div_scale_f32 v0, s[0:1], v4, v4, v5
	v_rcp_f32_e32 v1, v0
	v_div_scale_f32 v6, vcc, v5, v4, v5
	v_fma_f32 v7, -v0, v1, 1.0
	v_fmac_f32_e32 v1, v7, v1
	v_mul_f32_e32 v7, v6, v1
	v_fma_f32 v8, -v0, v7, v6
	v_fmac_f32_e32 v7, v8, v1
	v_fma_f32 v0, -v0, v7, v6
	v_div_fmas_f32 v0, v0, v1, v7
	v_div_fixup_f32 v0, v0, v4, v5
	global_store_dword v[2:3], v0, off
.LBB41_6:
	s_endpgm
	.section	.rodata,"a",@progbits
	.p2align	6, 0x0
	.amdhsa_kernel _ZL33flash_attn_stream_k_fixup_uniformILi128ELi8ELi2EEvPfPK15HIP_vector_typeIfLj2EEiiiiiiS1_IjLj3EES5_S5_
		.amdhsa_group_segment_fixed_size 0
		.amdhsa_private_segment_fixed_size 0
		.amdhsa_kernarg_size 76
		.amdhsa_user_sgpr_count 2
		.amdhsa_user_sgpr_dispatch_ptr 0
		.amdhsa_user_sgpr_queue_ptr 0
		.amdhsa_user_sgpr_kernarg_segment_ptr 1
		.amdhsa_user_sgpr_dispatch_id 0
		.amdhsa_user_sgpr_kernarg_preload_length 0
		.amdhsa_user_sgpr_kernarg_preload_offset 0
		.amdhsa_user_sgpr_private_segment_size 0
		.amdhsa_uses_dynamic_stack 0
		.amdhsa_enable_private_segment 0
		.amdhsa_system_sgpr_workgroup_id_x 1
		.amdhsa_system_sgpr_workgroup_id_y 1
		.amdhsa_system_sgpr_workgroup_id_z 1
		.amdhsa_system_sgpr_workgroup_info 0
		.amdhsa_system_vgpr_workitem_id 0
		.amdhsa_next_free_vgpr 17
		.amdhsa_next_free_sgpr 24
		.amdhsa_accum_offset 20
		.amdhsa_reserve_vcc 1
		.amdhsa_float_round_mode_32 0
		.amdhsa_float_round_mode_16_64 0
		.amdhsa_float_denorm_mode_32 3
		.amdhsa_float_denorm_mode_16_64 3
		.amdhsa_dx10_clamp 1
		.amdhsa_ieee_mode 1
		.amdhsa_fp16_overflow 0
		.amdhsa_tg_split 0
		.amdhsa_exception_fp_ieee_invalid_op 0
		.amdhsa_exception_fp_denorm_src 0
		.amdhsa_exception_fp_ieee_div_zero 0
		.amdhsa_exception_fp_ieee_overflow 0
		.amdhsa_exception_fp_ieee_underflow 0
		.amdhsa_exception_fp_ieee_inexact 0
		.amdhsa_exception_int_div_zero 0
	.end_amdhsa_kernel
	.section	.text._ZL33flash_attn_stream_k_fixup_uniformILi128ELi8ELi2EEvPfPK15HIP_vector_typeIfLj2EEiiiiiiS1_IjLj3EES5_S5_,"axG",@progbits,_ZL33flash_attn_stream_k_fixup_uniformILi128ELi8ELi2EEvPfPK15HIP_vector_typeIfLj2EEiiiiiiS1_IjLj3EES5_S5_,comdat
.Lfunc_end41:
	.size	_ZL33flash_attn_stream_k_fixup_uniformILi128ELi8ELi2EEvPfPK15HIP_vector_typeIfLj2EEiiiiiiS1_IjLj3EES5_S5_, .Lfunc_end41-_ZL33flash_attn_stream_k_fixup_uniformILi128ELi8ELi2EEvPfPK15HIP_vector_typeIfLj2EEiiiiiiS1_IjLj3EES5_S5_
                                        ; -- End function
	.set _ZL33flash_attn_stream_k_fixup_uniformILi128ELi8ELi2EEvPfPK15HIP_vector_typeIfLj2EEiiiiiiS1_IjLj3EES5_S5_.num_vgpr, 17
	.set _ZL33flash_attn_stream_k_fixup_uniformILi128ELi8ELi2EEvPfPK15HIP_vector_typeIfLj2EEiiiiiiS1_IjLj3EES5_S5_.num_agpr, 0
	.set _ZL33flash_attn_stream_k_fixup_uniformILi128ELi8ELi2EEvPfPK15HIP_vector_typeIfLj2EEiiiiiiS1_IjLj3EES5_S5_.numbered_sgpr, 24
	.set _ZL33flash_attn_stream_k_fixup_uniformILi128ELi8ELi2EEvPfPK15HIP_vector_typeIfLj2EEiiiiiiS1_IjLj3EES5_S5_.num_named_barrier, 0
	.set _ZL33flash_attn_stream_k_fixup_uniformILi128ELi8ELi2EEvPfPK15HIP_vector_typeIfLj2EEiiiiiiS1_IjLj3EES5_S5_.private_seg_size, 0
	.set _ZL33flash_attn_stream_k_fixup_uniformILi128ELi8ELi2EEvPfPK15HIP_vector_typeIfLj2EEiiiiiiS1_IjLj3EES5_S5_.uses_vcc, 1
	.set _ZL33flash_attn_stream_k_fixup_uniformILi128ELi8ELi2EEvPfPK15HIP_vector_typeIfLj2EEiiiiiiS1_IjLj3EES5_S5_.uses_flat_scratch, 0
	.set _ZL33flash_attn_stream_k_fixup_uniformILi128ELi8ELi2EEvPfPK15HIP_vector_typeIfLj2EEiiiiiiS1_IjLj3EES5_S5_.has_dyn_sized_stack, 0
	.set _ZL33flash_attn_stream_k_fixup_uniformILi128ELi8ELi2EEvPfPK15HIP_vector_typeIfLj2EEiiiiiiS1_IjLj3EES5_S5_.has_recursion, 0
	.set _ZL33flash_attn_stream_k_fixup_uniformILi128ELi8ELi2EEvPfPK15HIP_vector_typeIfLj2EEiiiiiiS1_IjLj3EES5_S5_.has_indirect_call, 0
	.section	.AMDGPU.csdata,"",@progbits
; Kernel info:
; codeLenInByte = 836
; TotalNumSgprs: 30
; NumVgprs: 17
; NumAgprs: 0
; TotalNumVgprs: 17
; ScratchSize: 0
; MemoryBound: 0
; FloatMode: 240
; IeeeMode: 1
; LDSByteSize: 0 bytes/workgroup (compile time only)
; SGPRBlocks: 3
; VGPRBlocks: 2
; NumSGPRsForWavesPerEU: 30
; NumVGPRsForWavesPerEU: 17
; AccumOffset: 20
; Occupancy: 8
; WaveLimiterHint : 0
; COMPUTE_PGM_RSRC2:SCRATCH_EN: 0
; COMPUTE_PGM_RSRC2:USER_SGPR: 2
; COMPUTE_PGM_RSRC2:TRAP_HANDLER: 0
; COMPUTE_PGM_RSRC2:TGID_X_EN: 1
; COMPUTE_PGM_RSRC2:TGID_Y_EN: 1
; COMPUTE_PGM_RSRC2:TGID_Z_EN: 1
; COMPUTE_PGM_RSRC2:TIDIG_COMP_CNT: 0
; COMPUTE_PGM_RSRC3_GFX90A:ACCUM_OFFSET: 4
; COMPUTE_PGM_RSRC3_GFX90A:TG_SPLIT: 0
	.section	.text._ZL33flash_attn_stream_k_fixup_generalILi128ELi8ELi2EEvPfPK15HIP_vector_typeIfLj2EEiiiiS1_IjLj3EES5_S5_S5_,"axG",@progbits,_ZL33flash_attn_stream_k_fixup_generalILi128ELi8ELi2EEvPfPK15HIP_vector_typeIfLj2EEiiiiS1_IjLj3EES5_S5_S5_,comdat
	.globl	_ZL33flash_attn_stream_k_fixup_generalILi128ELi8ELi2EEvPfPK15HIP_vector_typeIfLj2EEiiiiS1_IjLj3EES5_S5_S5_ ; -- Begin function _ZL33flash_attn_stream_k_fixup_generalILi128ELi8ELi2EEvPfPK15HIP_vector_typeIfLj2EEiiiiS1_IjLj3EES5_S5_S5_
	.p2align	8
	.type	_ZL33flash_attn_stream_k_fixup_generalILi128ELi8ELi2EEvPfPK15HIP_vector_typeIfLj2EEiiiiS1_IjLj3EES5_S5_S5_,@function
_ZL33flash_attn_stream_k_fixup_generalILi128ELi8ELi2EEvPfPK15HIP_vector_typeIfLj2EEiiiiS1_IjLj3EES5_S5_S5_: ; @_ZL33flash_attn_stream_k_fixup_generalILi128ELi8ELi2EEvPfPK15HIP_vector_typeIfLj2EEiiiiS1_IjLj3EES5_S5_S5_
; %bb.0:
	s_load_dwordx4 s[8:11], s[0:1], 0x10
	s_load_dword s22, s[0:1], 0x50
	s_mov_b32 s12, 0
	s_waitcnt lgkmcnt(0)
	s_mul_hi_i32 s13, s11, s2
	s_cmp_lg_u64 s[12:13], 0
	s_mul_i32 s5, s11, s2
	s_cbranch_scc0 .LBB42_20
; %bb.1:
	s_add_u32 s6, s22, 0
	s_addc_u32 s7, 0, 0
	s_xor_b64 s[6:7], s[6:7], 0
	v_cvt_f32_u32_e32 v1, s6
	v_cvt_f32_u32_e32 v2, s7
	s_sub_u32 s12, 0, s6
	s_subb_u32 s18, 0, s7
	v_fmamk_f32 v1, v2, 0x4f800000, v1
	v_rcp_f32_e32 v1, v1
	s_nop 0
	v_mul_f32_e32 v1, 0x5f7ffffc, v1
	v_mul_f32_e32 v2, 0x2f800000, v1
	v_trunc_f32_e32 v2, v2
	v_fmamk_f32 v1, v2, 0xcf800000, v1
	v_cvt_u32_f32_e32 v2, v2
	v_cvt_u32_f32_e32 v1, v1
	v_readfirstlane_b32 s19, v2
	v_readfirstlane_b32 s14, v1
	s_mul_i32 s15, s12, s19
	s_mul_hi_u32 s21, s12, s14
	s_mul_i32 s20, s18, s14
	s_add_i32 s15, s21, s15
	s_add_i32 s15, s15, s20
	s_mul_i32 s23, s12, s14
	s_mul_i32 s21, s14, s15
	s_mul_hi_u32 s24, s14, s23
	s_mul_hi_u32 s20, s14, s15
	s_add_u32 s21, s24, s21
	s_addc_u32 s20, 0, s20
	s_mul_hi_u32 s25, s19, s23
	s_mul_i32 s23, s19, s23
	s_add_u32 s21, s21, s23
	s_mul_hi_u32 s24, s19, s15
	s_addc_u32 s20, s20, s25
	s_addc_u32 s21, s24, 0
	s_mul_i32 s15, s19, s15
	s_add_u32 s15, s20, s15
	s_addc_u32 s20, 0, s21
	s_add_u32 s21, s14, s15
	s_cselect_b64 s[14:15], -1, 0
	s_cmp_lg_u64 s[14:15], 0
	s_addc_u32 s19, s19, s20
	s_mul_i32 s14, s12, s19
	s_mul_hi_u32 s15, s12, s21
	s_add_i32 s14, s15, s14
	s_mul_i32 s18, s18, s21
	s_add_i32 s14, s14, s18
	s_mul_i32 s12, s12, s21
	s_mul_hi_u32 s18, s19, s12
	s_mul_i32 s20, s19, s12
	s_mul_i32 s24, s21, s14
	s_mul_hi_u32 s12, s21, s12
	s_mul_hi_u32 s23, s21, s14
	s_add_u32 s12, s12, s24
	s_addc_u32 s23, 0, s23
	s_add_u32 s12, s12, s20
	s_mul_hi_u32 s15, s19, s14
	s_addc_u32 s12, s23, s18
	s_addc_u32 s15, s15, 0
	s_mul_i32 s14, s19, s14
	s_add_u32 s12, s12, s14
	s_addc_u32 s18, 0, s15
	s_add_u32 s20, s21, s12
	s_cselect_b64 s[14:15], -1, 0
	s_cmp_lg_u64 s[14:15], 0
	s_addc_u32 s18, s19, s18
	s_ashr_i32 s14, s13, 31
	s_add_u32 s12, s5, s14
	s_mov_b32 s15, s14
	s_addc_u32 s13, s13, s14
	s_xor_b64 s[12:13], s[12:13], s[14:15]
	s_mul_i32 s21, s12, s18
	s_mul_hi_u32 s23, s12, s20
	s_mul_hi_u32 s19, s12, s18
	s_add_u32 s21, s23, s21
	s_addc_u32 s19, 0, s19
	s_mul_hi_u32 s24, s13, s20
	s_mul_i32 s20, s13, s20
	s_add_u32 s20, s21, s20
	s_mul_hi_u32 s23, s13, s18
	s_addc_u32 s19, s19, s24
	s_addc_u32 s20, s23, 0
	s_mul_i32 s18, s13, s18
	s_add_u32 s23, s19, s18
	s_addc_u32 s24, 0, s20
	s_mul_i32 s18, s6, s24
	s_mul_hi_u32 s19, s6, s23
	s_add_i32 s18, s19, s18
	s_mul_i32 s19, s7, s23
	s_add_i32 s25, s18, s19
	s_sub_i32 s20, s13, s25
	s_mul_i32 s18, s6, s23
	s_sub_u32 s12, s12, s18
	s_cselect_b64 s[18:19], -1, 0
	s_cmp_lg_u64 s[18:19], 0
	s_subb_u32 s26, s20, s7
	s_sub_u32 s27, s12, s6
	s_cselect_b64 s[20:21], -1, 0
	s_cmp_lg_u64 s[20:21], 0
	s_subb_u32 s20, s26, 0
	s_cmp_ge_u32 s20, s7
	s_cselect_b32 s21, -1, 0
	s_cmp_ge_u32 s27, s6
	s_cselect_b32 s26, -1, 0
	s_cmp_eq_u32 s20, s7
	s_cselect_b32 s20, s26, s21
	s_add_u32 s21, s23, 1
	s_addc_u32 s26, s24, 0
	s_add_u32 s27, s23, 2
	s_addc_u32 s28, s24, 0
	s_cmp_lg_u32 s20, 0
	s_cselect_b32 s20, s27, s21
	s_cselect_b32 s21, s28, s26
	s_cmp_lg_u64 s[18:19], 0
	s_subb_u32 s13, s13, s25
	s_cmp_ge_u32 s13, s7
	s_cselect_b32 s18, -1, 0
	s_cmp_ge_u32 s12, s6
	s_cselect_b32 s6, -1, 0
	s_cmp_eq_u32 s13, s7
	s_cselect_b32 s6, s6, s18
	s_cmp_lg_u32 s6, 0
	s_cselect_b32 s7, s21, s24
	s_cselect_b32 s6, s20, s23
	s_xor_b64 s[12:13], s[14:15], 0
	s_xor_b64 s[6:7], s[6:7], s[12:13]
	s_sub_u32 s6, s6, s12
	s_load_dwordx4 s[12:15], s[0:1], 0x44
	s_cbranch_execnz .LBB42_3
.LBB42_2:
	v_cvt_f32_u32_e32 v1, s22
	s_sub_i32 s6, 0, s22
	v_rcp_iflag_f32_e32 v1, v1
	s_nop 0
	v_mul_f32_e32 v1, 0x4f7ffffe, v1
	v_cvt_u32_f32_e32 v1, v1
	s_nop 0
	v_readfirstlane_b32 s7, v1
	s_mul_i32 s6, s6, s7
	s_mul_hi_u32 s6, s7, s6
	s_add_i32 s7, s7, s6
	s_mul_hi_u32 s6, s5, s7
	s_waitcnt lgkmcnt(0)
	s_mul_i32 s15, s6, s22
	s_sub_i32 s5, s5, s15
	s_add_i32 s7, s6, 1
	s_sub_i32 s15, s5, s22
	s_cmp_ge_u32 s5, s22
	s_cselect_b32 s6, s7, s6
	s_cselect_b32 s5, s15, s5
	s_add_i32 s7, s6, 1
	s_cmp_ge_u32 s5, s22
	s_cselect_b32 s6, s7, s6
.LBB42_3:
	s_add_i32 s5, s2, 1
	s_mul_hi_i32 s21, s11, s5
	s_mov_b32 s20, 0
	s_cmp_lg_u64 s[20:21], 0
	s_mul_i32 s5, s11, s5
	s_cbranch_scc0 .LBB42_21
; %bb.4:
	s_add_u32 s16, s22, 0
	s_addc_u32 s17, 0, 0
	s_xor_b64 s[18:19], s[16:17], 0
	v_cvt_f32_u32_e32 v1, s18
	v_cvt_f32_u32_e32 v2, s19
	s_sub_u32 s7, 0, s18
	s_waitcnt lgkmcnt(0)
	s_subb_u32 s15, 0, s19
	v_fmamk_f32 v1, v2, 0x4f800000, v1
	v_rcp_f32_e32 v1, v1
	s_nop 0
	v_mul_f32_e32 v1, 0x5f7ffffc, v1
	v_mul_f32_e32 v2, 0x2f800000, v1
	v_trunc_f32_e32 v2, v2
	v_fmamk_f32 v1, v2, 0xcf800000, v1
	v_cvt_u32_f32_e32 v2, v2
	v_cvt_u32_f32_e32 v1, v1
	v_readfirstlane_b32 s20, v2
	v_readfirstlane_b32 s23, v1
	s_mul_i32 s24, s7, s20
	s_mul_hi_u32 s26, s7, s23
	s_mul_i32 s25, s15, s23
	s_add_i32 s24, s26, s24
	s_add_i32 s24, s24, s25
	s_mul_i32 s27, s7, s23
	s_mul_i32 s26, s23, s24
	s_mul_hi_u32 s28, s23, s27
	s_mul_hi_u32 s25, s23, s24
	s_add_u32 s26, s28, s26
	s_addc_u32 s25, 0, s25
	s_mul_hi_u32 s29, s20, s27
	s_mul_i32 s27, s20, s27
	s_add_u32 s26, s26, s27
	s_mul_hi_u32 s28, s20, s24
	s_addc_u32 s25, s25, s29
	s_addc_u32 s26, s28, 0
	s_mul_i32 s24, s20, s24
	s_add_u32 s24, s25, s24
	s_addc_u32 s26, 0, s26
	s_add_u32 s23, s23, s24
	s_cselect_b64 s[24:25], -1, 0
	s_cmp_lg_u64 s[24:25], 0
	s_addc_u32 s20, s20, s26
	s_mul_i32 s24, s7, s20
	s_mul_hi_u32 s25, s7, s23
	s_add_i32 s24, s25, s24
	s_mul_i32 s15, s15, s23
	s_add_i32 s24, s24, s15
	s_mul_i32 s7, s7, s23
	s_mul_hi_u32 s25, s20, s7
	s_mul_i32 s26, s20, s7
	s_mul_i32 s28, s23, s24
	s_mul_hi_u32 s7, s23, s7
	s_mul_hi_u32 s27, s23, s24
	s_add_u32 s7, s7, s28
	s_addc_u32 s27, 0, s27
	s_add_u32 s7, s7, s26
	s_mul_hi_u32 s15, s20, s24
	s_addc_u32 s7, s27, s25
	s_addc_u32 s15, s15, 0
	s_mul_i32 s24, s20, s24
	s_add_u32 s7, s7, s24
	s_addc_u32 s15, 0, s15
	s_add_u32 s7, s23, s7
	s_cselect_b64 s[24:25], -1, 0
	s_cmp_lg_u64 s[24:25], 0
	s_addc_u32 s15, s20, s15
	s_ashr_i32 s24, s21, 31
	s_add_u32 s20, s5, s24
	s_mov_b32 s25, s24
	s_addc_u32 s21, s21, s24
	s_xor_b64 s[20:21], s[20:21], s[24:25]
	s_mul_i32 s26, s20, s15
	s_mul_hi_u32 s27, s20, s7
	s_mul_hi_u32 s23, s20, s15
	s_add_u32 s26, s27, s26
	s_addc_u32 s23, 0, s23
	s_mul_hi_u32 s28, s21, s7
	s_mul_i32 s7, s21, s7
	s_add_u32 s7, s26, s7
	s_mul_hi_u32 s27, s21, s15
	s_addc_u32 s7, s23, s28
	s_addc_u32 s23, s27, 0
	s_mul_i32 s15, s21, s15
	s_add_u32 s7, s7, s15
	s_addc_u32 s15, 0, s23
	s_mul_i32 s23, s18, s15
	s_mul_hi_u32 s26, s18, s7
	s_add_i32 s23, s26, s23
	s_mul_i32 s26, s19, s7
	s_add_i32 s23, s23, s26
	s_sub_i32 s28, s21, s23
	s_mul_i32 s26, s18, s7
	s_sub_u32 s20, s20, s26
	s_cselect_b64 s[26:27], -1, 0
	s_cmp_lg_u64 s[26:27], 0
	s_subb_u32 s30, s28, s19
	s_sub_u32 s31, s20, s18
	s_cselect_b64 s[28:29], -1, 0
	s_cmp_lg_u64 s[28:29], 0
	s_subb_u32 s28, s30, 0
	s_cmp_ge_u32 s28, s19
	s_cselect_b32 s29, -1, 0
	s_cmp_ge_u32 s31, s18
	s_cselect_b32 s30, -1, 0
	s_cmp_eq_u32 s28, s19
	s_cselect_b32 s28, s30, s29
	s_add_u32 s29, s7, 1
	s_addc_u32 s30, s15, 0
	s_add_u32 s31, s7, 2
	s_addc_u32 s33, s15, 0
	s_cmp_lg_u32 s28, 0
	s_cselect_b32 s28, s31, s29
	s_cselect_b32 s29, s33, s30
	s_cmp_lg_u64 s[26:27], 0
	s_subb_u32 s21, s21, s23
	s_cmp_ge_u32 s21, s19
	s_cselect_b32 s23, -1, 0
	s_cmp_ge_u32 s20, s18
	s_cselect_b32 s18, -1, 0
	s_cmp_eq_u32 s21, s19
	s_cselect_b32 s18, s18, s23
	s_cmp_lg_u32 s18, 0
	s_cselect_b32 s19, s29, s15
	s_cselect_b32 s18, s28, s7
	s_xor_b64 s[20:21], s[24:25], 0
	s_xor_b64 s[18:19], s[18:19], s[20:21]
	s_sub_u32 s18, s18, s20
	s_cbranch_execnz .LBB42_6
.LBB42_5:
	v_cvt_f32_u32_e32 v1, s22
	s_sub_i32 s7, 0, s22
	v_rcp_iflag_f32_e32 v1, v1
	s_nop 0
	v_mul_f32_e32 v1, 0x4f7ffffe, v1
	v_cvt_u32_f32_e32 v1, v1
	s_waitcnt lgkmcnt(0)
	v_readfirstlane_b32 s15, v1
	s_mul_i32 s7, s7, s15
	s_mul_hi_u32 s7, s15, s7
	s_add_i32 s15, s15, s7
	s_mul_hi_u32 s7, s5, s15
	s_mul_i32 s16, s7, s22
	s_sub_i32 s5, s5, s16
	s_add_i32 s15, s7, 1
	s_sub_i32 s16, s5, s22
	s_cmp_ge_u32 s5, s22
	s_cselect_b32 s7, s15, s7
	s_cselect_b32 s5, s16, s5
	s_add_i32 s15, s7, 1
	s_cmp_ge_u32 s5, s22
	s_cselect_b32 s18, s15, s7
.LBB42_6:
	s_cmp_eq_u32 s6, s18
	s_waitcnt lgkmcnt(0)
	s_mul_hi_u32 s5, s6, s12
	s_cselect_b64 s[16:17], -1, 0
	s_add_i32 s5, s5, s6
	s_lshr_b32 s7, s5, s13
	s_mul_i32 s5, s7, s14
	s_cmp_eq_u32 s5, s6
	s_mul_hi_u32 s5, s18, s12
	s_cselect_b64 s[20:21], -1, 0
	s_add_i32 s5, s5, s18
	s_lshr_b32 s5, s5, s13
	s_cmp_eq_u32 s7, s5
	s_mul_i32 s5, s5, s14
	s_cselect_b64 s[24:25], -1, 0
	s_cmp_lg_u32 s5, s18
	s_cselect_b64 s[18:19], -1, 0
	s_and_b64 s[18:19], s[24:25], s[18:19]
	s_or_b64 s[16:17], s[16:17], s[20:21]
	s_or_b64 s[16:17], s[16:17], s[18:19]
	s_and_b64 vcc, exec, s[16:17]
	s_cbranch_vccnz .LBB42_23
; %bb.7:
	s_load_dwordx8 s[24:31], s[0:1], 0x20
	s_load_dword s15, s[0:1], 0x40
	s_waitcnt lgkmcnt(0)
	s_mul_hi_u32 s5, s6, s24
	s_add_i32 s5, s5, s6
	s_lshr_b32 s5, s5, s25
	s_mul_i32 s16, s5, s26
	s_sub_i32 s16, s6, s16
	s_mul_hi_u32 s17, s16, s27
	s_add_i32 s17, s16, s17
	s_lshr_b32 s20, s17, s28
	s_mul_i32 s17, s20, s29
	s_sub_i32 s16, s16, s17
	;; [unrolled: 5-line block ×3, first 2 shown]
	s_mul_hi_u32 s16, s15, s12
	s_add_i32 s15, s15, s16
	s_lshr_b32 s23, s15, s13
	s_lshl_b32 s15, s23, 3
	s_lshl_b32 s21, s17, 1
	s_add_i32 s15, s15, s3
	s_cmp_lt_i32 s15, s8
	s_cselect_b64 s[16:17], -1, 0
	s_add_i32 s15, s21, s4
	s_cmp_lt_i32 s15, s10
	s_cselect_b64 s[18:19], -1, 0
	s_and_b64 s[16:17], s[16:17], s[18:19]
	s_andn2_b64 vcc, exec, s[16:17]
	s_cbranch_vccnz .LBB42_23
; %bb.8:
	s_load_dwordx4 s[16:19], s[0:1], 0x0
	s_mov_b32 s0, 0
	s_lshl_b32 s15, s3, 1
	s_lshl_b32 s24, s22, 6
	s_mov_b32 s25, s0
	s_add_i32 s15, s15, s4
	s_waitcnt lgkmcnt(0)
	v_mov_b32_e32 v2, s16
	v_mov_b32_e32 v3, s17
	s_lshl_b64 s[16:17], s[24:25], 2
	s_add_u32 s16, s18, s16
	s_mul_i32 s1, s5, s8
	s_addc_u32 s17, s19, s17
	s_add_i32 s1, s1, s3
	s_mul_i32 s1, s1, s9
	s_mul_i32 s20, s20, s10
	s_add_i32 s1, s1, s4
	s_add_i32 s1, s1, s20
	s_mul_i32 s5, s9, s23
	s_add_i32 s1, s1, s21
	s_lshl_b32 s5, s5, 10
	s_lshl_b32 s1, s1, 7
	s_add_i32 s5, s5, s1
	v_or_b32_e32 v4, s5, v0
	v_ashrrev_i32_e32 v5, 31, v4
	v_lshl_add_u64 v[2:3], v[4:5], 2, v[2:3]
	global_load_dword v1, v[2:3], off
	v_cvt_f32_u32_e32 v4, s22
	s_lshl_b32 s1, s2, 4
	s_add_i32 s4, s15, s1
	s_ashr_i32 s5, s4, 31
	s_lshl_b64 s[4:5], s[4:5], 3
	v_rcp_iflag_f32_e32 v4, v4
	s_add_u32 s4, s18, s4
	s_addc_u32 s5, s19, s5
	s_load_dwordx2 s[4:5], s[4:5], 0x0
	v_mul_f32_e32 v4, 0x4f7ffffe, v4
	v_cvt_u32_f32_e32 v7, v4
	s_add_i32 s24, s2, -1
	v_lshl_or_b32 v6, s15, 7, v0
	s_waitcnt lgkmcnt(0)
	v_mov_b32_e32 v0, s5
	v_mov_b32_e32 v9, s4
	s_mov_b32 s10, 0x3fb8aa3b
	s_mov_b32 s20, 0xc2ce8ed0
	;; [unrolled: 1-line block ×4, first 2 shown]
	v_mov_b32_e32 v8, 0x7f800000
	s_mul_hi_i32 s1, s24, s11
	s_cmp_lg_u64 s[0:1], 0
	s_mul_i32 s8, s24, s11
	s_cbranch_scc0 .LBB42_19
.LBB42_9:
	s_add_u32 s2, s22, 0
	s_addc_u32 s3, 0, 0
	s_xor_b64 s[2:3], s[2:3], 0
	v_cvt_f32_u32_e32 v4, s2
	v_cvt_f32_u32_e32 v5, s3
	s_sub_u32 s9, 0, s2
	s_subb_u32 s25, 0, s3
	v_fmac_f32_e32 v4, 0x4f800000, v5
	v_rcp_f32_e32 v4, v4
	s_nop 0
	v_mul_f32_e32 v4, 0x5f7ffffc, v4
	v_mul_f32_e32 v5, 0x2f800000, v4
	v_trunc_f32_e32 v5, v5
	v_fmac_f32_e32 v4, 0xcf800000, v5
	v_cvt_u32_f32_e32 v5, v5
	v_cvt_u32_f32_e32 v4, v4
	v_readfirstlane_b32 s26, v5
	v_readfirstlane_b32 s4, v4
	s_mul_i32 s5, s9, s26
	s_mul_hi_u32 s28, s9, s4
	s_mul_i32 s27, s25, s4
	s_add_i32 s5, s28, s5
	s_mul_i32 s29, s9, s4
	s_add_i32 s5, s5, s27
	s_mul_i32 s28, s4, s5
	s_mul_hi_u32 s30, s4, s29
	s_mul_hi_u32 s27, s4, s5
	s_add_u32 s28, s30, s28
	s_addc_u32 s27, 0, s27
	s_mul_hi_u32 s31, s26, s29
	s_mul_i32 s29, s26, s29
	s_add_u32 s28, s28, s29
	s_mul_hi_u32 s30, s26, s5
	s_addc_u32 s27, s27, s31
	s_addc_u32 s28, s30, 0
	s_mul_i32 s5, s26, s5
	s_add_u32 s5, s27, s5
	s_addc_u32 s27, 0, s28
	s_add_u32 s28, s4, s5
	s_cselect_b64 s[4:5], -1, 0
	s_cmp_lg_u64 s[4:5], 0
	s_addc_u32 s26, s26, s27
	s_mul_i32 s4, s9, s26
	s_mul_hi_u32 s5, s9, s28
	s_add_i32 s4, s5, s4
	s_mul_i32 s25, s25, s28
	s_add_i32 s4, s4, s25
	s_mul_i32 s9, s9, s28
	s_mul_hi_u32 s25, s26, s9
	s_mul_i32 s27, s26, s9
	s_mul_i32 s30, s28, s4
	s_mul_hi_u32 s9, s28, s9
	s_mul_hi_u32 s29, s28, s4
	s_add_u32 s9, s9, s30
	s_addc_u32 s29, 0, s29
	s_add_u32 s9, s9, s27
	s_mul_hi_u32 s5, s26, s4
	s_addc_u32 s9, s29, s25
	s_addc_u32 s5, s5, 0
	s_mul_i32 s4, s26, s4
	s_add_u32 s4, s9, s4
	s_addc_u32 s9, 0, s5
	s_add_u32 s25, s28, s4
	s_cselect_b64 s[4:5], -1, 0
	s_cmp_lg_u64 s[4:5], 0
	s_addc_u32 s9, s26, s9
	s_ashr_i32 s4, s1, 31
	s_add_u32 s26, s8, s4
	s_mov_b32 s5, s4
	s_addc_u32 s27, s1, s4
	s_xor_b64 s[26:27], s[26:27], s[4:5]
	s_mul_i32 s28, s26, s9
	s_mul_hi_u32 s29, s26, s25
	s_mul_hi_u32 s1, s26, s9
	s_add_u32 s28, s29, s28
	s_addc_u32 s1, 0, s1
	s_mul_hi_u32 s30, s27, s25
	s_mul_i32 s25, s27, s25
	s_add_u32 s25, s28, s25
	s_mul_hi_u32 s29, s27, s9
	s_addc_u32 s1, s1, s30
	s_addc_u32 s25, s29, 0
	s_mul_i32 s9, s27, s9
	s_add_u32 s1, s1, s9
	s_addc_u32 s9, 0, s25
	s_mul_i32 s25, s2, s9
	s_mul_hi_u32 s28, s2, s1
	s_add_i32 s25, s28, s25
	s_mul_i32 s28, s3, s1
	s_add_i32 s25, s25, s28
	s_sub_i32 s30, s27, s25
	s_mul_i32 s28, s2, s1
	s_sub_u32 s26, s26, s28
	s_cselect_b64 s[28:29], -1, 0
	s_cmp_lg_u64 s[28:29], 0
	s_subb_u32 s33, s30, s3
	s_sub_u32 s34, s26, s2
	s_cselect_b64 s[30:31], -1, 0
	s_cmp_lg_u64 s[30:31], 0
	s_subb_u32 s30, s33, 0
	s_cmp_ge_u32 s30, s3
	s_cselect_b32 s31, -1, 0
	s_cmp_ge_u32 s34, s2
	s_cselect_b32 s33, -1, 0
	s_cmp_eq_u32 s30, s3
	s_cselect_b32 s30, s33, s31
	s_add_u32 s31, s1, 1
	s_addc_u32 s33, s9, 0
	s_add_u32 s34, s1, 2
	s_addc_u32 s35, s9, 0
	s_cmp_lg_u32 s30, 0
	s_cselect_b32 s30, s34, s31
	s_cselect_b32 s31, s35, s33
	s_cmp_lg_u64 s[28:29], 0
	s_subb_u32 s25, s27, s25
	s_cmp_ge_u32 s25, s3
	s_cselect_b32 s27, -1, 0
	s_cmp_ge_u32 s26, s2
	s_cselect_b32 s2, -1, 0
	s_cmp_eq_u32 s25, s3
	s_cselect_b32 s2, s2, s27
	s_cmp_lg_u32 s2, 0
	s_cselect_b32 s3, s31, s9
	s_cselect_b32 s2, s30, s1
	s_xor_b64 s[4:5], s[4:5], 0
	s_xor_b64 s[2:3], s[2:3], s[4:5]
	s_sub_u32 s4, s2, s4
	s_cbranch_execnz .LBB42_11
.LBB42_10:
	s_sub_i32 s1, 0, s22
	v_readfirstlane_b32 s2, v7
	s_mul_i32 s1, s1, s2
	s_mul_hi_u32 s1, s2, s1
	s_add_i32 s2, s2, s1
	s_mul_hi_u32 s1, s8, s2
	s_mul_i32 s3, s1, s22
	s_sub_i32 s3, s8, s3
	s_add_i32 s2, s1, 1
	s_sub_i32 s4, s3, s22
	s_cmp_ge_u32 s3, s22
	s_cselect_b32 s1, s2, s1
	s_cselect_b32 s3, s4, s3
	s_add_i32 s2, s1, 1
	s_cmp_ge_u32 s3, s22
	s_cselect_b32 s4, s2, s1
.LBB42_11:
	s_cmp_lg_u32 s6, s4
	s_cbranch_scc0 .LBB42_15
; %bb.12:
	s_add_i32 s1, s24, s22
	s_lshl_b32 s1, s1, 4
	s_add_i32 s2, s1, s15
	s_mov_b32 s3, s0
	s_lshl_b64 s[2:3], s[2:3], 3
	s_add_u32 s8, s18, s2
	s_mul_hi_u32 s1, s4, s12
	s_addc_u32 s9, s19, s3
	s_add_i32 s1, s1, s4
	s_lshr_b32 s1, s1, s13
	s_mul_i32 s2, s1, s14
	s_cmp_eq_u32 s2, s4
	s_cselect_b64 s[2:3], -1, 0
	s_cmp_lt_u32 s1, s7
	s_cselect_b64 s[26:27], -1, 0
	s_or_b64 s[26:27], s[26:27], s[2:3]
	s_mov_b64 s[2:3], -1
	s_and_b64 vcc, exec, s[26:27]
	s_mov_b32 s1, s24
	s_mov_b32 s25, s6
	s_cbranch_vccnz .LBB42_14
; %bb.13:
	s_add_i32 s1, s24, -1
	s_mov_b64 s[2:3], 0
	s_mov_b32 s25, s4
.LBB42_14:
	v_lshl_add_u32 v4, s24, 11, v6
	v_ashrrev_i32_e32 v5, 31, v4
	v_lshl_add_u64 v[4:5], v[4:5], 2, s[16:17]
	global_load_dword v5, v[4:5], off
	s_load_dwordx2 s[4:5], s[8:9], 0x0
	v_max_f32_e32 v4, v9, v9
	s_waitcnt lgkmcnt(0)
	v_max_f32_e64 v10, s4, s4
	v_max_f32_e32 v10, v4, v10
	v_sub_f32_e32 v11, v9, v10
	v_sub_f32_e32 v13, s4, v10
	v_mul_f32_e32 v4, 0x3fb8aa3b, v11
	v_mul_f32_e32 v12, 0x3fb8aa3b, v13
	v_fma_f32 v14, v11, s10, -v4
	v_rndne_f32_e32 v15, v4
	v_fma_f32 v16, v13, s10, -v12
	v_rndne_f32_e32 v17, v12
	v_fmac_f32_e32 v14, 0x32a5705f, v11
	v_sub_f32_e32 v4, v4, v15
	v_fmac_f32_e32 v16, 0x32a5705f, v13
	v_sub_f32_e32 v12, v12, v17
	v_add_f32_e32 v4, v4, v14
	v_cvt_i32_f32_e32 v15, v15
	v_add_f32_e32 v12, v12, v16
	v_exp_f32_e32 v14, v4
	v_cvt_i32_f32_e32 v17, v17
	v_exp_f32_e32 v12, v12
	v_cmp_ngt_f32_e32 vcc, s20, v11
	v_ldexp_f32 v14, v14, v15
	v_mov_b32_e32 v4, s5
	v_ldexp_f32 v12, v12, v17
	v_cndmask_b32_e32 v14, 0, v14, vcc
	v_cmp_ngt_f32_e32 vcc, s20, v13
	s_nop 1
	v_cndmask_b32_e32 v12, 0, v12, vcc
	v_cmp_nlt_f32_e32 vcc, s21, v11
	s_nop 1
	v_cndmask_b32_e32 v14, v8, v14, vcc
	v_cmp_nlt_f32_e32 vcc, s21, v13
	s_nop 1
	v_cndmask_b32_e32 v15, v8, v12, vcc
	v_cmp_le_f32_e32 vcc, s23, v11
	s_nop 1
	v_cndmask_b32_e32 v12, 0, v14, vcc
	v_cmp_le_f32_e32 vcc, s23, v13
	s_nop 1
	v_cndmask_b32_e32 v14, 0, v15, vcc
	s_waitcnt vmcnt(0)
	v_pk_mul_f32 v[4:5], v[4:5], v[14:15] op_sel_hi:[1,0]
	s_nop 0
	v_pk_fma_f32 v[4:5], v[0:1], v[12:13], v[4:5] op_sel_hi:[1,0,1]
	s_cbranch_execz .LBB42_16
	s_branch .LBB42_17
.LBB42_15:
                                        ; implicit-def: $vgpr4_vgpr5
                                        ; implicit-def: $sgpr2_sgpr3
                                        ; implicit-def: $vgpr10
                                        ; implicit-def: $sgpr1
                                        ; implicit-def: $sgpr25
.LBB42_16:
	s_add_i32 s1, s24, -1
	s_mov_b64 s[2:3], 0
	s_mov_b32 s25, s6
	v_mov_b32_e32 v10, v9
	s_waitcnt vmcnt(0)
	v_mov_b64_e32 v[4:5], v[0:1]
.LBB42_17:
	s_andn2_b64 vcc, exec, s[2:3]
	s_cbranch_vccz .LBB42_22
; %bb.18:
	s_mov_b32 s6, s25
	s_mov_b32 s24, s1
	v_mov_b32_e32 v9, v10
	s_waitcnt vmcnt(0)
	v_mov_b64_e32 v[0:1], v[4:5]
	s_mul_hi_i32 s1, s24, s11
	s_cmp_lg_u64 s[0:1], 0
	s_mul_i32 s8, s24, s11
	s_cbranch_scc1 .LBB42_9
.LBB42_19:
                                        ; implicit-def: $sgpr4_sgpr5
	s_branch .LBB42_10
.LBB42_20:
                                        ; implicit-def: $sgpr6_sgpr7
	s_load_dwordx4 s[12:15], s[0:1], 0x44
	s_branch .LBB42_2
.LBB42_21:
                                        ; implicit-def: $sgpr18_sgpr19
	s_branch .LBB42_5
.LBB42_22:
	v_div_scale_f32 v0, s[0:1], v4, v4, v5
	s_waitcnt vmcnt(0)
	v_rcp_f32_e32 v1, v0
	v_div_scale_f32 v6, vcc, v5, v4, v5
	v_fma_f32 v7, -v0, v1, 1.0
	v_fmac_f32_e32 v1, v7, v1
	v_mul_f32_e32 v7, v6, v1
	v_fma_f32 v8, -v0, v7, v6
	v_fmac_f32_e32 v7, v8, v1
	v_fma_f32 v0, -v0, v7, v6
	v_div_fmas_f32 v0, v0, v1, v7
	v_div_fixup_f32 v0, v0, v4, v5
	global_store_dword v[2:3], v0, off
.LBB42_23:
	s_endpgm
	.section	.rodata,"a",@progbits
	.p2align	6, 0x0
	.amdhsa_kernel _ZL33flash_attn_stream_k_fixup_generalILi128ELi8ELi2EEvPfPK15HIP_vector_typeIfLj2EEiiiiS1_IjLj3EES5_S5_S5_
		.amdhsa_group_segment_fixed_size 0
		.amdhsa_private_segment_fixed_size 0
		.amdhsa_kernarg_size 336
		.amdhsa_user_sgpr_count 2
		.amdhsa_user_sgpr_dispatch_ptr 0
		.amdhsa_user_sgpr_queue_ptr 0
		.amdhsa_user_sgpr_kernarg_segment_ptr 1
		.amdhsa_user_sgpr_dispatch_id 0
		.amdhsa_user_sgpr_kernarg_preload_length 0
		.amdhsa_user_sgpr_kernarg_preload_offset 0
		.amdhsa_user_sgpr_private_segment_size 0
		.amdhsa_uses_dynamic_stack 0
		.amdhsa_enable_private_segment 0
		.amdhsa_system_sgpr_workgroup_id_x 1
		.amdhsa_system_sgpr_workgroup_id_y 1
		.amdhsa_system_sgpr_workgroup_id_z 1
		.amdhsa_system_sgpr_workgroup_info 0
		.amdhsa_system_vgpr_workitem_id 0
		.amdhsa_next_free_vgpr 18
		.amdhsa_next_free_sgpr 36
		.amdhsa_accum_offset 20
		.amdhsa_reserve_vcc 1
		.amdhsa_float_round_mode_32 0
		.amdhsa_float_round_mode_16_64 0
		.amdhsa_float_denorm_mode_32 3
		.amdhsa_float_denorm_mode_16_64 3
		.amdhsa_dx10_clamp 1
		.amdhsa_ieee_mode 1
		.amdhsa_fp16_overflow 0
		.amdhsa_tg_split 0
		.amdhsa_exception_fp_ieee_invalid_op 0
		.amdhsa_exception_fp_denorm_src 0
		.amdhsa_exception_fp_ieee_div_zero 0
		.amdhsa_exception_fp_ieee_overflow 0
		.amdhsa_exception_fp_ieee_underflow 0
		.amdhsa_exception_fp_ieee_inexact 0
		.amdhsa_exception_int_div_zero 0
	.end_amdhsa_kernel
	.section	.text._ZL33flash_attn_stream_k_fixup_generalILi128ELi8ELi2EEvPfPK15HIP_vector_typeIfLj2EEiiiiS1_IjLj3EES5_S5_S5_,"axG",@progbits,_ZL33flash_attn_stream_k_fixup_generalILi128ELi8ELi2EEvPfPK15HIP_vector_typeIfLj2EEiiiiS1_IjLj3EES5_S5_S5_,comdat
.Lfunc_end42:
	.size	_ZL33flash_attn_stream_k_fixup_generalILi128ELi8ELi2EEvPfPK15HIP_vector_typeIfLj2EEiiiiS1_IjLj3EES5_S5_S5_, .Lfunc_end42-_ZL33flash_attn_stream_k_fixup_generalILi128ELi8ELi2EEvPfPK15HIP_vector_typeIfLj2EEiiiiS1_IjLj3EES5_S5_S5_
                                        ; -- End function
	.set _ZL33flash_attn_stream_k_fixup_generalILi128ELi8ELi2EEvPfPK15HIP_vector_typeIfLj2EEiiiiS1_IjLj3EES5_S5_S5_.num_vgpr, 18
	.set _ZL33flash_attn_stream_k_fixup_generalILi128ELi8ELi2EEvPfPK15HIP_vector_typeIfLj2EEiiiiS1_IjLj3EES5_S5_S5_.num_agpr, 0
	.set _ZL33flash_attn_stream_k_fixup_generalILi128ELi8ELi2EEvPfPK15HIP_vector_typeIfLj2EEiiiiS1_IjLj3EES5_S5_S5_.numbered_sgpr, 36
	.set _ZL33flash_attn_stream_k_fixup_generalILi128ELi8ELi2EEvPfPK15HIP_vector_typeIfLj2EEiiiiS1_IjLj3EES5_S5_S5_.num_named_barrier, 0
	.set _ZL33flash_attn_stream_k_fixup_generalILi128ELi8ELi2EEvPfPK15HIP_vector_typeIfLj2EEiiiiS1_IjLj3EES5_S5_S5_.private_seg_size, 0
	.set _ZL33flash_attn_stream_k_fixup_generalILi128ELi8ELi2EEvPfPK15HIP_vector_typeIfLj2EEiiiiS1_IjLj3EES5_S5_S5_.uses_vcc, 1
	.set _ZL33flash_attn_stream_k_fixup_generalILi128ELi8ELi2EEvPfPK15HIP_vector_typeIfLj2EEiiiiS1_IjLj3EES5_S5_S5_.uses_flat_scratch, 0
	.set _ZL33flash_attn_stream_k_fixup_generalILi128ELi8ELi2EEvPfPK15HIP_vector_typeIfLj2EEiiiiS1_IjLj3EES5_S5_S5_.has_dyn_sized_stack, 0
	.set _ZL33flash_attn_stream_k_fixup_generalILi128ELi8ELi2EEvPfPK15HIP_vector_typeIfLj2EEiiiiS1_IjLj3EES5_S5_S5_.has_recursion, 0
	.set _ZL33flash_attn_stream_k_fixup_generalILi128ELi8ELi2EEvPfPK15HIP_vector_typeIfLj2EEiiiiS1_IjLj3EES5_S5_S5_.has_indirect_call, 0
	.section	.AMDGPU.csdata,"",@progbits
; Kernel info:
; codeLenInByte = 2940
; TotalNumSgprs: 42
; NumVgprs: 18
; NumAgprs: 0
; TotalNumVgprs: 18
; ScratchSize: 0
; MemoryBound: 0
; FloatMode: 240
; IeeeMode: 1
; LDSByteSize: 0 bytes/workgroup (compile time only)
; SGPRBlocks: 5
; VGPRBlocks: 2
; NumSGPRsForWavesPerEU: 42
; NumVGPRsForWavesPerEU: 18
; AccumOffset: 20
; Occupancy: 8
; WaveLimiterHint : 0
; COMPUTE_PGM_RSRC2:SCRATCH_EN: 0
; COMPUTE_PGM_RSRC2:USER_SGPR: 2
; COMPUTE_PGM_RSRC2:TRAP_HANDLER: 0
; COMPUTE_PGM_RSRC2:TGID_X_EN: 1
; COMPUTE_PGM_RSRC2:TGID_Y_EN: 1
; COMPUTE_PGM_RSRC2:TGID_Z_EN: 1
; COMPUTE_PGM_RSRC2:TIDIG_COMP_CNT: 0
; COMPUTE_PGM_RSRC3_GFX90A:ACCUM_OFFSET: 4
; COMPUTE_PGM_RSRC3_GFX90A:TG_SPLIT: 0
	.section	.text._ZL15flash_attn_tileILi128ELi128ELi4ELi2ELb0EEvPKcS1_S1_S1_S1_PKiPfP15HIP_vector_typeIfLj2EEffffjfiS5_IjLj3EEiiiiiiiiiiiliiliiiiil,"axG",@progbits,_ZL15flash_attn_tileILi128ELi128ELi4ELi2ELb0EEvPKcS1_S1_S1_S1_PKiPfP15HIP_vector_typeIfLj2EEffffjfiS5_IjLj3EEiiiiiiiiiiiliiliiiiil,comdat
	.globl	_ZL15flash_attn_tileILi128ELi128ELi4ELi2ELb0EEvPKcS1_S1_S1_S1_PKiPfP15HIP_vector_typeIfLj2EEffffjfiS5_IjLj3EEiiiiiiiiiiiliiliiiiil ; -- Begin function _ZL15flash_attn_tileILi128ELi128ELi4ELi2ELb0EEvPKcS1_S1_S1_S1_PKiPfP15HIP_vector_typeIfLj2EEffffjfiS5_IjLj3EEiiiiiiiiiiiliiliiiiil
	.p2align	8
	.type	_ZL15flash_attn_tileILi128ELi128ELi4ELi2ELb0EEvPKcS1_S1_S1_S1_PKiPfP15HIP_vector_typeIfLj2EEffffjfiS5_IjLj3EEiiiiiiiiiiiliiliiiiil,@function
_ZL15flash_attn_tileILi128ELi128ELi4ELi2ELb0EEvPKcS1_S1_S1_S1_PKiPfP15HIP_vector_typeIfLj2EEffffjfiS5_IjLj3EEiiiiiiiiiiiliiliiiiil: ; @_ZL15flash_attn_tileILi128ELi128ELi4ELi2ELb0EEvPKcS1_S1_S1_S1_PKiPfP15HIP_vector_typeIfLj2EEffffjfiS5_IjLj3EEiiiiiiiiiiiliiliiiiil
; %bb.0:
	s_load_dwordx4 s[20:23], s[0:1], 0x5c
	s_load_dwordx2 s[24:25], s[0:1], 0x80
	s_load_dwordx2 s[28:29], s[0:1], 0xb8
	s_mov_b64 s[26:27], 0
	s_waitcnt lgkmcnt(0)
	s_lshr_b32 s5, s23, 31
	s_add_i32 s5, s23, s5
	s_ashr_i32 s5, s5, 1
	v_cvt_f32_u32_e32 v1, s5
	s_sub_i32 s6, 0, s5
	v_rcp_iflag_f32_e32 v1, v1
	s_nop 0
	v_mul_f32_e32 v1, 0x4f7ffffe, v1
	v_cvt_u32_f32_e32 v1, v1
	s_nop 0
	v_readfirstlane_b32 s7, v1
	s_mul_i32 s6, s6, s7
	s_mul_hi_u32 s6, s7, s6
	s_add_i32 s7, s7, s6
	s_mul_hi_u32 s6, s4, s7
	s_mul_i32 s7, s6, s5
	s_sub_i32 s7, s4, s7
	s_add_i32 s8, s6, 1
	s_sub_i32 s9, s7, s5
	s_cmp_ge_u32 s7, s5
	s_cselect_b32 s6, s8, s6
	s_cselect_b32 s7, s9, s7
	s_add_i32 s8, s6, 1
	s_cmp_ge_u32 s7, s5
	s_cselect_b32 s30, s8, s6
	s_abs_i32 s5, s25
	v_cvt_f32_u32_e32 v1, s5
	s_lshl_b32 s4, s4, 1
	s_mul_i32 s8, s30, s23
	s_xor_b32 s6, s23, s25
	v_rcp_iflag_f32_e32 v1, v1
	s_sub_i32 s9, 0, s5
	s_sub_i32 s25, s4, s8
	s_abs_i32 s7, s23
	v_mul_f32_e32 v1, 0x4f7ffffe, v1
	v_cvt_u32_f32_e32 v1, v1
	s_ashr_i32 s6, s6, 31
	v_readfirstlane_b32 s4, v1
	s_mul_i32 s9, s9, s4
	s_mul_hi_u32 s8, s4, s9
	s_add_i32 s4, s4, s8
	s_mul_hi_u32 s4, s7, s4
	s_mul_i32 s8, s4, s5
	s_sub_i32 s7, s7, s8
	s_add_i32 s9, s4, 1
	s_sub_i32 s8, s7, s5
	s_cmp_ge_u32 s7, s5
	s_cselect_b32 s4, s9, s4
	s_cselect_b32 s7, s8, s7
	s_add_i32 s8, s4, 1
	s_cmp_ge_u32 s7, s5
	s_cselect_b32 s4, s8, s4
	s_xor_b32 s4, s4, s6
	s_sub_i32 s33, s4, s6
	s_abs_i32 s31, s33
	v_cvt_f32_u32_e32 v1, s31
	s_load_dwordx16 s[4:19], s[0:1], 0x0
	v_rcp_iflag_f32_e32 v1, v1
	s_waitcnt lgkmcnt(0)
	s_cmp_eq_u64 s[10:11], 0
	v_mul_f32_e32 v1, 0x4f7ffffe, v1
	v_cvt_u32_f32_e32 v1, v1
	s_nop 0
	v_readfirstlane_b32 s34, v1
	s_cbranch_scc1 .LBB43_2
; %bb.1:
	s_abs_i32 s28, s28
	v_cvt_f32_u32_e32 v1, s28
	s_sub_i32 s37, 0, s28
	s_abs_i32 s36, s30
	s_ashr_i32 s35, s30, 31
	v_rcp_iflag_f32_e32 v1, v1
	s_load_dwordx2 s[26:27], s[0:1], 0xc8
	v_mul_f32_e32 v1, 0x4f7ffffe, v1
	v_cvt_u32_f32_e32 v1, v1
	s_nop 0
	v_readfirstlane_b32 s38, v1
	s_mul_i32 s37, s37, s38
	s_mul_hi_u32 s37, s38, s37
	s_add_i32 s38, s38, s37
	s_mul_hi_u32 s37, s36, s38
	s_mul_i32 s37, s37, s28
	s_sub_i32 s36, s36, s37
	s_sub_i32 s37, s36, s28
	s_cmp_ge_u32 s36, s28
	s_cselect_b32 s36, s37, s36
	s_sub_i32 s37, s36, s28
	s_cmp_ge_u32 s36, s28
	s_cselect_b32 s28, s37, s36
	s_xor_b32 s28, s28, s35
	s_sub_i32 s28, s28, s35
	s_ashr_i32 s35, s28, 31
	s_waitcnt lgkmcnt(0)
	s_mul_hi_u32 s36, s26, s28
	s_mul_i32 s35, s26, s35
	s_mul_i32 s27, s27, s28
	s_add_i32 s35, s36, s35
	s_add_i32 s35, s35, s27
	s_mul_i32 s26, s26, s28
	s_add_u32 s26, s10, s26
	s_addc_u32 s27, s11, s35
.LBB43_2:
	s_load_dwordx4 s[36:39], s[0:1], 0x70
	v_lshrrev_b32_e32 v1, 10, v0
	v_bfe_u32 v1, v1, 1, 9
	v_lshl_add_u32 v24, s2, 2, v1
	v_mul_hi_u32 v1, s20, v24
	s_waitcnt lgkmcnt(0)
	s_mul_i32 s10, s30, s38
	s_ashr_i32 s28, s10, 31
	s_mul_i32 s11, s25, s37
	s_add_u32 s4, s4, s10
	s_addc_u32 s5, s5, s28
	s_ashr_i32 s10, s11, 31
	s_add_u32 s4, s4, s11
	v_add_u32_e32 v1, v24, v1
	s_addc_u32 s5, s5, s10
	s_ashr_i32 s11, s37, 31
	s_mov_b32 s10, s37
	v_lshrrev_b32_e32 v1, s21, v1
	v_bfe_u32 v3, v0, 10, 1
	s_lshr_b64 s[38:39], s[10:11], 2
	s_lshr_b32 s10, s11, 2
	v_mul_lo_u32 v1, v1, s22
	s_ashr_i32 s37, s36, 31
	v_mul_lo_u32 v5, s10, v3
	v_sub_u32_e32 v12, v24, v1
	s_lshr_b64 s[10:11], s[36:37], 2
	v_mad_u64_u32 v[6:7], s[10:11], s10, v12, 0
	v_mov_b32_e32 v2, v7
	s_lshr_b32 s10, s37, 2
	v_mul_lo_u32 v4, s38, v3
	v_mad_u64_u32 v[8:9], s[10:11], s10, v12, v[2:3]
	v_mov_b32_e32 v7, v8
	v_and_b32_e32 v2, 0x3ff, v0
	v_lshl_add_u64 v[4:5], v[4:5], 2, s[4:5]
	v_lshl_add_u64 v[4:5], v[6:7], 2, v[4:5]
	v_lshlrev_b32_e32 v6, 4, v2
	v_mov_b32_e32 v7, 0
	v_lshl_add_u64 v[4:5], v[4:5], 0, v[6:7]
	global_load_dwordx4 v[4:7], v[4:5], off
	s_load_dword s4, s[0:1], 0x40
	v_bfe_u32 v0, v0, 10, 10
	v_mov_b32_e32 v1, 0x4400
	v_lshlrev_b32_e32 v26, 3, v2
	v_lshl_add_u32 v27, v0, 8, v1
	v_add_u32_e32 v1, v27, v26
	s_cmp_eq_u64 s[14:15], 0
	s_waitcnt vmcnt(0) lgkmcnt(0)
	v_fma_mixlo_f16 v8, s4, v4, 0
	v_mov_b32_e32 v4, v7
	v_pk_mul_f32 v[4:5], s[4:5], v[4:5] op_sel_hi:[0,1]
	v_cvt_pk_f16_f32 v4, v4, v5
	v_fma_mixlo_f16 v6, s4, v6, 0
	v_and_b32_e32 v7, 0xffff, v8
	v_lshlrev_b32_e32 v5, 16, v4
	v_and_b32_e32 v4, 0xffff0000, v4
	v_and_b32_e32 v6, 0xffff, v6
	v_or_b32_e32 v4, v4, v7
	v_or3_b32 v5, v5, v6, 0
	v_or3_b32 v4, 0, 0, v4
	ds_write_b64 v1, v[4:5]
	s_waitcnt lgkmcnt(0)
	s_barrier
	s_cbranch_scc1 .LBB43_4
; %bb.3:
	s_load_dword s4, s[0:1], 0xd0
	s_mov_b32 s5, 0
	s_waitcnt lgkmcnt(0)
	s_mul_i32 s4, s4, s30
	s_add_i32 s4, s4, s2
	s_lshl_b64 s[4:5], s[4:5], 2
	s_add_u32 s4, s14, s4
	s_addc_u32 s5, s15, s5
	s_load_dword s24, s[4:5], 0x0
.LBB43_4:
	s_lshl_b32 s2, s3, 6
	s_waitcnt lgkmcnt(0)
	s_cmp_lt_i32 s2, s24
	v_mbcnt_lo_u32_b32 v23, -1, 0
	s_cbranch_scc1 .LBB43_7
; %bb.5:
	v_mbcnt_hi_u32_b32 v13, -1, v23
	v_and_b32_e32 v1, 0x60, v13
	v_add_u32_e32 v28, 32, v1
	v_xor_b32_e32 v33, 16, v13
	v_xor_b32_e32 v32, 8, v13
	;; [unrolled: 1-line block ×5, first 2 shown]
	v_lshlrev_b32_e32 v25, 2, v2
	s_cbranch_execz .LBB43_8
; %bb.6:
	v_mov_b32_e32 v46, 0
	v_mov_b32_e32 v23, 0
	;; [unrolled: 1-line block ×4, first 2 shown]
	s_branch .LBB43_10
.LBB43_7:
                                        ; implicit-def: $vgpr13
                                        ; implicit-def: $vgpr28
                                        ; implicit-def: $vgpr33
                                        ; implicit-def: $vgpr32
                                        ; implicit-def: $vgpr31
                                        ; implicit-def: $vgpr30
                                        ; implicit-def: $vgpr29
	v_lshlrev_b32_e32 v25, 2, v2
.LBB43_8:
	s_sub_i32 s4, 0, s31
	s_mul_i32 s4, s4, s34
	s_mul_hi_u32 s4, s34, s4
	s_add_i32 s34, s34, s4
	s_load_dwordx2 s[4:5], s[0:1], 0x8c
	s_load_dwordx4 s[36:39], s[0:1], 0x98
	s_abs_i32 s20, s25
	s_mul_hi_u32 s21, s20, s34
	s_ashr_i32 s34, s29, 1
	s_waitcnt lgkmcnt(0)
	s_ashr_i32 s15, s4, 2
	s_ashr_i32 s4, s30, 31
	s_mul_hi_u32 s29, s36, s30
	s_mul_i32 s35, s36, s4
	s_add_i32 s29, s29, s35
	s_mul_i32 s35, s37, s30
	s_ashr_i32 s28, s25, 31
	s_ashr_i32 s33, s33, 31
	;; [unrolled: 1-line block ×3, first 2 shown]
	s_add_i32 s29, s29, s35
	s_mul_i32 s35, s36, s30
	s_add_u32 s6, s6, s35
	s_addc_u32 s7, s7, s29
	s_mul_i32 s29, s21, s31
	s_sub_i32 s20, s20, s29
	s_xor_b32 s28, s28, s33
	s_add_i32 s29, s21, 1
	s_sub_i32 s33, s20, s31
	s_cmp_ge_u32 s20, s31
	s_cselect_b32 s21, s29, s21
	s_cselect_b32 s20, s33, s20
	s_add_i32 s29, s21, 1
	s_cmp_ge_u32 s20, s31
	s_load_dwordx2 s[10:11], s[0:1], 0xa8
	s_cselect_b32 s20, s29, s21
	s_xor_b32 s20, s20, s28
	s_sub_i32 s28, s20, s28
	s_mul_i32 s5, s28, s5
	s_ashr_i32 s21, s5, 31
	s_add_u32 s20, s6, s5
	s_waitcnt lgkmcnt(0)
	s_mul_hi_u32 s5, s10, s30
	s_mul_i32 s4, s10, s4
	s_addc_u32 s21, s7, s21
	s_add_i32 s4, s5, s4
	s_mul_i32 s5, s11, s30
	s_add_i32 s4, s4, s5
	s_mul_i32 s5, s10, s30
	s_add_u32 s5, s8, s5
	s_mul_i32 s28, s28, s39
	s_addc_u32 s4, s9, s4
	s_ashr_i32 s6, s28, 31
	s_add_u32 s28, s5, s28
	v_lshrrev_b32_e32 v1, 4, v2
	v_and_b32_e32 v28, 60, v25
	s_addc_u32 s29, s4, s6
	v_lshl_add_u32 v14, v0, 1, v1
	v_lshlrev_b32_e32 v15, 2, v28
	s_movk_i32 s4, 0x110
	v_mad_u32_u24 v34, v14, s4, v15
	v_mul_lo_u32 v4, s15, v14
	s_lshl_b32 s4, s15, 4
	v_add_u32_e32 v6, s4, v4
	v_add_u32_e32 v8, s4, v6
	;; [unrolled: 1-line block ×3, first 2 shown]
	v_mad_u64_u32 v[12:13], s[4:5], v12, s34, v[2:3]
	v_lshl_or_b32 v41, v14, 8, v15
	v_mul_lo_u32 v14, s14, v14
	s_lshl_b32 s4, s14, 4
	v_mov_b32_e32 v13, 0x4c00
	v_add_u32_e32 v16, s4, v14
	v_lshl_add_u32 v39, v0, 7, v13
	v_add_u32_e32 v18, s4, v16
	v_mbcnt_hi_u32_b32 v13, -1, v23
	v_mov_b32_e32 v1, 0
	v_add_u32_e32 v20, s4, v18
	s_add_u32 s6, s0, 0xd0
	v_and_b32_e32 v23, 0x60, v13
	v_ashrrev_i32_e32 v5, 31, v4
	v_add_u32_e32 v35, 0x1100, v34
	v_ashrrev_i32_e32 v7, 31, v6
	v_add_u32_e32 v36, 0x2200, v34
	;; [unrolled: 2-line block ×3, first 2 shown]
	v_ashrrev_i32_e32 v11, 31, v10
	v_mul_u32_u24_e32 v38, 0x110, v2
	v_lshl_add_u32 v40, v2, 1, v39
	v_ashrrev_i32_e32 v15, 31, v14
	v_add_u32_e32 v42, 0x1000, v41
	v_ashrrev_i32_e32 v17, 31, v16
	v_add_u32_e32 v43, 0x2000, v41
	v_ashrrev_i32_e32 v19, 31, v18
	v_add_u32_e32 v44, 0x3000, v41
	v_ashrrev_i32_e32 v21, 31, v20
	s_addc_u32 s7, s1, 0
	v_mov_b32_e32 v22, 0xfeffffff
	v_lshlrev_b32_e32 v0, 2, v28
	v_add_u32_e32 v28, 32, v23
	v_xor_b32_e32 v33, 16, v13
	v_xor_b32_e32 v32, 8, v13
	;; [unrolled: 1-line block ×5, first 2 shown]
	s_mov_b32 s31, 0x3fb8aa3b
	s_mov_b32 s33, 0xc2ce8ed0
	;; [unrolled: 1-line block ×3, first 2 shown]
	v_mov_b32_e32 v45, 0x7f800000
	s_mov_b32 s35, 0x10001
	v_add_u32_e32 v47, 0x800, v26
	v_add_u32_e32 v48, 0x1000, v26
	;; [unrolled: 1-line block ×7, first 2 shown]
	v_mov_b32_e32 v54, v1
	v_mov_b32_e32 v46, v1
	;; [unrolled: 1-line block ×3, first 2 shown]
.LBB43_9:                               ; =>This Inner Loop Header: Depth=1
	s_mul_hi_i32 s11, s2, s15
	s_mul_i32 s10, s2, s15
	s_lshl_b64 s[10:11], s[10:11], 2
	s_add_u32 s10, s20, s10
	s_addc_u32 s11, s21, s11
	v_lshl_add_u64 v[58:59], v[4:5], 2, s[10:11]
	v_lshl_add_u64 v[60:61], v[6:7], 2, s[10:11]
	v_lshl_add_u64 v[62:63], v[8:9], 2, s[10:11]
	v_lshl_add_u64 v[64:65], v[10:11], 2, s[10:11]
	v_lshl_add_u64 v[66:67], v[58:59], 0, v[0:1]
	v_lshl_add_u64 v[68:69], v[60:61], 0, v[0:1]
	v_lshl_add_u64 v[70:71], v[62:63], 0, v[0:1]
	v_lshl_add_u64 v[72:73], v[64:65], 0, v[0:1]
	global_load_dwordx4 v[58:61], v[66:67], off
	global_load_dwordx4 v[62:65], v[68:69], off
	v_mov_b32_e32 v55, 0
	v_mov_b32_e32 v56, 0
	;; [unrolled: 1-line block ×3, first 2 shown]
	v_add_u32_e32 v22, s2, v12
	v_cmp_lt_i32_e32 vcc, v33, v28
	v_cmp_lt_i32_e64 s[4:5], v29, v28
	s_mul_hi_i32 s9, s2, s14
	s_mul_i32 s8, s2, s14
	s_waitcnt vmcnt(1)
	ds_write_b128 v34, v[58:61]
	global_load_dwordx4 v[58:61], v[70:71], off
	global_load_dwordx4 v[66:69], v[72:73], off
	v_mov_b32_e32 v72, v23
	v_ashrrev_i32_e32 v23, 31, v22
	v_lshl_add_u64 v[22:23], v[22:23], 1, s[26:27]
	s_waitcnt vmcnt(2)
	ds_write_b128 v35, v[62:65]
	s_waitcnt vmcnt(1)
	ds_write_b128 v36, v[58:61]
	;; [unrolled: 2-line block ×3, first 2 shown]
	s_waitcnt lgkmcnt(0)
	s_barrier
	ds_read_b128 v[58:61], v38
	ds_read_b128 v[62:65], v27
	ds_read_b128 v[66:69], v38 offset:8704
	s_waitcnt lgkmcnt(1)
	;;#ASMSTART
	v_dot2_f32_f16 v55, v58, v62, v55
	;;#ASMEND
	s_nop 0
	;;#ASMSTART
	v_dot2_f32_f16 v55, v59, v63, v55
	;;#ASMEND
	s_nop 0
	;;#ASMSTART
	v_dot2_f32_f16 v55, v60, v64, v55
	;;#ASMEND
	s_nop 0
	;;#ASMSTART
	v_dot2_f32_f16 v55, v61, v65, v55
	;;#ASMEND
	s_waitcnt lgkmcnt(0)
	;;#ASMSTART
	v_dot2_f32_f16 v56, v66, v62, v56
	;;#ASMEND
	s_nop 0
	;;#ASMSTART
	v_dot2_f32_f16 v56, v67, v63, v56
	;;#ASMEND
	s_nop 0
	;;#ASMSTART
	v_dot2_f32_f16 v56, v68, v64, v56
	;;#ASMEND
	s_nop 0
	;;#ASMSTART
	v_dot2_f32_f16 v56, v69, v65, v56
	;;#ASMEND
	ds_read_b128 v[58:61], v38 offset:16
	ds_read_b128 v[62:65], v27 offset:16
	ds_read_b128 v[66:69], v38 offset:8720
	s_waitcnt lgkmcnt(1)
	;;#ASMSTART
	v_dot2_f32_f16 v55, v58, v62, v55
	;;#ASMEND
	s_nop 0
	;;#ASMSTART
	v_dot2_f32_f16 v55, v59, v63, v55
	;;#ASMEND
	s_nop 0
	;;#ASMSTART
	v_dot2_f32_f16 v55, v60, v64, v55
	;;#ASMEND
	s_nop 0
	;;#ASMSTART
	v_dot2_f32_f16 v55, v61, v65, v55
	;;#ASMEND
	s_waitcnt lgkmcnt(0)
	;;#ASMSTART
	v_dot2_f32_f16 v56, v66, v62, v56
	;;#ASMEND
	s_nop 0
	;;#ASMSTART
	v_dot2_f32_f16 v56, v67, v63, v56
	;;#ASMEND
	s_nop 0
	;;#ASMSTART
	v_dot2_f32_f16 v56, v68, v64, v56
	;;#ASMEND
	s_nop 0
	;;#ASMSTART
	v_dot2_f32_f16 v56, v69, v65, v56
	;;#ASMEND
	ds_read_b128 v[58:61], v38 offset:32
	ds_read_b128 v[62:65], v27 offset:32
	;; [unrolled: 35-line block ×15, first 2 shown]
	ds_read_b128 v[66:69], v38 offset:8944
	s_waitcnt lgkmcnt(1)
	;;#ASMSTART
	v_dot2_f32_f16 v55, v58, v62, v55
	;;#ASMEND
	s_nop 0
	;;#ASMSTART
	v_dot2_f32_f16 v55, v59, v63, v55
	;;#ASMEND
	v_cndmask_b32_e32 v58, v13, v33, vcc
	;;#ASMSTART
	v_dot2_f32_f16 v55, v60, v64, v55
	;;#ASMEND
	v_cmp_lt_i32_e32 vcc, v32, v28
	;;#ASMSTART
	v_dot2_f32_f16 v55, v61, v65, v55
	;;#ASMEND
	s_waitcnt lgkmcnt(0)
	;;#ASMSTART
	v_dot2_f32_f16 v56, v66, v62, v56
	;;#ASMEND
	v_cndmask_b32_e64 v62, v13, v29, s[4:5]
	;;#ASMSTART
	v_dot2_f32_f16 v56, v67, v63, v56
	;;#ASMEND
	s_lshl_b64 s[4:5], s[8:9], 2
	;;#ASMSTART
	v_dot2_f32_f16 v56, v68, v64, v56
	;;#ASMEND
	v_lshlrev_b32_e32 v64, 2, v58
	;;#ASMSTART
	v_dot2_f32_f16 v56, v69, v65, v56
	;;#ASMEND
	global_load_ushort v69, v[22:23], off
	global_load_ushort v70, v[22:23], off offset:64
	v_cndmask_b32_e32 v59, v13, v32, vcc
	v_lshlrev_b32_e32 v65, 2, v59
	v_cmp_lt_i32_e32 vcc, v31, v28
	v_lshlrev_b32_e32 v68, 2, v62
	s_add_u32 s4, s28, s4
	v_cndmask_b32_e32 v60, v13, v31, vcc
	v_lshlrev_b32_e32 v66, 2, v60
	v_cmp_lt_i32_e32 vcc, v30, v28
	s_addc_u32 s5, s29, s5
	v_lshl_add_u64 v[62:63], v[18:19], 2, s[4:5]
	v_cndmask_b32_e32 v61, v13, v30, vcc
	v_lshlrev_b32_e32 v67, 2, v61
	v_lshl_add_u64 v[60:61], v[16:17], 2, s[4:5]
	v_lshl_add_u64 v[58:59], v[14:15], 2, s[4:5]
	;; [unrolled: 1-line block ×3, first 2 shown]
	s_barrier
	s_waitcnt vmcnt(1)
	v_cvt_f32_f16_e32 v22, v69
	s_waitcnt vmcnt(0)
	v_cvt_f32_f16_e32 v23, v70
	v_add_f32_e32 v55, v55, v22
	v_add_f32_e32 v23, v56, v23
	;; [unrolled: 1-line block ×4, first 2 shown]
	v_max3_f32 v22, v57, v22, v56
	ds_bpermute_b32 v56, v64, v22
	s_waitcnt lgkmcnt(0)
	v_max_f32_e32 v56, v56, v56
	v_max_f32_e32 v22, v22, v56
	ds_bpermute_b32 v56, v65, v22
	s_waitcnt lgkmcnt(0)
	v_max_f32_e32 v56, v56, v56
	v_max_f32_e32 v22, v22, v56
	;; [unrolled: 4-line block ×4, first 2 shown]
	ds_bpermute_b32 v56, v68, v22
	v_lshl_add_u64 v[68:69], v[62:63], 0, v[0:1]
	s_waitcnt lgkmcnt(0)
	v_max_f32_e32 v56, v56, v56
	v_max_f32_e32 v22, v22, v56
	v_sub_f32_e32 v55, v55, v22
	v_sub_f32_e32 v23, v23, v22
	v_mul_f32_e32 v56, 0x3fb8aa3b, v55
	v_mul_f32_e32 v64, 0x3fb8aa3b, v23
	v_fma_f32 v65, v55, s31, -v56
	v_fma_f32 v66, v23, s31, -v64
	v_rndne_f32_e32 v73, v56
	v_rndne_f32_e32 v74, v64
	v_fmac_f32_e32 v65, 0x32a5705f, v55
	v_fmac_f32_e32 v66, 0x32a5705f, v23
	v_sub_f32_e32 v56, v56, v73
	v_sub_f32_e32 v64, v64, v74
	v_add_f32_e32 v56, v56, v65
	v_add_f32_e32 v75, v64, v66
	v_lshl_add_u64 v[66:67], v[60:61], 0, v[0:1]
	v_cvt_i32_f32_e32 v60, v73
	v_cvt_i32_f32_e32 v61, v74
	v_exp_f32_e32 v56, v56
	v_exp_f32_e32 v62, v75
	v_lshl_add_u64 v[64:65], v[20:21], 2, s[4:5]
	v_cmp_ngt_f32_e32 vcc, s33, v55
	v_ldexp_f32 v56, v56, v60
	v_ldexp_f32 v62, v62, v61
	global_load_dwordx4 v[58:61], v[58:59], off
	v_cmp_ngt_f32_e64 s[4:5], s33, v23
	v_lshl_add_u64 v[70:71], v[64:65], 0, v[0:1]
	s_nop 0
	v_cndmask_b32_e64 v62, 0, v62, s[4:5]
	v_cmp_nlt_f32_e64 s[4:5], s34, v23
	v_cndmask_b32_e32 v23, 0, v56, vcc
	v_cmp_nlt_f32_e32 vcc, s34, v55
	v_cndmask_b32_e64 v55, v45, v62, s[4:5]
	v_cvt_f16_f32_e32 v62, v55
	v_cndmask_b32_e32 v23, v45, v23, vcc
	v_cvt_f16_f32_e32 v56, v23
	ds_write_b16 v40, v56
	ds_write_b16 v40, v62 offset:64
	global_load_dwordx4 v[62:65], v[66:67], off
	v_sub_f32_e32 v66, v57, v22
	v_mul_f32_e32 v56, 0x3fb8aa3b, v66
	v_fma_f32 v57, v66, s31, -v56
	v_fmac_f32_e32 v57, 0x32a5705f, v66
	v_cmp_ngt_f32_e32 vcc, s33, v66
	v_add_f32_e32 v23, v23, v55
	s_waitcnt vmcnt(1)
	ds_write_b128 v41, v[58:61]
	v_rndne_f32_e32 v60, v56
	v_sub_f32_e32 v56, v56, v60
	v_add_f32_e32 v61, v56, v57
	v_cvt_i32_f32_e32 v60, v60
	v_exp_f32_e32 v61, v61
	global_load_dwordx4 v[56:59], v[68:69], off
	v_ldexp_f32 v60, v61, v60
	v_cndmask_b32_e32 v60, 0, v60, vcc
	v_cmp_nlt_f32_e32 vcc, s34, v66
	global_load_dwordx4 v[66:69], v[70:71], off
	s_waitcnt vmcnt(2)
	ds_write_b128 v42, v[62:65]
	s_waitcnt vmcnt(1)
	ds_write_b128 v43, v[56:59]
	;; [unrolled: 2-line block ×3, first 2 shown]
	v_cndmask_b32_e32 v60, v45, v60, vcc
	v_cvt_f16_f32_e32 v55, v60
	v_fmac_f32_e32 v23, v72, v60
	s_waitcnt lgkmcnt(0)
	s_barrier
	ds_read_b128 v[56:59], v39
	ds_read2_b64 v[60:63], v26 offset1:32
	v_mul_u32_u24_e32 v55, 0x10001, v55
	ds_read_b128 v[64:67], v39 offset:16
	s_waitcnt lgkmcnt(2)
	v_mul_u32_u24_sdwa v68, v56, s35 dst_sel:DWORD dst_unused:UNUSED_PAD src0_sel:WORD_0 src1_sel:DWORD
	s_waitcnt lgkmcnt(1)
	v_pk_mul_f16 v60, v60, v68
	v_mul_u32_u24_sdwa v56, v56, s35 dst_sel:DWORD dst_unused:UNUSED_PAD src0_sel:WORD_1 src1_sel:DWORD
	v_pk_fma_f16 v54, v54, v55, v60
	v_pk_mul_f16 v60, v61, v68
	v_pk_fma_f16 v54, v62, v56, v54
	v_pk_fma_f16 v46, v46, v55, v60
	v_mul_u32_u24_sdwa v55, v57, s35 dst_sel:DWORD dst_unused:UNUSED_PAD src0_sel:WORD_0 src1_sel:DWORD
	v_pk_fma_f16 v46, v63, v56, v46
	ds_read2_b64 v[60:63], v26 offset0:64 offset1:96
	v_mul_u32_u24_sdwa v56, v57, s35 dst_sel:DWORD dst_unused:UNUSED_PAD src0_sel:WORD_1 src1_sel:DWORD
	v_mul_u32_u24_sdwa v68, v59, s35 dst_sel:DWORD dst_unused:UNUSED_PAD src0_sel:WORD_1 src1_sel:DWORD
	s_waitcnt lgkmcnt(0)
	v_pk_fma_f16 v54, v60, v55, v54
	v_pk_fma_f16 v46, v61, v55, v46
	;; [unrolled: 1-line block ×4, first 2 shown]
	ds_read2_b64 v[54:57], v26 offset0:128 offset1:160
	v_mul_u32_u24_sdwa v61, v58, s35 dst_sel:DWORD dst_unused:UNUSED_PAD src0_sel:WORD_0 src1_sel:DWORD
	v_mul_u32_u24_sdwa v62, v58, s35 dst_sel:DWORD dst_unused:UNUSED_PAD src0_sel:WORD_1 src1_sel:DWORD
	v_mul_u32_u24_sdwa v63, v59, s35 dst_sel:DWORD dst_unused:UNUSED_PAD src0_sel:WORD_0 src1_sel:DWORD
	s_waitcnt lgkmcnt(0)
	v_pk_fma_f16 v54, v54, v61, v60
	v_pk_fma_f16 v46, v55, v61, v46
	ds_read2_b64 v[58:61], v26 offset0:192 offset1:224
	v_pk_fma_f16 v69, v56, v62, v54
	v_pk_fma_f16 v46, v57, v62, v46
	ds_read2_b64 v[54:57], v47 offset1:32
	s_waitcnt lgkmcnt(1)
	v_pk_fma_f16 v58, v58, v63, v69
	v_pk_fma_f16 v46, v59, v63, v46
	v_pk_fma_f16 v62, v60, v68, v58
	v_pk_fma_f16 v46, v61, v68, v46
	ds_read2_b64 v[58:61], v47 offset0:64 offset1:96
	v_mul_u32_u24_sdwa v63, v64, s35 dst_sel:DWORD dst_unused:UNUSED_PAD src0_sel:WORD_0 src1_sel:DWORD
	v_mul_u32_u24_sdwa v64, v64, s35 dst_sel:DWORD dst_unused:UNUSED_PAD src0_sel:WORD_1 src1_sel:DWORD
	s_waitcnt lgkmcnt(1)
	v_pk_fma_f16 v54, v54, v63, v62
	v_pk_fma_f16 v46, v55, v63, v46
	v_pk_fma_f16 v62, v56, v64, v54
	v_pk_fma_f16 v46, v57, v64, v46
	ds_read2_b64 v[54:57], v47 offset0:128 offset1:160
	v_mul_u32_u24_sdwa v63, v65, s35 dst_sel:DWORD dst_unused:UNUSED_PAD src0_sel:WORD_0 src1_sel:DWORD
	v_mul_u32_u24_sdwa v64, v65, s35 dst_sel:DWORD dst_unused:UNUSED_PAD src0_sel:WORD_1 src1_sel:DWORD
	;; [unrolled: 8-line block ×3, first 2 shown]
	s_waitcnt lgkmcnt(1)
	v_pk_fma_f16 v54, v54, v63, v62
	v_pk_fma_f16 v46, v55, v63, v46
	ds_read_b128 v[62:65], v39 offset:32
	v_pk_fma_f16 v69, v56, v66, v54
	v_pk_fma_f16 v46, v57, v66, v46
	ds_read2_b64 v[54:57], v48 offset1:32
	v_mul_u32_u24_sdwa v68, v67, s35 dst_sel:DWORD dst_unused:UNUSED_PAD src0_sel:WORD_0 src1_sel:DWORD
	v_mul_u32_u24_sdwa v67, v67, s35 dst_sel:DWORD dst_unused:UNUSED_PAD src0_sel:WORD_1 src1_sel:DWORD
	s_waitcnt lgkmcnt(2)
	v_pk_fma_f16 v58, v58, v68, v69
	v_pk_fma_f16 v46, v59, v68, v46
	;; [unrolled: 1-line block ×4, first 2 shown]
	ds_read_b128 v[58:61], v39 offset:48
	s_waitcnt lgkmcnt(2)
	v_mul_u32_u24_sdwa v67, v62, s35 dst_sel:DWORD dst_unused:UNUSED_PAD src0_sel:WORD_0 src1_sel:DWORD
	v_mul_u32_u24_sdwa v62, v62, s35 dst_sel:DWORD dst_unused:UNUSED_PAD src0_sel:WORD_1 src1_sel:DWORD
	s_waitcnt lgkmcnt(1)
	v_pk_fma_f16 v54, v54, v67, v66
	v_pk_fma_f16 v46, v55, v67, v46
	;; [unrolled: 1-line block ×4, first 2 shown]
	ds_read2_b64 v[54:57], v48 offset0:64 offset1:96
	v_mul_u32_u24_sdwa v62, v63, s35 dst_sel:DWORD dst_unused:UNUSED_PAD src0_sel:WORD_0 src1_sel:DWORD
	v_mul_u32_u24_sdwa v63, v63, s35 dst_sel:DWORD dst_unused:UNUSED_PAD src0_sel:WORD_1 src1_sel:DWORD
	v_mul_u32_u24_sdwa v67, v65, s35 dst_sel:DWORD dst_unused:UNUSED_PAD src0_sel:WORD_0 src1_sel:DWORD
	v_mul_u32_u24_sdwa v68, v65, s35 dst_sel:DWORD dst_unused:UNUSED_PAD src0_sel:WORD_1 src1_sel:DWORD
	s_waitcnt lgkmcnt(0)
	v_pk_fma_f16 v54, v54, v62, v66
	v_pk_fma_f16 v46, v55, v62, v46
	;; [unrolled: 1-line block ×4, first 2 shown]
	ds_read2_b64 v[54:57], v48 offset0:128 offset1:160
	v_mul_u32_u24_sdwa v63, v64, s35 dst_sel:DWORD dst_unused:UNUSED_PAD src0_sel:WORD_0 src1_sel:DWORD
	v_mul_u32_u24_sdwa v66, v64, s35 dst_sel:DWORD dst_unused:UNUSED_PAD src0_sel:WORD_1 src1_sel:DWORD
	s_waitcnt lgkmcnt(0)
	v_pk_fma_f16 v54, v54, v63, v62
	v_pk_fma_f16 v46, v55, v63, v46
	ds_read2_b64 v[62:65], v48 offset0:192 offset1:224
	v_pk_fma_f16 v69, v56, v66, v54
	v_pk_fma_f16 v46, v57, v66, v46
	ds_read2_b64 v[54:57], v49 offset1:32
	s_waitcnt lgkmcnt(1)
	v_pk_fma_f16 v62, v62, v67, v69
	v_pk_fma_f16 v46, v63, v67, v46
	v_pk_fma_f16 v66, v64, v68, v62
	v_pk_fma_f16 v46, v65, v68, v46
	ds_read2_b64 v[62:65], v49 offset0:64 offset1:96
	v_mul_u32_u24_sdwa v67, v58, s35 dst_sel:DWORD dst_unused:UNUSED_PAD src0_sel:WORD_0 src1_sel:DWORD
	v_mul_u32_u24_sdwa v58, v58, s35 dst_sel:DWORD dst_unused:UNUSED_PAD src0_sel:WORD_1 src1_sel:DWORD
	s_waitcnt lgkmcnt(1)
	v_pk_fma_f16 v54, v54, v67, v66
	v_pk_fma_f16 v46, v55, v67, v46
	v_pk_fma_f16 v66, v56, v58, v54
	v_pk_fma_f16 v46, v57, v58, v46
	ds_read2_b64 v[54:57], v49 offset0:128 offset1:160
	v_mul_u32_u24_sdwa v58, v59, s35 dst_sel:DWORD dst_unused:UNUSED_PAD src0_sel:WORD_0 src1_sel:DWORD
	v_mul_u32_u24_sdwa v59, v59, s35 dst_sel:DWORD dst_unused:UNUSED_PAD src0_sel:WORD_1 src1_sel:DWORD
	;; [unrolled: 8-line block ×3, first 2 shown]
	v_mul_u32_u24_sdwa v67, v61, s35 dst_sel:DWORD dst_unused:UNUSED_PAD src0_sel:WORD_0 src1_sel:DWORD
	v_mul_u32_u24_sdwa v68, v61, s35 dst_sel:DWORD dst_unused:UNUSED_PAD src0_sel:WORD_1 src1_sel:DWORD
	s_waitcnt lgkmcnt(1)
	v_pk_fma_f16 v54, v54, v59, v58
	v_pk_fma_f16 v46, v55, v59, v46
	ds_read_b128 v[58:61], v39 offset:64
	v_pk_fma_f16 v69, v56, v66, v54
	v_pk_fma_f16 v46, v57, v66, v46
	ds_read2_b64 v[54:57], v50 offset1:32
	s_waitcnt lgkmcnt(2)
	v_pk_fma_f16 v62, v62, v67, v69
	v_pk_fma_f16 v46, v63, v67, v46
	;; [unrolled: 1-line block ×4, first 2 shown]
	ds_read_b128 v[62:65], v39 offset:80
	s_waitcnt lgkmcnt(2)
	v_mul_u32_u24_sdwa v67, v58, s35 dst_sel:DWORD dst_unused:UNUSED_PAD src0_sel:WORD_0 src1_sel:DWORD
	v_mul_u32_u24_sdwa v58, v58, s35 dst_sel:DWORD dst_unused:UNUSED_PAD src0_sel:WORD_1 src1_sel:DWORD
	s_waitcnt lgkmcnt(1)
	v_pk_fma_f16 v54, v54, v67, v66
	v_pk_fma_f16 v46, v55, v67, v46
	v_pk_fma_f16 v66, v56, v58, v54
	v_pk_fma_f16 v46, v57, v58, v46
	ds_read2_b64 v[54:57], v50 offset0:64 offset1:96
	v_mul_u32_u24_sdwa v58, v59, s35 dst_sel:DWORD dst_unused:UNUSED_PAD src0_sel:WORD_0 src1_sel:DWORD
	v_mul_u32_u24_sdwa v59, v59, s35 dst_sel:DWORD dst_unused:UNUSED_PAD src0_sel:WORD_1 src1_sel:DWORD
	v_mul_u32_u24_sdwa v67, v61, s35 dst_sel:DWORD dst_unused:UNUSED_PAD src0_sel:WORD_0 src1_sel:DWORD
	v_mul_u32_u24_sdwa v68, v61, s35 dst_sel:DWORD dst_unused:UNUSED_PAD src0_sel:WORD_1 src1_sel:DWORD
	s_waitcnt lgkmcnt(0)
	v_pk_fma_f16 v54, v54, v58, v66
	v_pk_fma_f16 v46, v55, v58, v46
	;; [unrolled: 1-line block ×4, first 2 shown]
	ds_read2_b64 v[54:57], v50 offset0:128 offset1:160
	v_mul_u32_u24_sdwa v59, v60, s35 dst_sel:DWORD dst_unused:UNUSED_PAD src0_sel:WORD_0 src1_sel:DWORD
	v_mul_u32_u24_sdwa v66, v60, s35 dst_sel:DWORD dst_unused:UNUSED_PAD src0_sel:WORD_1 src1_sel:DWORD
	s_waitcnt lgkmcnt(0)
	v_pk_fma_f16 v54, v54, v59, v58
	v_pk_fma_f16 v46, v55, v59, v46
	ds_read2_b64 v[58:61], v50 offset0:192 offset1:224
	v_pk_fma_f16 v69, v56, v66, v54
	v_pk_fma_f16 v46, v57, v66, v46
	ds_read2_b64 v[54:57], v51 offset1:32
	s_waitcnt lgkmcnt(1)
	v_pk_fma_f16 v58, v58, v67, v69
	v_pk_fma_f16 v46, v59, v67, v46
	v_pk_fma_f16 v66, v60, v68, v58
	v_pk_fma_f16 v46, v61, v68, v46
	ds_read2_b64 v[58:61], v51 offset0:64 offset1:96
	v_mul_u32_u24_sdwa v67, v62, s35 dst_sel:DWORD dst_unused:UNUSED_PAD src0_sel:WORD_0 src1_sel:DWORD
	v_mul_u32_u24_sdwa v62, v62, s35 dst_sel:DWORD dst_unused:UNUSED_PAD src0_sel:WORD_1 src1_sel:DWORD
	s_waitcnt lgkmcnt(1)
	v_pk_fma_f16 v54, v54, v67, v66
	v_pk_fma_f16 v46, v55, v67, v46
	v_pk_fma_f16 v66, v56, v62, v54
	v_pk_fma_f16 v46, v57, v62, v46
	ds_read2_b64 v[54:57], v51 offset0:128 offset1:160
	v_mul_u32_u24_sdwa v62, v63, s35 dst_sel:DWORD dst_unused:UNUSED_PAD src0_sel:WORD_0 src1_sel:DWORD
	v_mul_u32_u24_sdwa v63, v63, s35 dst_sel:DWORD dst_unused:UNUSED_PAD src0_sel:WORD_1 src1_sel:DWORD
	;; [unrolled: 8-line block ×3, first 2 shown]
	v_mul_u32_u24_sdwa v67, v65, s35 dst_sel:DWORD dst_unused:UNUSED_PAD src0_sel:WORD_0 src1_sel:DWORD
	v_mul_u32_u24_sdwa v68, v65, s35 dst_sel:DWORD dst_unused:UNUSED_PAD src0_sel:WORD_1 src1_sel:DWORD
	s_waitcnt lgkmcnt(1)
	v_pk_fma_f16 v54, v54, v63, v62
	v_pk_fma_f16 v46, v55, v63, v46
	ds_read_b128 v[62:65], v39 offset:96
	v_pk_fma_f16 v69, v56, v66, v54
	v_pk_fma_f16 v46, v57, v66, v46
	ds_read2_b64 v[54:57], v52 offset1:32
	s_waitcnt lgkmcnt(2)
	v_pk_fma_f16 v58, v58, v67, v69
	v_pk_fma_f16 v46, v59, v67, v46
	;; [unrolled: 1-line block ×4, first 2 shown]
	ds_read_b128 v[58:61], v39 offset:112
	s_waitcnt lgkmcnt(2)
	v_mul_u32_u24_sdwa v67, v62, s35 dst_sel:DWORD dst_unused:UNUSED_PAD src0_sel:WORD_0 src1_sel:DWORD
	v_mul_u32_u24_sdwa v62, v62, s35 dst_sel:DWORD dst_unused:UNUSED_PAD src0_sel:WORD_1 src1_sel:DWORD
	s_waitcnt lgkmcnt(1)
	v_pk_fma_f16 v54, v54, v67, v66
	v_pk_fma_f16 v46, v55, v67, v46
	;; [unrolled: 1-line block ×4, first 2 shown]
	ds_read2_b64 v[54:57], v52 offset0:64 offset1:96
	v_mul_u32_u24_sdwa v62, v63, s35 dst_sel:DWORD dst_unused:UNUSED_PAD src0_sel:WORD_0 src1_sel:DWORD
	v_mul_u32_u24_sdwa v63, v63, s35 dst_sel:DWORD dst_unused:UNUSED_PAD src0_sel:WORD_1 src1_sel:DWORD
	v_mul_u32_u24_sdwa v67, v65, s35 dst_sel:DWORD dst_unused:UNUSED_PAD src0_sel:WORD_0 src1_sel:DWORD
	v_mul_u32_u24_sdwa v68, v65, s35 dst_sel:DWORD dst_unused:UNUSED_PAD src0_sel:WORD_1 src1_sel:DWORD
	s_waitcnt lgkmcnt(0)
	v_pk_fma_f16 v54, v54, v62, v66
	v_pk_fma_f16 v46, v55, v62, v46
	v_pk_fma_f16 v62, v56, v63, v54
	v_pk_fma_f16 v46, v57, v63, v46
	ds_read2_b64 v[54:57], v52 offset0:128 offset1:160
	v_mul_u32_u24_sdwa v63, v64, s35 dst_sel:DWORD dst_unused:UNUSED_PAD src0_sel:WORD_0 src1_sel:DWORD
	v_mul_u32_u24_sdwa v66, v64, s35 dst_sel:DWORD dst_unused:UNUSED_PAD src0_sel:WORD_1 src1_sel:DWORD
	s_waitcnt lgkmcnt(0)
	v_pk_fma_f16 v54, v54, v63, v62
	v_pk_fma_f16 v46, v55, v63, v46
	ds_read2_b64 v[62:65], v52 offset0:192 offset1:224
	v_pk_fma_f16 v69, v56, v66, v54
	v_pk_fma_f16 v46, v57, v66, v46
	ds_read2_b64 v[54:57], v53 offset1:32
	s_waitcnt lgkmcnt(1)
	v_pk_fma_f16 v62, v62, v67, v69
	v_pk_fma_f16 v46, v63, v67, v46
	;; [unrolled: 1-line block ×4, first 2 shown]
	ds_read2_b64 v[62:65], v53 offset0:64 offset1:96
	v_mul_u32_u24_sdwa v67, v58, s35 dst_sel:DWORD dst_unused:UNUSED_PAD src0_sel:WORD_0 src1_sel:DWORD
	v_mul_u32_u24_sdwa v58, v58, s35 dst_sel:DWORD dst_unused:UNUSED_PAD src0_sel:WORD_1 src1_sel:DWORD
	s_waitcnt lgkmcnt(1)
	v_pk_fma_f16 v54, v54, v67, v66
	v_pk_fma_f16 v46, v55, v67, v46
	;; [unrolled: 1-line block ×4, first 2 shown]
	v_mul_u32_u24_sdwa v58, v59, s35 dst_sel:DWORD dst_unused:UNUSED_PAD src0_sel:WORD_0 src1_sel:DWORD
	ds_read2_b64 v[54:57], v53 offset0:128 offset1:160
	v_mul_u32_u24_sdwa v59, v59, s35 dst_sel:DWORD dst_unused:UNUSED_PAD src0_sel:WORD_1 src1_sel:DWORD
	s_waitcnt lgkmcnt(1)
	v_pk_fma_f16 v62, v62, v58, v66
	v_pk_fma_f16 v46, v63, v58, v46
	;; [unrolled: 1-line block ×4, first 2 shown]
	ds_read2_b64 v[62:65], v53 offset0:192 offset1:224
	s_waitcnt lgkmcnt(0)
	s_barrier
	s_load_dword s4, s[6:7], 0x4
	v_mul_u32_u24_sdwa v59, v60, s35 dst_sel:DWORD dst_unused:UNUSED_PAD src0_sel:WORD_0 src1_sel:DWORD
	v_mul_u32_u24_sdwa v60, v60, s35 dst_sel:DWORD dst_unused:UNUSED_PAD src0_sel:WORD_1 src1_sel:DWORD
	v_pk_fma_f16 v54, v54, v59, v58
	v_pk_fma_f16 v46, v55, v59, v46
	v_mul_u32_u24_sdwa v66, v61, s35 dst_sel:DWORD dst_unused:UNUSED_PAD src0_sel:WORD_0 src1_sel:DWORD
	s_waitcnt lgkmcnt(0)
	s_lshl_b32 s4, s4, 6
	v_pk_fma_f16 v54, v56, v60, v54
	v_pk_fma_f16 v46, v57, v60, v46
	v_mul_u32_u24_sdwa v61, v61, s35 dst_sel:DWORD dst_unused:UNUSED_PAD src0_sel:WORD_1 src1_sel:DWORD
	s_add_i32 s2, s4, s2
	v_pk_fma_f16 v54, v62, v66, v54
	v_pk_fma_f16 v46, v63, v66, v46
	s_cmp_ge_i32 s2, s24
	v_pk_fma_f16 v54, v64, v61, v54
	v_pk_fma_f16 v46, v65, v61, v46
	s_cbranch_scc0 .LBB43_9
.LBB43_10:
	v_cmp_lt_i32_e32 vcc, v33, v28
	s_cmp_lg_u64 s[12:13], 0
	s_cselect_b64 s[4:5], -1, 0
	v_cndmask_b32_e32 v0, v13, v33, vcc
	v_lshlrev_b32_e32 v0, 2, v0
	ds_bpermute_b32 v0, v0, v23
	v_cmp_lt_i32_e32 vcc, v32, v28
	s_cmp_eq_u32 s3, 0
	s_cselect_b64 s[6:7], -1, 0
	v_cndmask_b32_e32 v1, v13, v32, vcc
	v_lshlrev_b32_e32 v1, 2, v1
	s_waitcnt lgkmcnt(0)
	v_add_f32_e32 v0, v23, v0
	ds_bpermute_b32 v1, v1, v0
	v_cmp_lt_i32_e32 vcc, v31, v28
	s_and_b64 s[4:5], s[6:7], s[4:5]
	s_waitcnt lgkmcnt(0)
	v_add_f32_e32 v0, v0, v1
	v_cndmask_b32_e32 v4, v13, v31, vcc
	v_lshlrev_b32_e32 v4, 2, v4
	ds_bpermute_b32 v1, v4, v0
	v_cmp_lt_i32_e32 vcc, v30, v28
	s_waitcnt lgkmcnt(0)
	v_add_f32_e32 v0, v0, v1
	v_cndmask_b32_e32 v4, v13, v30, vcc
	v_lshlrev_b32_e32 v4, 2, v4
	ds_bpermute_b32 v1, v4, v0
	v_cmp_lt_i32_e32 vcc, v29, v28
	s_waitcnt lgkmcnt(0)
	v_add_f32_e32 v0, v0, v1
	v_cndmask_b32_e32 v4, v13, v29, vcc
	v_lshlrev_b32_e32 v4, 2, v4
	ds_bpermute_b32 v1, v4, v0
	s_and_b64 vcc, exec, s[4:5]
	s_waitcnt lgkmcnt(0)
	v_add_f32_e32 v23, v0, v1
	s_cbranch_vccz .LBB43_13
; %bb.11:
	v_add_u32_e32 v0, s25, v3
	v_ashrrev_i32_e32 v1, 31, v0
	v_lshl_add_u64 v[0:1], v[0:1], 2, s[12:13]
	global_load_dword v1, v[0:1], off
	v_max_f32_e32 v0, v22, v22
	s_mov_b32 s2, 0x3fb8aa3b
	s_mov_b32 s4, 0xc2ce8ed0
	s_waitcnt vmcnt(0)
	v_max_f32_e32 v4, v1, v1
	v_max_f32_e32 v0, v0, v4
	v_sub_f32_e32 v4, v22, v0
	v_sub_f32_e32 v1, v1, v0
	v_mul_f32_e32 v5, 0x3fb8aa3b, v4
	v_mul_f32_e32 v6, 0x3fb8aa3b, v1
	v_fma_f32 v7, v4, s2, -v5
	v_rndne_f32_e32 v8, v5
	v_fma_f32 v9, v1, s2, -v6
	v_rndne_f32_e32 v10, v6
	v_fmac_f32_e32 v7, 0x32a5705f, v4
	v_sub_f32_e32 v5, v5, v8
	v_fmac_f32_e32 v9, 0x32a5705f, v1
	v_sub_f32_e32 v6, v6, v10
	v_add_f32_e32 v5, v5, v7
	v_cvt_i32_f32_e32 v8, v8
	v_add_f32_e32 v6, v6, v9
	v_exp_f32_e32 v5, v5
	v_cvt_i32_f32_e32 v10, v10
	v_exp_f32_e32 v6, v6
	v_cmp_ngt_f32_e32 vcc, s4, v4
	v_ldexp_f32 v5, v5, v8
	s_mov_b32 s2, 0x42b17218
	v_ldexp_f32 v6, v6, v10
	v_cndmask_b32_e32 v5, 0, v5, vcc
	v_cmp_ngt_f32_e32 vcc, s4, v1
	v_mov_b32_e32 v7, 0x7f800000
	s_nop 0
	v_cndmask_b32_e32 v6, 0, v6, vcc
	v_cmp_nlt_f32_e32 vcc, s2, v4
	s_nop 1
	v_cndmask_b32_e32 v4, v7, v5, vcc
	v_cvt_f16_f32_e32 v5, v4
	v_cmp_nlt_f32_e32 vcc, s2, v1
	s_nop 1
	v_cndmask_b32_e32 v1, v7, v6, vcc
	v_fmac_f32_e32 v1, v23, v4
	v_mul_u32_u24_e32 v4, 0x10001, v5
	v_pk_mul_f16 v54, v54, v4
	v_pk_mul_f16 v46, v46, v4
	v_mov_b64_e32 v[22:23], v[0:1]
	v_cmp_gt_i32_e32 vcc, s22, v24
	s_and_saveexec_b64 s[4:5], vcc
	s_cbranch_execnz .LBB43_14
.LBB43_12:
	s_endpgm
.LBB43_13:
	v_mov_b32_e32 v1, v23
	v_cmp_gt_i32_e32 vcc, s22, v24
	s_and_saveexec_b64 s[4:5], vcc
	s_cbranch_execz .LBB43_12
.LBB43_14:
	s_load_dword s2, s[0:1], 0xd4
	v_div_scale_f32 v0, s[0:1], v1, v1, 1.0
	v_rcp_f32_e32 v6, v0
	s_mul_i32 s30, s30, s22
	s_waitcnt lgkmcnt(0)
	s_cmp_lg_u32 s2, 1
	s_cselect_b64 s[0:1], -1, 0
	v_fma_f32 v7, -v0, v6, 1.0
	v_fmac_f32_e32 v6, v7, v6
	v_div_scale_f32 v7, vcc, 1.0, v1, 1.0
	v_mul_f32_e32 v8, v7, v6
	v_fma_f32 v9, -v0, v8, v7
	v_fmac_f32_e32 v8, v9, v6
	v_fma_f32 v0, -v0, v8, v7
	v_div_fmas_f32 v0, v0, v6, v8
	v_div_fixup_f32 v0, v0, v1, 1.0
	v_cndmask_b32_e64 v6, v0, 1.0, s[0:1]
	v_add_u32_e32 v0, s30, v24
	v_mul_lo_u32 v0, v0, s23
	v_add3_u32 v0, s25, v3, v0
	v_mul_lo_u32 v0, s2, v0
	v_add_u32_e32 v0, s3, v0
	v_mov_b32_e32 v4, s16
	v_mov_b32_e32 v5, s17
	v_lshl_add_u32 v8, v0, 7, v25
	v_mov_b32_e32 v9, 0
	v_lshl_add_u64 v[8:9], v[8:9], 2, v[4:5]
	v_cvt_f32_f16_sdwa v5, v54 dst_sel:DWORD dst_unused:UNUSED_PAD src0_sel:WORD_1
	v_cvt_f32_f16_e32 v4, v54
	v_cvt_f32_f16_sdwa v11, v46 dst_sel:DWORD dst_unused:UNUSED_PAD src0_sel:WORD_1
	v_cvt_f32_f16_e32 v10, v46
	v_cmp_eq_u32_e32 vcc, 0, v2
	s_and_b64 s[0:1], vcc, s[0:1]
	v_pk_mul_f32 v[2:3], v[6:7], v[4:5] op_sel_hi:[0,1]
	v_pk_mul_f32 v[4:5], v[6:7], v[10:11] op_sel_hi:[0,1]
	global_store_dwordx4 v[8:9], v[2:5], off
	s_and_b64 exec, exec, s[0:1]
	s_cbranch_execz .LBB43_12
; %bb.15:
	v_mov_b32_e32 v2, s18
	v_mov_b32_e32 v3, s19
	v_ashrrev_i32_e32 v1, 31, v0
	v_lshl_add_u64 v[0:1], v[0:1], 3, v[2:3]
	global_store_dwordx2 v[0:1], v[22:23], off
	s_endpgm
	.section	.rodata,"a",@progbits
	.p2align	6, 0x0
	.amdhsa_kernel _ZL15flash_attn_tileILi128ELi128ELi4ELi2ELb0EEvPKcS1_S1_S1_S1_PKiPfP15HIP_vector_typeIfLj2EEffffjfiS5_IjLj3EEiiiiiiiiiiiliiliiiiil
		.amdhsa_group_segment_fixed_size 20480
		.amdhsa_private_segment_fixed_size 0
		.amdhsa_kernarg_size 464
		.amdhsa_user_sgpr_count 2
		.amdhsa_user_sgpr_dispatch_ptr 0
		.amdhsa_user_sgpr_queue_ptr 0
		.amdhsa_user_sgpr_kernarg_segment_ptr 1
		.amdhsa_user_sgpr_dispatch_id 0
		.amdhsa_user_sgpr_kernarg_preload_length 0
		.amdhsa_user_sgpr_kernarg_preload_offset 0
		.amdhsa_user_sgpr_private_segment_size 0
		.amdhsa_uses_dynamic_stack 0
		.amdhsa_enable_private_segment 0
		.amdhsa_system_sgpr_workgroup_id_x 1
		.amdhsa_system_sgpr_workgroup_id_y 1
		.amdhsa_system_sgpr_workgroup_id_z 1
		.amdhsa_system_sgpr_workgroup_info 0
		.amdhsa_system_vgpr_workitem_id 1
		.amdhsa_next_free_vgpr 76
		.amdhsa_next_free_sgpr 40
		.amdhsa_accum_offset 76
		.amdhsa_reserve_vcc 1
		.amdhsa_float_round_mode_32 0
		.amdhsa_float_round_mode_16_64 0
		.amdhsa_float_denorm_mode_32 3
		.amdhsa_float_denorm_mode_16_64 3
		.amdhsa_dx10_clamp 1
		.amdhsa_ieee_mode 1
		.amdhsa_fp16_overflow 0
		.amdhsa_tg_split 0
		.amdhsa_exception_fp_ieee_invalid_op 0
		.amdhsa_exception_fp_denorm_src 0
		.amdhsa_exception_fp_ieee_div_zero 0
		.amdhsa_exception_fp_ieee_overflow 0
		.amdhsa_exception_fp_ieee_underflow 0
		.amdhsa_exception_fp_ieee_inexact 0
		.amdhsa_exception_int_div_zero 0
	.end_amdhsa_kernel
	.section	.text._ZL15flash_attn_tileILi128ELi128ELi4ELi2ELb0EEvPKcS1_S1_S1_S1_PKiPfP15HIP_vector_typeIfLj2EEffffjfiS5_IjLj3EEiiiiiiiiiiiliiliiiiil,"axG",@progbits,_ZL15flash_attn_tileILi128ELi128ELi4ELi2ELb0EEvPKcS1_S1_S1_S1_PKiPfP15HIP_vector_typeIfLj2EEffffjfiS5_IjLj3EEiiiiiiiiiiiliiliiiiil,comdat
.Lfunc_end43:
	.size	_ZL15flash_attn_tileILi128ELi128ELi4ELi2ELb0EEvPKcS1_S1_S1_S1_PKiPfP15HIP_vector_typeIfLj2EEffffjfiS5_IjLj3EEiiiiiiiiiiiliiliiiiil, .Lfunc_end43-_ZL15flash_attn_tileILi128ELi128ELi4ELi2ELb0EEvPKcS1_S1_S1_S1_PKiPfP15HIP_vector_typeIfLj2EEffffjfiS5_IjLj3EEiiiiiiiiiiiliiliiiiil
                                        ; -- End function
	.set _ZL15flash_attn_tileILi128ELi128ELi4ELi2ELb0EEvPKcS1_S1_S1_S1_PKiPfP15HIP_vector_typeIfLj2EEffffjfiS5_IjLj3EEiiiiiiiiiiiliiliiiiil.num_vgpr, 76
	.set _ZL15flash_attn_tileILi128ELi128ELi4ELi2ELb0EEvPKcS1_S1_S1_S1_PKiPfP15HIP_vector_typeIfLj2EEffffjfiS5_IjLj3EEiiiiiiiiiiiliiliiiiil.num_agpr, 0
	.set _ZL15flash_attn_tileILi128ELi128ELi4ELi2ELb0EEvPKcS1_S1_S1_S1_PKiPfP15HIP_vector_typeIfLj2EEffffjfiS5_IjLj3EEiiiiiiiiiiiliiliiiiil.numbered_sgpr, 40
	.set _ZL15flash_attn_tileILi128ELi128ELi4ELi2ELb0EEvPKcS1_S1_S1_S1_PKiPfP15HIP_vector_typeIfLj2EEffffjfiS5_IjLj3EEiiiiiiiiiiiliiliiiiil.num_named_barrier, 0
	.set _ZL15flash_attn_tileILi128ELi128ELi4ELi2ELb0EEvPKcS1_S1_S1_S1_PKiPfP15HIP_vector_typeIfLj2EEffffjfiS5_IjLj3EEiiiiiiiiiiiliiliiiiil.private_seg_size, 0
	.set _ZL15flash_attn_tileILi128ELi128ELi4ELi2ELb0EEvPKcS1_S1_S1_S1_PKiPfP15HIP_vector_typeIfLj2EEffffjfiS5_IjLj3EEiiiiiiiiiiiliiliiiiil.uses_vcc, 1
	.set _ZL15flash_attn_tileILi128ELi128ELi4ELi2ELb0EEvPKcS1_S1_S1_S1_PKiPfP15HIP_vector_typeIfLj2EEffffjfiS5_IjLj3EEiiiiiiiiiiiliiliiiiil.uses_flat_scratch, 0
	.set _ZL15flash_attn_tileILi128ELi128ELi4ELi2ELb0EEvPKcS1_S1_S1_S1_PKiPfP15HIP_vector_typeIfLj2EEffffjfiS5_IjLj3EEiiiiiiiiiiiliiliiiiil.has_dyn_sized_stack, 0
	.set _ZL15flash_attn_tileILi128ELi128ELi4ELi2ELb0EEvPKcS1_S1_S1_S1_PKiPfP15HIP_vector_typeIfLj2EEffffjfiS5_IjLj3EEiiiiiiiiiiiliiliiiiil.has_recursion, 0
	.set _ZL15flash_attn_tileILi128ELi128ELi4ELi2ELb0EEvPKcS1_S1_S1_S1_PKiPfP15HIP_vector_typeIfLj2EEffffjfiS5_IjLj3EEiiiiiiiiiiiliiliiiiil.has_indirect_call, 0
	.section	.AMDGPU.csdata,"",@progbits
; Kernel info:
; codeLenInByte = 8164
; TotalNumSgprs: 46
; NumVgprs: 76
; NumAgprs: 0
; TotalNumVgprs: 76
; ScratchSize: 0
; MemoryBound: 0
; FloatMode: 240
; IeeeMode: 1
; LDSByteSize: 20480 bytes/workgroup (compile time only)
; SGPRBlocks: 5
; VGPRBlocks: 9
; NumSGPRsForWavesPerEU: 46
; NumVGPRsForWavesPerEU: 76
; AccumOffset: 76
; Occupancy: 6
; WaveLimiterHint : 1
; COMPUTE_PGM_RSRC2:SCRATCH_EN: 0
; COMPUTE_PGM_RSRC2:USER_SGPR: 2
; COMPUTE_PGM_RSRC2:TRAP_HANDLER: 0
; COMPUTE_PGM_RSRC2:TGID_X_EN: 1
; COMPUTE_PGM_RSRC2:TGID_Y_EN: 1
; COMPUTE_PGM_RSRC2:TGID_Z_EN: 1
; COMPUTE_PGM_RSRC2:TIDIG_COMP_CNT: 1
; COMPUTE_PGM_RSRC3_GFX90A:ACCUM_OFFSET: 18
; COMPUTE_PGM_RSRC3_GFX90A:TG_SPLIT: 0
	.section	.text._ZL33flash_attn_stream_k_fixup_uniformILi128ELi4ELi2EEvPfPK15HIP_vector_typeIfLj2EEiiiiiiS1_IjLj3EES5_S5_,"axG",@progbits,_ZL33flash_attn_stream_k_fixup_uniformILi128ELi4ELi2EEvPfPK15HIP_vector_typeIfLj2EEiiiiiiS1_IjLj3EES5_S5_,comdat
	.globl	_ZL33flash_attn_stream_k_fixup_uniformILi128ELi4ELi2EEvPfPK15HIP_vector_typeIfLj2EEiiiiiiS1_IjLj3EES5_S5_ ; -- Begin function _ZL33flash_attn_stream_k_fixup_uniformILi128ELi4ELi2EEvPfPK15HIP_vector_typeIfLj2EEiiiiiiS1_IjLj3EES5_S5_
	.p2align	8
	.type	_ZL33flash_attn_stream_k_fixup_uniformILi128ELi4ELi2EEvPfPK15HIP_vector_typeIfLj2EEiiiiiiS1_IjLj3EES5_S5_,@function
_ZL33flash_attn_stream_k_fixup_uniformILi128ELi4ELi2EEvPfPK15HIP_vector_typeIfLj2EEiiiiiiS1_IjLj3EES5_S5_: ; @_ZL33flash_attn_stream_k_fixup_uniformILi128ELi4ELi2EEvPfPK15HIP_vector_typeIfLj2EEiiiiiiS1_IjLj3EES5_S5_
; %bb.0:
	s_load_dwordx8 s[8:15], s[0:1], 0x1c
	s_load_dwordx2 s[6:7], s[0:1], 0x10
	s_load_dwordx4 s[20:23], s[0:1], 0x3c
	s_waitcnt lgkmcnt(0)
	s_mul_hi_u32 s5, s11, s2
	s_add_i32 s5, s2, s5
	s_lshr_b32 s5, s5, s12
	s_mul_i32 s11, s5, s13
	s_sub_i32 s11, s2, s11
	s_mul_hi_u32 s12, s11, s14
	s_add_i32 s12, s11, s12
	s_lshr_b32 s16, s12, s15
	s_mul_i32 s12, s16, s20
	s_sub_i32 s11, s11, s12
	;; [unrolled: 5-line block ×3, first 2 shown]
	s_lshl_b32 s11, s12, 1
	s_lshl_b32 s12, s17, 2
	s_add_i32 s12, s12, s3
	s_cmp_lt_i32 s12, s6
	s_cselect_b64 s[12:13], -1, 0
	s_add_i32 s14, s11, s4
	s_cmp_lt_i32 s14, s9
	s_cselect_b64 s[14:15], -1, 0
	s_and_b64 s[12:13], s[12:13], s[14:15]
	s_andn2_b64 vcc, exec, s[12:13]
	s_cbranch_vccnz .LBB44_6
; %bb.1:
	s_load_dwordx4 s[12:15], s[0:1], 0x0
	s_mul_i32 s0, s5, s6
	s_add_i32 s0, s0, s3
	s_mul_i32 s0, s0, s7
	s_mul_i32 s16, s16, s9
	s_add_i32 s0, s0, s4
	s_add_i32 s0, s0, s16
	s_mul_i32 s1, s7, s17
	s_add_i32 s0, s0, s11
	s_lshl_b32 s1, s1, 9
	s_lshl_b32 s0, s0, 7
	s_add_i32 s1, s1, s0
	v_or_b32_e32 v4, s1, v0
	s_waitcnt lgkmcnt(0)
	v_mov_b32_e32 v2, s12
	v_mov_b32_e32 v3, s13
	v_ashrrev_i32_e32 v5, 31, v4
	v_lshl_add_u64 v[2:3], v[4:5], 2, v[2:3]
	global_load_dword v5, v[2:3], off
	s_mul_i32 s5, s10, s2
	s_lshl_b32 s11, s3, 1
	s_add_i32 s9, s5, s10
	s_add_i32 s0, s11, s4
	s_lshl_b32 s1, s9, 3
	s_add_i32 s0, s0, s1
	s_add_i32 s0, s0, -8
	s_ashr_i32 s1, s0, 31
	s_lshl_b64 s[0:1], s[0:1], 3
	s_add_u32 s0, s14, s0
	s_addc_u32 s1, s15, s1
	s_load_dword s12, s[0:1], 0x4
	s_add_i32 s6, s9, -2
	s_cmp_lt_i32 s6, s5
	s_cbranch_scc1 .LBB44_4
; %bb.2:
	s_lshl_b32 s6, s8, 5
	s_ashr_i32 s7, s6, 31
	s_lshl_b64 s[6:7], s[6:7], 2
	s_add_u32 s6, s14, s6
	s_addc_u32 s7, s15, s7
	s_add_i32 s2, s2, 1
	s_load_dword s0, s[0:1], 0x0
	s_mul_i32 s1, s10, s2
	s_lshl_b32 s3, s3, 8
	s_lshl_b32 s10, s4, 7
	;; [unrolled: 1-line block ×3, first 2 shown]
	s_add_i32 s3, s10, s3
	s_lshl_b32 s1, s1, 3
	s_add_i32 s3, s3, s2
	s_add_i32 s1, s4, s1
	s_lshl_b32 s2, s8, 3
	s_add_i32 s1, s1, s2
	v_or_b32_e32 v0, s3, v0
	s_add_i32 s1, s1, s11
	s_add_i32 s9, s9, -1
	v_add_u32_e32 v0, 0xfffff800, v0
	s_add_i32 s2, s1, -16
	s_waitcnt lgkmcnt(0)
	v_mov_b32_e32 v7, s0
	v_mov_b32_e32 v4, s12
	s_mov_b32 s4, 0x3fb8aa3b
	s_mov_b32 s8, 0xc2ce8ed0
	s_mov_b32 s10, 0x42b17218
	v_mov_b32_e32 v6, 0x7f800000
	s_mov_b32 s11, 0xc1a00000
.LBB44_3:                               ; =>This Inner Loop Header: Depth=1
	v_ashrrev_i32_e32 v1, 31, v0
	v_lshl_add_u64 v[8:9], v[0:1], 2, s[6:7]
	global_load_dword v9, v[8:9], off
	s_ashr_i32 s3, s2, 31
	s_lshl_b64 s[0:1], s[2:3], 3
	s_add_u32 s0, s14, s0
	s_addc_u32 s1, s15, s1
	s_load_dwordx2 s[0:1], s[0:1], 0x0
	v_max_f32_e32 v1, v7, v7
	s_add_i32 s9, s9, -1
	s_add_i32 s2, s2, -8
	v_add_u32_e32 v0, 0xfffffc00, v0
	s_waitcnt lgkmcnt(0)
	v_max_f32_e64 v10, s0, s0
	v_max_f32_e32 v1, v1, v10
	v_sub_f32_e32 v11, s0, v1
	v_sub_f32_e32 v10, v7, v1
	v_mul_f32_e32 v12, 0x3fb8aa3b, v11
	v_mov_b32_e32 v7, v1
	v_mul_f32_e32 v1, 0x3fb8aa3b, v10
	v_fma_f32 v15, v11, s4, -v12
	v_rndne_f32_e32 v16, v12
	v_fma_f32 v13, v10, s4, -v1
	v_rndne_f32_e32 v14, v1
	v_fmac_f32_e32 v15, 0x32a5705f, v11
	v_sub_f32_e32 v12, v12, v16
	v_fmac_f32_e32 v13, 0x32a5705f, v10
	v_sub_f32_e32 v1, v1, v14
	v_add_f32_e32 v12, v12, v15
	v_cvt_i32_f32_e32 v16, v16
	v_add_f32_e32 v1, v1, v13
	v_exp_f32_e32 v12, v12
	v_cvt_i32_f32_e32 v14, v14
	v_exp_f32_e32 v1, v1
	v_cmp_ngt_f32_e32 vcc, s8, v11
	v_ldexp_f32 v12, v12, v16
	v_mov_b32_e32 v8, s1
	v_ldexp_f32 v1, v1, v14
	v_cmp_ngt_f32_e64 s[0:1], s8, v10
	v_cndmask_b32_e32 v12, 0, v12, vcc
	v_cmp_nlt_f32_e32 vcc, s10, v11
	v_cndmask_b32_e64 v1, 0, v1, s[0:1]
	v_cmp_nlt_f32_e64 s[0:1], s10, v10
	v_cndmask_b32_e32 v12, v6, v12, vcc
	v_cmp_le_f32_e32 vcc, s11, v11
	v_cndmask_b32_e64 v1, v6, v1, s[0:1]
	v_cmp_le_f32_e64 s[0:1], s11, v10
	v_cndmask_b32_e32 v12, 0, v12, vcc
	s_cmp_le_i32 s9, s5
	v_cndmask_b32_e64 v10, 0, v1, s[0:1]
	s_waitcnt vmcnt(0)
	v_pk_mul_f32 v[8:9], v[8:9], v[12:13] op_sel_hi:[1,0]
	s_nop 0
	v_pk_fma_f32 v[4:5], v[4:5], v[10:11], v[8:9] op_sel_hi:[1,0,1]
	s_cbranch_scc0 .LBB44_3
	s_branch .LBB44_5
.LBB44_4:
	s_waitcnt lgkmcnt(0)
	v_mov_b32_e32 v4, s12
.LBB44_5:
	s_waitcnt vmcnt(0)
	v_div_scale_f32 v0, s[0:1], v4, v4, v5
	v_rcp_f32_e32 v1, v0
	v_div_scale_f32 v6, vcc, v5, v4, v5
	v_fma_f32 v7, -v0, v1, 1.0
	v_fmac_f32_e32 v1, v7, v1
	v_mul_f32_e32 v7, v6, v1
	v_fma_f32 v8, -v0, v7, v6
	v_fmac_f32_e32 v7, v8, v1
	v_fma_f32 v0, -v0, v7, v6
	v_div_fmas_f32 v0, v0, v1, v7
	v_div_fixup_f32 v0, v0, v4, v5
	global_store_dword v[2:3], v0, off
.LBB44_6:
	s_endpgm
	.section	.rodata,"a",@progbits
	.p2align	6, 0x0
	.amdhsa_kernel _ZL33flash_attn_stream_k_fixup_uniformILi128ELi4ELi2EEvPfPK15HIP_vector_typeIfLj2EEiiiiiiS1_IjLj3EES5_S5_
		.amdhsa_group_segment_fixed_size 0
		.amdhsa_private_segment_fixed_size 0
		.amdhsa_kernarg_size 76
		.amdhsa_user_sgpr_count 2
		.amdhsa_user_sgpr_dispatch_ptr 0
		.amdhsa_user_sgpr_queue_ptr 0
		.amdhsa_user_sgpr_kernarg_segment_ptr 1
		.amdhsa_user_sgpr_dispatch_id 0
		.amdhsa_user_sgpr_kernarg_preload_length 0
		.amdhsa_user_sgpr_kernarg_preload_offset 0
		.amdhsa_user_sgpr_private_segment_size 0
		.amdhsa_uses_dynamic_stack 0
		.amdhsa_enable_private_segment 0
		.amdhsa_system_sgpr_workgroup_id_x 1
		.amdhsa_system_sgpr_workgroup_id_y 1
		.amdhsa_system_sgpr_workgroup_id_z 1
		.amdhsa_system_sgpr_workgroup_info 0
		.amdhsa_system_vgpr_workitem_id 0
		.amdhsa_next_free_vgpr 17
		.amdhsa_next_free_sgpr 24
		.amdhsa_accum_offset 20
		.amdhsa_reserve_vcc 1
		.amdhsa_float_round_mode_32 0
		.amdhsa_float_round_mode_16_64 0
		.amdhsa_float_denorm_mode_32 3
		.amdhsa_float_denorm_mode_16_64 3
		.amdhsa_dx10_clamp 1
		.amdhsa_ieee_mode 1
		.amdhsa_fp16_overflow 0
		.amdhsa_tg_split 0
		.amdhsa_exception_fp_ieee_invalid_op 0
		.amdhsa_exception_fp_denorm_src 0
		.amdhsa_exception_fp_ieee_div_zero 0
		.amdhsa_exception_fp_ieee_overflow 0
		.amdhsa_exception_fp_ieee_underflow 0
		.amdhsa_exception_fp_ieee_inexact 0
		.amdhsa_exception_int_div_zero 0
	.end_amdhsa_kernel
	.section	.text._ZL33flash_attn_stream_k_fixup_uniformILi128ELi4ELi2EEvPfPK15HIP_vector_typeIfLj2EEiiiiiiS1_IjLj3EES5_S5_,"axG",@progbits,_ZL33flash_attn_stream_k_fixup_uniformILi128ELi4ELi2EEvPfPK15HIP_vector_typeIfLj2EEiiiiiiS1_IjLj3EES5_S5_,comdat
.Lfunc_end44:
	.size	_ZL33flash_attn_stream_k_fixup_uniformILi128ELi4ELi2EEvPfPK15HIP_vector_typeIfLj2EEiiiiiiS1_IjLj3EES5_S5_, .Lfunc_end44-_ZL33flash_attn_stream_k_fixup_uniformILi128ELi4ELi2EEvPfPK15HIP_vector_typeIfLj2EEiiiiiiS1_IjLj3EES5_S5_
                                        ; -- End function
	.set _ZL33flash_attn_stream_k_fixup_uniformILi128ELi4ELi2EEvPfPK15HIP_vector_typeIfLj2EEiiiiiiS1_IjLj3EES5_S5_.num_vgpr, 17
	.set _ZL33flash_attn_stream_k_fixup_uniformILi128ELi4ELi2EEvPfPK15HIP_vector_typeIfLj2EEiiiiiiS1_IjLj3EES5_S5_.num_agpr, 0
	.set _ZL33flash_attn_stream_k_fixup_uniformILi128ELi4ELi2EEvPfPK15HIP_vector_typeIfLj2EEiiiiiiS1_IjLj3EES5_S5_.numbered_sgpr, 24
	.set _ZL33flash_attn_stream_k_fixup_uniformILi128ELi4ELi2EEvPfPK15HIP_vector_typeIfLj2EEiiiiiiS1_IjLj3EES5_S5_.num_named_barrier, 0
	.set _ZL33flash_attn_stream_k_fixup_uniformILi128ELi4ELi2EEvPfPK15HIP_vector_typeIfLj2EEiiiiiiS1_IjLj3EES5_S5_.private_seg_size, 0
	.set _ZL33flash_attn_stream_k_fixup_uniformILi128ELi4ELi2EEvPfPK15HIP_vector_typeIfLj2EEiiiiiiS1_IjLj3EES5_S5_.uses_vcc, 1
	.set _ZL33flash_attn_stream_k_fixup_uniformILi128ELi4ELi2EEvPfPK15HIP_vector_typeIfLj2EEiiiiiiS1_IjLj3EES5_S5_.uses_flat_scratch, 0
	.set _ZL33flash_attn_stream_k_fixup_uniformILi128ELi4ELi2EEvPfPK15HIP_vector_typeIfLj2EEiiiiiiS1_IjLj3EES5_S5_.has_dyn_sized_stack, 0
	.set _ZL33flash_attn_stream_k_fixup_uniformILi128ELi4ELi2EEvPfPK15HIP_vector_typeIfLj2EEiiiiiiS1_IjLj3EES5_S5_.has_recursion, 0
	.set _ZL33flash_attn_stream_k_fixup_uniformILi128ELi4ELi2EEvPfPK15HIP_vector_typeIfLj2EEiiiiiiS1_IjLj3EES5_S5_.has_indirect_call, 0
	.section	.AMDGPU.csdata,"",@progbits
; Kernel info:
; codeLenInByte = 836
; TotalNumSgprs: 30
; NumVgprs: 17
; NumAgprs: 0
; TotalNumVgprs: 17
; ScratchSize: 0
; MemoryBound: 0
; FloatMode: 240
; IeeeMode: 1
; LDSByteSize: 0 bytes/workgroup (compile time only)
; SGPRBlocks: 3
; VGPRBlocks: 2
; NumSGPRsForWavesPerEU: 30
; NumVGPRsForWavesPerEU: 17
; AccumOffset: 20
; Occupancy: 8
; WaveLimiterHint : 0
; COMPUTE_PGM_RSRC2:SCRATCH_EN: 0
; COMPUTE_PGM_RSRC2:USER_SGPR: 2
; COMPUTE_PGM_RSRC2:TRAP_HANDLER: 0
; COMPUTE_PGM_RSRC2:TGID_X_EN: 1
; COMPUTE_PGM_RSRC2:TGID_Y_EN: 1
; COMPUTE_PGM_RSRC2:TGID_Z_EN: 1
; COMPUTE_PGM_RSRC2:TIDIG_COMP_CNT: 0
; COMPUTE_PGM_RSRC3_GFX90A:ACCUM_OFFSET: 4
; COMPUTE_PGM_RSRC3_GFX90A:TG_SPLIT: 0
	.section	.text._ZL33flash_attn_stream_k_fixup_generalILi128ELi4ELi2EEvPfPK15HIP_vector_typeIfLj2EEiiiiS1_IjLj3EES5_S5_S5_,"axG",@progbits,_ZL33flash_attn_stream_k_fixup_generalILi128ELi4ELi2EEvPfPK15HIP_vector_typeIfLj2EEiiiiS1_IjLj3EES5_S5_S5_,comdat
	.globl	_ZL33flash_attn_stream_k_fixup_generalILi128ELi4ELi2EEvPfPK15HIP_vector_typeIfLj2EEiiiiS1_IjLj3EES5_S5_S5_ ; -- Begin function _ZL33flash_attn_stream_k_fixup_generalILi128ELi4ELi2EEvPfPK15HIP_vector_typeIfLj2EEiiiiS1_IjLj3EES5_S5_S5_
	.p2align	8
	.type	_ZL33flash_attn_stream_k_fixup_generalILi128ELi4ELi2EEvPfPK15HIP_vector_typeIfLj2EEiiiiS1_IjLj3EES5_S5_S5_,@function
_ZL33flash_attn_stream_k_fixup_generalILi128ELi4ELi2EEvPfPK15HIP_vector_typeIfLj2EEiiiiS1_IjLj3EES5_S5_S5_: ; @_ZL33flash_attn_stream_k_fixup_generalILi128ELi4ELi2EEvPfPK15HIP_vector_typeIfLj2EEiiiiS1_IjLj3EES5_S5_S5_
; %bb.0:
	s_load_dwordx4 s[8:11], s[0:1], 0x10
	s_load_dword s22, s[0:1], 0x50
	s_mov_b32 s12, 0
	s_waitcnt lgkmcnt(0)
	s_mul_hi_i32 s13, s11, s2
	s_cmp_lg_u64 s[12:13], 0
	s_mul_i32 s5, s11, s2
	s_cbranch_scc0 .LBB45_20
; %bb.1:
	s_add_u32 s6, s22, 0
	s_addc_u32 s7, 0, 0
	s_xor_b64 s[6:7], s[6:7], 0
	v_cvt_f32_u32_e32 v1, s6
	v_cvt_f32_u32_e32 v2, s7
	s_sub_u32 s12, 0, s6
	s_subb_u32 s18, 0, s7
	v_fmamk_f32 v1, v2, 0x4f800000, v1
	v_rcp_f32_e32 v1, v1
	s_nop 0
	v_mul_f32_e32 v1, 0x5f7ffffc, v1
	v_mul_f32_e32 v2, 0x2f800000, v1
	v_trunc_f32_e32 v2, v2
	v_fmamk_f32 v1, v2, 0xcf800000, v1
	v_cvt_u32_f32_e32 v2, v2
	v_cvt_u32_f32_e32 v1, v1
	v_readfirstlane_b32 s19, v2
	v_readfirstlane_b32 s14, v1
	s_mul_i32 s15, s12, s19
	s_mul_hi_u32 s21, s12, s14
	s_mul_i32 s20, s18, s14
	s_add_i32 s15, s21, s15
	s_add_i32 s15, s15, s20
	s_mul_i32 s23, s12, s14
	s_mul_i32 s21, s14, s15
	s_mul_hi_u32 s24, s14, s23
	s_mul_hi_u32 s20, s14, s15
	s_add_u32 s21, s24, s21
	s_addc_u32 s20, 0, s20
	s_mul_hi_u32 s25, s19, s23
	s_mul_i32 s23, s19, s23
	s_add_u32 s21, s21, s23
	s_mul_hi_u32 s24, s19, s15
	s_addc_u32 s20, s20, s25
	s_addc_u32 s21, s24, 0
	s_mul_i32 s15, s19, s15
	s_add_u32 s15, s20, s15
	s_addc_u32 s20, 0, s21
	s_add_u32 s21, s14, s15
	s_cselect_b64 s[14:15], -1, 0
	s_cmp_lg_u64 s[14:15], 0
	s_addc_u32 s19, s19, s20
	s_mul_i32 s14, s12, s19
	s_mul_hi_u32 s15, s12, s21
	s_add_i32 s14, s15, s14
	s_mul_i32 s18, s18, s21
	s_add_i32 s14, s14, s18
	s_mul_i32 s12, s12, s21
	s_mul_hi_u32 s18, s19, s12
	s_mul_i32 s20, s19, s12
	s_mul_i32 s24, s21, s14
	s_mul_hi_u32 s12, s21, s12
	s_mul_hi_u32 s23, s21, s14
	s_add_u32 s12, s12, s24
	s_addc_u32 s23, 0, s23
	s_add_u32 s12, s12, s20
	s_mul_hi_u32 s15, s19, s14
	s_addc_u32 s12, s23, s18
	s_addc_u32 s15, s15, 0
	s_mul_i32 s14, s19, s14
	s_add_u32 s12, s12, s14
	s_addc_u32 s18, 0, s15
	s_add_u32 s20, s21, s12
	s_cselect_b64 s[14:15], -1, 0
	s_cmp_lg_u64 s[14:15], 0
	s_addc_u32 s18, s19, s18
	s_ashr_i32 s14, s13, 31
	s_add_u32 s12, s5, s14
	s_mov_b32 s15, s14
	s_addc_u32 s13, s13, s14
	s_xor_b64 s[12:13], s[12:13], s[14:15]
	s_mul_i32 s21, s12, s18
	s_mul_hi_u32 s23, s12, s20
	s_mul_hi_u32 s19, s12, s18
	s_add_u32 s21, s23, s21
	s_addc_u32 s19, 0, s19
	s_mul_hi_u32 s24, s13, s20
	s_mul_i32 s20, s13, s20
	s_add_u32 s20, s21, s20
	s_mul_hi_u32 s23, s13, s18
	s_addc_u32 s19, s19, s24
	s_addc_u32 s20, s23, 0
	s_mul_i32 s18, s13, s18
	s_add_u32 s23, s19, s18
	s_addc_u32 s24, 0, s20
	s_mul_i32 s18, s6, s24
	s_mul_hi_u32 s19, s6, s23
	s_add_i32 s18, s19, s18
	s_mul_i32 s19, s7, s23
	s_add_i32 s25, s18, s19
	s_sub_i32 s20, s13, s25
	s_mul_i32 s18, s6, s23
	s_sub_u32 s12, s12, s18
	s_cselect_b64 s[18:19], -1, 0
	s_cmp_lg_u64 s[18:19], 0
	s_subb_u32 s26, s20, s7
	s_sub_u32 s27, s12, s6
	s_cselect_b64 s[20:21], -1, 0
	s_cmp_lg_u64 s[20:21], 0
	s_subb_u32 s20, s26, 0
	s_cmp_ge_u32 s20, s7
	s_cselect_b32 s21, -1, 0
	s_cmp_ge_u32 s27, s6
	s_cselect_b32 s26, -1, 0
	s_cmp_eq_u32 s20, s7
	s_cselect_b32 s20, s26, s21
	s_add_u32 s21, s23, 1
	s_addc_u32 s26, s24, 0
	s_add_u32 s27, s23, 2
	s_addc_u32 s28, s24, 0
	s_cmp_lg_u32 s20, 0
	s_cselect_b32 s20, s27, s21
	s_cselect_b32 s21, s28, s26
	s_cmp_lg_u64 s[18:19], 0
	s_subb_u32 s13, s13, s25
	s_cmp_ge_u32 s13, s7
	s_cselect_b32 s18, -1, 0
	s_cmp_ge_u32 s12, s6
	s_cselect_b32 s6, -1, 0
	s_cmp_eq_u32 s13, s7
	s_cselect_b32 s6, s6, s18
	s_cmp_lg_u32 s6, 0
	s_cselect_b32 s7, s21, s24
	s_cselect_b32 s6, s20, s23
	s_xor_b64 s[12:13], s[14:15], 0
	s_xor_b64 s[6:7], s[6:7], s[12:13]
	s_sub_u32 s6, s6, s12
	s_load_dwordx4 s[12:15], s[0:1], 0x44
	s_cbranch_execnz .LBB45_3
.LBB45_2:
	v_cvt_f32_u32_e32 v1, s22
	s_sub_i32 s6, 0, s22
	v_rcp_iflag_f32_e32 v1, v1
	s_nop 0
	v_mul_f32_e32 v1, 0x4f7ffffe, v1
	v_cvt_u32_f32_e32 v1, v1
	s_nop 0
	v_readfirstlane_b32 s7, v1
	s_mul_i32 s6, s6, s7
	s_mul_hi_u32 s6, s7, s6
	s_add_i32 s7, s7, s6
	s_mul_hi_u32 s6, s5, s7
	s_waitcnt lgkmcnt(0)
	s_mul_i32 s15, s6, s22
	s_sub_i32 s5, s5, s15
	s_add_i32 s7, s6, 1
	s_sub_i32 s15, s5, s22
	s_cmp_ge_u32 s5, s22
	s_cselect_b32 s6, s7, s6
	s_cselect_b32 s5, s15, s5
	s_add_i32 s7, s6, 1
	s_cmp_ge_u32 s5, s22
	s_cselect_b32 s6, s7, s6
.LBB45_3:
	s_add_i32 s5, s2, 1
	s_mul_hi_i32 s21, s11, s5
	s_mov_b32 s20, 0
	s_cmp_lg_u64 s[20:21], 0
	s_mul_i32 s5, s11, s5
	s_cbranch_scc0 .LBB45_21
; %bb.4:
	s_add_u32 s16, s22, 0
	s_addc_u32 s17, 0, 0
	s_xor_b64 s[18:19], s[16:17], 0
	v_cvt_f32_u32_e32 v1, s18
	v_cvt_f32_u32_e32 v2, s19
	s_sub_u32 s7, 0, s18
	s_waitcnt lgkmcnt(0)
	s_subb_u32 s15, 0, s19
	v_fmamk_f32 v1, v2, 0x4f800000, v1
	v_rcp_f32_e32 v1, v1
	s_nop 0
	v_mul_f32_e32 v1, 0x5f7ffffc, v1
	v_mul_f32_e32 v2, 0x2f800000, v1
	v_trunc_f32_e32 v2, v2
	v_fmamk_f32 v1, v2, 0xcf800000, v1
	v_cvt_u32_f32_e32 v2, v2
	v_cvt_u32_f32_e32 v1, v1
	v_readfirstlane_b32 s20, v2
	v_readfirstlane_b32 s23, v1
	s_mul_i32 s24, s7, s20
	s_mul_hi_u32 s26, s7, s23
	s_mul_i32 s25, s15, s23
	s_add_i32 s24, s26, s24
	s_add_i32 s24, s24, s25
	s_mul_i32 s27, s7, s23
	s_mul_i32 s26, s23, s24
	s_mul_hi_u32 s28, s23, s27
	s_mul_hi_u32 s25, s23, s24
	s_add_u32 s26, s28, s26
	s_addc_u32 s25, 0, s25
	s_mul_hi_u32 s29, s20, s27
	s_mul_i32 s27, s20, s27
	s_add_u32 s26, s26, s27
	s_mul_hi_u32 s28, s20, s24
	s_addc_u32 s25, s25, s29
	s_addc_u32 s26, s28, 0
	s_mul_i32 s24, s20, s24
	s_add_u32 s24, s25, s24
	s_addc_u32 s26, 0, s26
	s_add_u32 s23, s23, s24
	s_cselect_b64 s[24:25], -1, 0
	s_cmp_lg_u64 s[24:25], 0
	s_addc_u32 s20, s20, s26
	s_mul_i32 s24, s7, s20
	s_mul_hi_u32 s25, s7, s23
	s_add_i32 s24, s25, s24
	s_mul_i32 s15, s15, s23
	s_add_i32 s24, s24, s15
	s_mul_i32 s7, s7, s23
	s_mul_hi_u32 s25, s20, s7
	s_mul_i32 s26, s20, s7
	s_mul_i32 s28, s23, s24
	s_mul_hi_u32 s7, s23, s7
	s_mul_hi_u32 s27, s23, s24
	s_add_u32 s7, s7, s28
	s_addc_u32 s27, 0, s27
	s_add_u32 s7, s7, s26
	s_mul_hi_u32 s15, s20, s24
	s_addc_u32 s7, s27, s25
	s_addc_u32 s15, s15, 0
	s_mul_i32 s24, s20, s24
	s_add_u32 s7, s7, s24
	s_addc_u32 s15, 0, s15
	s_add_u32 s7, s23, s7
	s_cselect_b64 s[24:25], -1, 0
	s_cmp_lg_u64 s[24:25], 0
	s_addc_u32 s15, s20, s15
	s_ashr_i32 s24, s21, 31
	s_add_u32 s20, s5, s24
	s_mov_b32 s25, s24
	s_addc_u32 s21, s21, s24
	s_xor_b64 s[20:21], s[20:21], s[24:25]
	s_mul_i32 s26, s20, s15
	s_mul_hi_u32 s27, s20, s7
	s_mul_hi_u32 s23, s20, s15
	s_add_u32 s26, s27, s26
	s_addc_u32 s23, 0, s23
	s_mul_hi_u32 s28, s21, s7
	s_mul_i32 s7, s21, s7
	s_add_u32 s7, s26, s7
	s_mul_hi_u32 s27, s21, s15
	s_addc_u32 s7, s23, s28
	s_addc_u32 s23, s27, 0
	s_mul_i32 s15, s21, s15
	s_add_u32 s7, s7, s15
	s_addc_u32 s15, 0, s23
	s_mul_i32 s23, s18, s15
	s_mul_hi_u32 s26, s18, s7
	s_add_i32 s23, s26, s23
	s_mul_i32 s26, s19, s7
	s_add_i32 s23, s23, s26
	s_sub_i32 s28, s21, s23
	s_mul_i32 s26, s18, s7
	s_sub_u32 s20, s20, s26
	s_cselect_b64 s[26:27], -1, 0
	s_cmp_lg_u64 s[26:27], 0
	s_subb_u32 s30, s28, s19
	s_sub_u32 s31, s20, s18
	s_cselect_b64 s[28:29], -1, 0
	s_cmp_lg_u64 s[28:29], 0
	s_subb_u32 s28, s30, 0
	s_cmp_ge_u32 s28, s19
	s_cselect_b32 s29, -1, 0
	s_cmp_ge_u32 s31, s18
	s_cselect_b32 s30, -1, 0
	s_cmp_eq_u32 s28, s19
	s_cselect_b32 s28, s30, s29
	s_add_u32 s29, s7, 1
	s_addc_u32 s30, s15, 0
	s_add_u32 s31, s7, 2
	s_addc_u32 s33, s15, 0
	s_cmp_lg_u32 s28, 0
	s_cselect_b32 s28, s31, s29
	s_cselect_b32 s29, s33, s30
	s_cmp_lg_u64 s[26:27], 0
	s_subb_u32 s21, s21, s23
	s_cmp_ge_u32 s21, s19
	s_cselect_b32 s23, -1, 0
	s_cmp_ge_u32 s20, s18
	s_cselect_b32 s18, -1, 0
	s_cmp_eq_u32 s21, s19
	s_cselect_b32 s18, s18, s23
	s_cmp_lg_u32 s18, 0
	s_cselect_b32 s19, s29, s15
	s_cselect_b32 s18, s28, s7
	s_xor_b64 s[20:21], s[24:25], 0
	s_xor_b64 s[18:19], s[18:19], s[20:21]
	s_sub_u32 s18, s18, s20
	s_cbranch_execnz .LBB45_6
.LBB45_5:
	v_cvt_f32_u32_e32 v1, s22
	s_sub_i32 s7, 0, s22
	v_rcp_iflag_f32_e32 v1, v1
	s_nop 0
	v_mul_f32_e32 v1, 0x4f7ffffe, v1
	v_cvt_u32_f32_e32 v1, v1
	s_waitcnt lgkmcnt(0)
	v_readfirstlane_b32 s15, v1
	s_mul_i32 s7, s7, s15
	s_mul_hi_u32 s7, s15, s7
	s_add_i32 s15, s15, s7
	s_mul_hi_u32 s7, s5, s15
	s_mul_i32 s16, s7, s22
	s_sub_i32 s5, s5, s16
	s_add_i32 s15, s7, 1
	s_sub_i32 s16, s5, s22
	s_cmp_ge_u32 s5, s22
	s_cselect_b32 s7, s15, s7
	s_cselect_b32 s5, s16, s5
	s_add_i32 s15, s7, 1
	s_cmp_ge_u32 s5, s22
	s_cselect_b32 s18, s15, s7
.LBB45_6:
	s_cmp_eq_u32 s6, s18
	s_waitcnt lgkmcnt(0)
	s_mul_hi_u32 s5, s6, s12
	s_cselect_b64 s[16:17], -1, 0
	s_add_i32 s5, s5, s6
	s_lshr_b32 s7, s5, s13
	s_mul_i32 s5, s7, s14
	s_cmp_eq_u32 s5, s6
	s_mul_hi_u32 s5, s18, s12
	s_cselect_b64 s[20:21], -1, 0
	s_add_i32 s5, s5, s18
	s_lshr_b32 s5, s5, s13
	s_cmp_eq_u32 s7, s5
	s_mul_i32 s5, s5, s14
	s_cselect_b64 s[24:25], -1, 0
	s_cmp_lg_u32 s5, s18
	s_cselect_b64 s[18:19], -1, 0
	s_and_b64 s[18:19], s[24:25], s[18:19]
	s_or_b64 s[16:17], s[16:17], s[20:21]
	s_or_b64 s[16:17], s[16:17], s[18:19]
	s_and_b64 vcc, exec, s[16:17]
	s_cbranch_vccnz .LBB45_23
; %bb.7:
	s_load_dwordx8 s[24:31], s[0:1], 0x20
	s_load_dword s15, s[0:1], 0x40
	s_waitcnt lgkmcnt(0)
	s_mul_hi_u32 s5, s6, s24
	s_add_i32 s5, s5, s6
	s_lshr_b32 s5, s5, s25
	s_mul_i32 s16, s5, s26
	s_sub_i32 s16, s6, s16
	s_mul_hi_u32 s17, s16, s27
	s_add_i32 s17, s16, s17
	s_lshr_b32 s20, s17, s28
	s_mul_i32 s17, s20, s29
	s_sub_i32 s16, s16, s17
	;; [unrolled: 5-line block ×3, first 2 shown]
	s_mul_hi_u32 s16, s15, s12
	s_add_i32 s15, s15, s16
	s_lshr_b32 s23, s15, s13
	s_lshl_b32 s15, s23, 2
	s_lshl_b32 s21, s17, 1
	s_add_i32 s15, s15, s3
	s_cmp_lt_i32 s15, s8
	s_cselect_b64 s[16:17], -1, 0
	s_add_i32 s15, s21, s4
	s_cmp_lt_i32 s15, s10
	s_cselect_b64 s[18:19], -1, 0
	s_and_b64 s[16:17], s[16:17], s[18:19]
	s_andn2_b64 vcc, exec, s[16:17]
	s_cbranch_vccnz .LBB45_23
; %bb.8:
	s_load_dwordx4 s[16:19], s[0:1], 0x0
	s_mov_b32 s0, 0
	s_lshl_b32 s15, s3, 1
	s_lshl_b32 s24, s22, 5
	s_mov_b32 s25, s0
	s_add_i32 s15, s15, s4
	s_waitcnt lgkmcnt(0)
	v_mov_b32_e32 v2, s16
	v_mov_b32_e32 v3, s17
	s_lshl_b64 s[16:17], s[24:25], 2
	s_add_u32 s16, s18, s16
	s_mul_i32 s1, s5, s8
	s_addc_u32 s17, s19, s17
	s_add_i32 s1, s1, s3
	s_mul_i32 s1, s1, s9
	s_mul_i32 s20, s20, s10
	s_add_i32 s1, s1, s4
	s_add_i32 s1, s1, s20
	s_mul_i32 s5, s9, s23
	s_add_i32 s1, s1, s21
	s_lshl_b32 s5, s5, 9
	s_lshl_b32 s1, s1, 7
	s_add_i32 s5, s5, s1
	v_or_b32_e32 v4, s5, v0
	v_ashrrev_i32_e32 v5, 31, v4
	v_lshl_add_u64 v[2:3], v[4:5], 2, v[2:3]
	global_load_dword v1, v[2:3], off
	v_cvt_f32_u32_e32 v4, s22
	s_lshl_b32 s1, s2, 3
	s_add_i32 s4, s15, s1
	s_ashr_i32 s5, s4, 31
	s_lshl_b64 s[4:5], s[4:5], 3
	v_rcp_iflag_f32_e32 v4, v4
	s_add_u32 s4, s18, s4
	s_addc_u32 s5, s19, s5
	s_load_dwordx2 s[4:5], s[4:5], 0x0
	v_mul_f32_e32 v4, 0x4f7ffffe, v4
	v_cvt_u32_f32_e32 v7, v4
	s_add_i32 s24, s2, -1
	v_lshl_or_b32 v6, s15, 7, v0
	s_waitcnt lgkmcnt(0)
	v_mov_b32_e32 v0, s5
	v_mov_b32_e32 v9, s4
	s_mov_b32 s10, 0x3fb8aa3b
	s_mov_b32 s20, 0xc2ce8ed0
	;; [unrolled: 1-line block ×4, first 2 shown]
	v_mov_b32_e32 v8, 0x7f800000
	s_mul_hi_i32 s1, s24, s11
	s_cmp_lg_u64 s[0:1], 0
	s_mul_i32 s8, s24, s11
	s_cbranch_scc0 .LBB45_19
.LBB45_9:
	s_add_u32 s2, s22, 0
	s_addc_u32 s3, 0, 0
	s_xor_b64 s[2:3], s[2:3], 0
	v_cvt_f32_u32_e32 v4, s2
	v_cvt_f32_u32_e32 v5, s3
	s_sub_u32 s9, 0, s2
	s_subb_u32 s25, 0, s3
	v_fmac_f32_e32 v4, 0x4f800000, v5
	v_rcp_f32_e32 v4, v4
	s_nop 0
	v_mul_f32_e32 v4, 0x5f7ffffc, v4
	v_mul_f32_e32 v5, 0x2f800000, v4
	v_trunc_f32_e32 v5, v5
	v_fmac_f32_e32 v4, 0xcf800000, v5
	v_cvt_u32_f32_e32 v5, v5
	v_cvt_u32_f32_e32 v4, v4
	v_readfirstlane_b32 s26, v5
	v_readfirstlane_b32 s4, v4
	s_mul_i32 s5, s9, s26
	s_mul_hi_u32 s28, s9, s4
	s_mul_i32 s27, s25, s4
	s_add_i32 s5, s28, s5
	s_mul_i32 s29, s9, s4
	s_add_i32 s5, s5, s27
	s_mul_i32 s28, s4, s5
	s_mul_hi_u32 s30, s4, s29
	s_mul_hi_u32 s27, s4, s5
	s_add_u32 s28, s30, s28
	s_addc_u32 s27, 0, s27
	s_mul_hi_u32 s31, s26, s29
	s_mul_i32 s29, s26, s29
	s_add_u32 s28, s28, s29
	s_mul_hi_u32 s30, s26, s5
	s_addc_u32 s27, s27, s31
	s_addc_u32 s28, s30, 0
	s_mul_i32 s5, s26, s5
	s_add_u32 s5, s27, s5
	s_addc_u32 s27, 0, s28
	s_add_u32 s28, s4, s5
	s_cselect_b64 s[4:5], -1, 0
	s_cmp_lg_u64 s[4:5], 0
	s_addc_u32 s26, s26, s27
	s_mul_i32 s4, s9, s26
	s_mul_hi_u32 s5, s9, s28
	s_add_i32 s4, s5, s4
	s_mul_i32 s25, s25, s28
	s_add_i32 s4, s4, s25
	s_mul_i32 s9, s9, s28
	s_mul_hi_u32 s25, s26, s9
	s_mul_i32 s27, s26, s9
	s_mul_i32 s30, s28, s4
	s_mul_hi_u32 s9, s28, s9
	s_mul_hi_u32 s29, s28, s4
	s_add_u32 s9, s9, s30
	s_addc_u32 s29, 0, s29
	s_add_u32 s9, s9, s27
	s_mul_hi_u32 s5, s26, s4
	s_addc_u32 s9, s29, s25
	s_addc_u32 s5, s5, 0
	s_mul_i32 s4, s26, s4
	s_add_u32 s4, s9, s4
	s_addc_u32 s9, 0, s5
	s_add_u32 s25, s28, s4
	s_cselect_b64 s[4:5], -1, 0
	s_cmp_lg_u64 s[4:5], 0
	s_addc_u32 s9, s26, s9
	s_ashr_i32 s4, s1, 31
	s_add_u32 s26, s8, s4
	s_mov_b32 s5, s4
	s_addc_u32 s27, s1, s4
	s_xor_b64 s[26:27], s[26:27], s[4:5]
	s_mul_i32 s28, s26, s9
	s_mul_hi_u32 s29, s26, s25
	s_mul_hi_u32 s1, s26, s9
	s_add_u32 s28, s29, s28
	s_addc_u32 s1, 0, s1
	s_mul_hi_u32 s30, s27, s25
	s_mul_i32 s25, s27, s25
	s_add_u32 s25, s28, s25
	s_mul_hi_u32 s29, s27, s9
	s_addc_u32 s1, s1, s30
	s_addc_u32 s25, s29, 0
	s_mul_i32 s9, s27, s9
	s_add_u32 s1, s1, s9
	s_addc_u32 s9, 0, s25
	s_mul_i32 s25, s2, s9
	s_mul_hi_u32 s28, s2, s1
	s_add_i32 s25, s28, s25
	s_mul_i32 s28, s3, s1
	s_add_i32 s25, s25, s28
	s_sub_i32 s30, s27, s25
	s_mul_i32 s28, s2, s1
	s_sub_u32 s26, s26, s28
	s_cselect_b64 s[28:29], -1, 0
	s_cmp_lg_u64 s[28:29], 0
	s_subb_u32 s33, s30, s3
	s_sub_u32 s34, s26, s2
	s_cselect_b64 s[30:31], -1, 0
	s_cmp_lg_u64 s[30:31], 0
	s_subb_u32 s30, s33, 0
	s_cmp_ge_u32 s30, s3
	s_cselect_b32 s31, -1, 0
	s_cmp_ge_u32 s34, s2
	s_cselect_b32 s33, -1, 0
	s_cmp_eq_u32 s30, s3
	s_cselect_b32 s30, s33, s31
	s_add_u32 s31, s1, 1
	s_addc_u32 s33, s9, 0
	s_add_u32 s34, s1, 2
	s_addc_u32 s35, s9, 0
	s_cmp_lg_u32 s30, 0
	s_cselect_b32 s30, s34, s31
	s_cselect_b32 s31, s35, s33
	s_cmp_lg_u64 s[28:29], 0
	s_subb_u32 s25, s27, s25
	s_cmp_ge_u32 s25, s3
	s_cselect_b32 s27, -1, 0
	s_cmp_ge_u32 s26, s2
	s_cselect_b32 s2, -1, 0
	s_cmp_eq_u32 s25, s3
	s_cselect_b32 s2, s2, s27
	s_cmp_lg_u32 s2, 0
	s_cselect_b32 s3, s31, s9
	s_cselect_b32 s2, s30, s1
	s_xor_b64 s[4:5], s[4:5], 0
	s_xor_b64 s[2:3], s[2:3], s[4:5]
	s_sub_u32 s4, s2, s4
	s_cbranch_execnz .LBB45_11
.LBB45_10:
	s_sub_i32 s1, 0, s22
	v_readfirstlane_b32 s2, v7
	s_mul_i32 s1, s1, s2
	s_mul_hi_u32 s1, s2, s1
	s_add_i32 s2, s2, s1
	s_mul_hi_u32 s1, s8, s2
	s_mul_i32 s3, s1, s22
	s_sub_i32 s3, s8, s3
	s_add_i32 s2, s1, 1
	s_sub_i32 s4, s3, s22
	s_cmp_ge_u32 s3, s22
	s_cselect_b32 s1, s2, s1
	s_cselect_b32 s3, s4, s3
	s_add_i32 s2, s1, 1
	s_cmp_ge_u32 s3, s22
	s_cselect_b32 s4, s2, s1
.LBB45_11:
	s_cmp_lg_u32 s6, s4
	s_cbranch_scc0 .LBB45_15
; %bb.12:
	s_add_i32 s1, s24, s22
	s_lshl_b32 s1, s1, 3
	s_add_i32 s2, s1, s15
	s_mov_b32 s3, s0
	s_lshl_b64 s[2:3], s[2:3], 3
	s_add_u32 s8, s18, s2
	s_mul_hi_u32 s1, s4, s12
	s_addc_u32 s9, s19, s3
	s_add_i32 s1, s1, s4
	s_lshr_b32 s1, s1, s13
	s_mul_i32 s2, s1, s14
	s_cmp_eq_u32 s2, s4
	s_cselect_b64 s[2:3], -1, 0
	s_cmp_lt_u32 s1, s7
	s_cselect_b64 s[26:27], -1, 0
	s_or_b64 s[26:27], s[26:27], s[2:3]
	s_mov_b64 s[2:3], -1
	s_and_b64 vcc, exec, s[26:27]
	s_mov_b32 s1, s24
	s_mov_b32 s25, s6
	s_cbranch_vccnz .LBB45_14
; %bb.13:
	s_add_i32 s1, s24, -1
	s_mov_b64 s[2:3], 0
	s_mov_b32 s25, s4
.LBB45_14:
	v_lshl_add_u32 v4, s24, 10, v6
	v_ashrrev_i32_e32 v5, 31, v4
	v_lshl_add_u64 v[4:5], v[4:5], 2, s[16:17]
	global_load_dword v5, v[4:5], off
	s_load_dwordx2 s[4:5], s[8:9], 0x0
	v_max_f32_e32 v4, v9, v9
	s_waitcnt lgkmcnt(0)
	v_max_f32_e64 v10, s4, s4
	v_max_f32_e32 v10, v4, v10
	v_sub_f32_e32 v11, v9, v10
	v_sub_f32_e32 v13, s4, v10
	v_mul_f32_e32 v4, 0x3fb8aa3b, v11
	v_mul_f32_e32 v12, 0x3fb8aa3b, v13
	v_fma_f32 v14, v11, s10, -v4
	v_rndne_f32_e32 v15, v4
	v_fma_f32 v16, v13, s10, -v12
	v_rndne_f32_e32 v17, v12
	v_fmac_f32_e32 v14, 0x32a5705f, v11
	v_sub_f32_e32 v4, v4, v15
	v_fmac_f32_e32 v16, 0x32a5705f, v13
	v_sub_f32_e32 v12, v12, v17
	v_add_f32_e32 v4, v4, v14
	v_cvt_i32_f32_e32 v15, v15
	v_add_f32_e32 v12, v12, v16
	v_exp_f32_e32 v14, v4
	v_cvt_i32_f32_e32 v17, v17
	v_exp_f32_e32 v12, v12
	v_cmp_ngt_f32_e32 vcc, s20, v11
	v_ldexp_f32 v14, v14, v15
	v_mov_b32_e32 v4, s5
	v_ldexp_f32 v12, v12, v17
	v_cndmask_b32_e32 v14, 0, v14, vcc
	v_cmp_ngt_f32_e32 vcc, s20, v13
	s_nop 1
	v_cndmask_b32_e32 v12, 0, v12, vcc
	v_cmp_nlt_f32_e32 vcc, s21, v11
	s_nop 1
	v_cndmask_b32_e32 v14, v8, v14, vcc
	v_cmp_nlt_f32_e32 vcc, s21, v13
	s_nop 1
	v_cndmask_b32_e32 v15, v8, v12, vcc
	v_cmp_le_f32_e32 vcc, s23, v11
	s_nop 1
	v_cndmask_b32_e32 v12, 0, v14, vcc
	v_cmp_le_f32_e32 vcc, s23, v13
	s_nop 1
	v_cndmask_b32_e32 v14, 0, v15, vcc
	s_waitcnt vmcnt(0)
	v_pk_mul_f32 v[4:5], v[4:5], v[14:15] op_sel_hi:[1,0]
	s_nop 0
	v_pk_fma_f32 v[4:5], v[0:1], v[12:13], v[4:5] op_sel_hi:[1,0,1]
	s_cbranch_execz .LBB45_16
	s_branch .LBB45_17
.LBB45_15:
                                        ; implicit-def: $vgpr4_vgpr5
                                        ; implicit-def: $sgpr2_sgpr3
                                        ; implicit-def: $vgpr10
                                        ; implicit-def: $sgpr1
                                        ; implicit-def: $sgpr25
.LBB45_16:
	s_add_i32 s1, s24, -1
	s_mov_b64 s[2:3], 0
	s_mov_b32 s25, s6
	v_mov_b32_e32 v10, v9
	s_waitcnt vmcnt(0)
	v_mov_b64_e32 v[4:5], v[0:1]
.LBB45_17:
	s_andn2_b64 vcc, exec, s[2:3]
	s_cbranch_vccz .LBB45_22
; %bb.18:
	s_mov_b32 s6, s25
	s_mov_b32 s24, s1
	v_mov_b32_e32 v9, v10
	s_waitcnt vmcnt(0)
	v_mov_b64_e32 v[0:1], v[4:5]
	s_mul_hi_i32 s1, s24, s11
	s_cmp_lg_u64 s[0:1], 0
	s_mul_i32 s8, s24, s11
	s_cbranch_scc1 .LBB45_9
.LBB45_19:
                                        ; implicit-def: $sgpr4_sgpr5
	s_branch .LBB45_10
.LBB45_20:
                                        ; implicit-def: $sgpr6_sgpr7
	s_load_dwordx4 s[12:15], s[0:1], 0x44
	s_branch .LBB45_2
.LBB45_21:
                                        ; implicit-def: $sgpr18_sgpr19
	s_branch .LBB45_5
.LBB45_22:
	v_div_scale_f32 v0, s[0:1], v4, v4, v5
	s_waitcnt vmcnt(0)
	v_rcp_f32_e32 v1, v0
	v_div_scale_f32 v6, vcc, v5, v4, v5
	v_fma_f32 v7, -v0, v1, 1.0
	v_fmac_f32_e32 v1, v7, v1
	v_mul_f32_e32 v7, v6, v1
	v_fma_f32 v8, -v0, v7, v6
	v_fmac_f32_e32 v7, v8, v1
	v_fma_f32 v0, -v0, v7, v6
	v_div_fmas_f32 v0, v0, v1, v7
	v_div_fixup_f32 v0, v0, v4, v5
	global_store_dword v[2:3], v0, off
.LBB45_23:
	s_endpgm
	.section	.rodata,"a",@progbits
	.p2align	6, 0x0
	.amdhsa_kernel _ZL33flash_attn_stream_k_fixup_generalILi128ELi4ELi2EEvPfPK15HIP_vector_typeIfLj2EEiiiiS1_IjLj3EES5_S5_S5_
		.amdhsa_group_segment_fixed_size 0
		.amdhsa_private_segment_fixed_size 0
		.amdhsa_kernarg_size 336
		.amdhsa_user_sgpr_count 2
		.amdhsa_user_sgpr_dispatch_ptr 0
		.amdhsa_user_sgpr_queue_ptr 0
		.amdhsa_user_sgpr_kernarg_segment_ptr 1
		.amdhsa_user_sgpr_dispatch_id 0
		.amdhsa_user_sgpr_kernarg_preload_length 0
		.amdhsa_user_sgpr_kernarg_preload_offset 0
		.amdhsa_user_sgpr_private_segment_size 0
		.amdhsa_uses_dynamic_stack 0
		.amdhsa_enable_private_segment 0
		.amdhsa_system_sgpr_workgroup_id_x 1
		.amdhsa_system_sgpr_workgroup_id_y 1
		.amdhsa_system_sgpr_workgroup_id_z 1
		.amdhsa_system_sgpr_workgroup_info 0
		.amdhsa_system_vgpr_workitem_id 0
		.amdhsa_next_free_vgpr 18
		.amdhsa_next_free_sgpr 36
		.amdhsa_accum_offset 20
		.amdhsa_reserve_vcc 1
		.amdhsa_float_round_mode_32 0
		.amdhsa_float_round_mode_16_64 0
		.amdhsa_float_denorm_mode_32 3
		.amdhsa_float_denorm_mode_16_64 3
		.amdhsa_dx10_clamp 1
		.amdhsa_ieee_mode 1
		.amdhsa_fp16_overflow 0
		.amdhsa_tg_split 0
		.amdhsa_exception_fp_ieee_invalid_op 0
		.amdhsa_exception_fp_denorm_src 0
		.amdhsa_exception_fp_ieee_div_zero 0
		.amdhsa_exception_fp_ieee_overflow 0
		.amdhsa_exception_fp_ieee_underflow 0
		.amdhsa_exception_fp_ieee_inexact 0
		.amdhsa_exception_int_div_zero 0
	.end_amdhsa_kernel
	.section	.text._ZL33flash_attn_stream_k_fixup_generalILi128ELi4ELi2EEvPfPK15HIP_vector_typeIfLj2EEiiiiS1_IjLj3EES5_S5_S5_,"axG",@progbits,_ZL33flash_attn_stream_k_fixup_generalILi128ELi4ELi2EEvPfPK15HIP_vector_typeIfLj2EEiiiiS1_IjLj3EES5_S5_S5_,comdat
.Lfunc_end45:
	.size	_ZL33flash_attn_stream_k_fixup_generalILi128ELi4ELi2EEvPfPK15HIP_vector_typeIfLj2EEiiiiS1_IjLj3EES5_S5_S5_, .Lfunc_end45-_ZL33flash_attn_stream_k_fixup_generalILi128ELi4ELi2EEvPfPK15HIP_vector_typeIfLj2EEiiiiS1_IjLj3EES5_S5_S5_
                                        ; -- End function
	.set _ZL33flash_attn_stream_k_fixup_generalILi128ELi4ELi2EEvPfPK15HIP_vector_typeIfLj2EEiiiiS1_IjLj3EES5_S5_S5_.num_vgpr, 18
	.set _ZL33flash_attn_stream_k_fixup_generalILi128ELi4ELi2EEvPfPK15HIP_vector_typeIfLj2EEiiiiS1_IjLj3EES5_S5_S5_.num_agpr, 0
	.set _ZL33flash_attn_stream_k_fixup_generalILi128ELi4ELi2EEvPfPK15HIP_vector_typeIfLj2EEiiiiS1_IjLj3EES5_S5_S5_.numbered_sgpr, 36
	.set _ZL33flash_attn_stream_k_fixup_generalILi128ELi4ELi2EEvPfPK15HIP_vector_typeIfLj2EEiiiiS1_IjLj3EES5_S5_S5_.num_named_barrier, 0
	.set _ZL33flash_attn_stream_k_fixup_generalILi128ELi4ELi2EEvPfPK15HIP_vector_typeIfLj2EEiiiiS1_IjLj3EES5_S5_S5_.private_seg_size, 0
	.set _ZL33flash_attn_stream_k_fixup_generalILi128ELi4ELi2EEvPfPK15HIP_vector_typeIfLj2EEiiiiS1_IjLj3EES5_S5_S5_.uses_vcc, 1
	.set _ZL33flash_attn_stream_k_fixup_generalILi128ELi4ELi2EEvPfPK15HIP_vector_typeIfLj2EEiiiiS1_IjLj3EES5_S5_S5_.uses_flat_scratch, 0
	.set _ZL33flash_attn_stream_k_fixup_generalILi128ELi4ELi2EEvPfPK15HIP_vector_typeIfLj2EEiiiiS1_IjLj3EES5_S5_S5_.has_dyn_sized_stack, 0
	.set _ZL33flash_attn_stream_k_fixup_generalILi128ELi4ELi2EEvPfPK15HIP_vector_typeIfLj2EEiiiiS1_IjLj3EES5_S5_S5_.has_recursion, 0
	.set _ZL33flash_attn_stream_k_fixup_generalILi128ELi4ELi2EEvPfPK15HIP_vector_typeIfLj2EEiiiiS1_IjLj3EES5_S5_S5_.has_indirect_call, 0
	.section	.AMDGPU.csdata,"",@progbits
; Kernel info:
; codeLenInByte = 2940
; TotalNumSgprs: 42
; NumVgprs: 18
; NumAgprs: 0
; TotalNumVgprs: 18
; ScratchSize: 0
; MemoryBound: 0
; FloatMode: 240
; IeeeMode: 1
; LDSByteSize: 0 bytes/workgroup (compile time only)
; SGPRBlocks: 5
; VGPRBlocks: 2
; NumSGPRsForWavesPerEU: 42
; NumVGPRsForWavesPerEU: 18
; AccumOffset: 20
; Occupancy: 8
; WaveLimiterHint : 0
; COMPUTE_PGM_RSRC2:SCRATCH_EN: 0
; COMPUTE_PGM_RSRC2:USER_SGPR: 2
; COMPUTE_PGM_RSRC2:TRAP_HANDLER: 0
; COMPUTE_PGM_RSRC2:TGID_X_EN: 1
; COMPUTE_PGM_RSRC2:TGID_Y_EN: 1
; COMPUTE_PGM_RSRC2:TGID_Z_EN: 1
; COMPUTE_PGM_RSRC2:TIDIG_COMP_CNT: 0
; COMPUTE_PGM_RSRC3_GFX90A:ACCUM_OFFSET: 4
; COMPUTE_PGM_RSRC3_GFX90A:TG_SPLIT: 0
	.section	.text._ZL15flash_attn_tileILi128ELi128ELi2ELi2ELb0EEvPKcS1_S1_S1_S1_PKiPfP15HIP_vector_typeIfLj2EEffffjfiS5_IjLj3EEiiiiiiiiiiiliiliiiiil,"axG",@progbits,_ZL15flash_attn_tileILi128ELi128ELi2ELi2ELb0EEvPKcS1_S1_S1_S1_PKiPfP15HIP_vector_typeIfLj2EEffffjfiS5_IjLj3EEiiiiiiiiiiiliiliiiiil,comdat
	.globl	_ZL15flash_attn_tileILi128ELi128ELi2ELi2ELb0EEvPKcS1_S1_S1_S1_PKiPfP15HIP_vector_typeIfLj2EEffffjfiS5_IjLj3EEiiiiiiiiiiiliiliiiiil ; -- Begin function _ZL15flash_attn_tileILi128ELi128ELi2ELi2ELb0EEvPKcS1_S1_S1_S1_PKiPfP15HIP_vector_typeIfLj2EEffffjfiS5_IjLj3EEiiiiiiiiiiiliiliiiiil
	.p2align	8
	.type	_ZL15flash_attn_tileILi128ELi128ELi2ELi2ELb0EEvPKcS1_S1_S1_S1_PKiPfP15HIP_vector_typeIfLj2EEffffjfiS5_IjLj3EEiiiiiiiiiiiliiliiiiil,@function
_ZL15flash_attn_tileILi128ELi128ELi2ELi2ELb0EEvPKcS1_S1_S1_S1_PKiPfP15HIP_vector_typeIfLj2EEffffjfiS5_IjLj3EEiiiiiiiiiiiliiliiiiil: ; @_ZL15flash_attn_tileILi128ELi128ELi2ELi2ELb0EEvPKcS1_S1_S1_S1_PKiPfP15HIP_vector_typeIfLj2EEffffjfiS5_IjLj3EEiiiiiiiiiiiliiliiiiil
; %bb.0:
	s_load_dwordx4 s[20:23], s[0:1], 0x5c
	s_load_dwordx2 s[24:25], s[0:1], 0x80
	s_load_dwordx2 s[28:29], s[0:1], 0xb8
	s_mov_b64 s[26:27], 0
	s_waitcnt lgkmcnt(0)
	s_lshr_b32 s5, s23, 31
	s_add_i32 s5, s23, s5
	s_ashr_i32 s5, s5, 1
	v_cvt_f32_u32_e32 v1, s5
	s_sub_i32 s6, 0, s5
	v_rcp_iflag_f32_e32 v1, v1
	s_nop 0
	v_mul_f32_e32 v1, 0x4f7ffffe, v1
	v_cvt_u32_f32_e32 v1, v1
	s_nop 0
	v_readfirstlane_b32 s7, v1
	s_mul_i32 s6, s6, s7
	s_mul_hi_u32 s6, s7, s6
	s_add_i32 s7, s7, s6
	s_mul_hi_u32 s6, s4, s7
	s_mul_i32 s7, s6, s5
	s_sub_i32 s7, s4, s7
	s_add_i32 s8, s6, 1
	s_sub_i32 s9, s7, s5
	s_cmp_ge_u32 s7, s5
	s_cselect_b32 s6, s8, s6
	s_cselect_b32 s7, s9, s7
	s_add_i32 s8, s6, 1
	s_cmp_ge_u32 s7, s5
	s_cselect_b32 s30, s8, s6
	s_abs_i32 s5, s25
	v_cvt_f32_u32_e32 v1, s5
	s_lshl_b32 s4, s4, 1
	s_mul_i32 s8, s30, s23
	s_xor_b32 s6, s23, s25
	v_rcp_iflag_f32_e32 v1, v1
	s_sub_i32 s9, 0, s5
	s_sub_i32 s25, s4, s8
	s_abs_i32 s7, s23
	v_mul_f32_e32 v1, 0x4f7ffffe, v1
	v_cvt_u32_f32_e32 v1, v1
	s_ashr_i32 s6, s6, 31
	v_readfirstlane_b32 s4, v1
	s_mul_i32 s9, s9, s4
	s_mul_hi_u32 s8, s4, s9
	s_add_i32 s4, s4, s8
	s_mul_hi_u32 s4, s7, s4
	s_mul_i32 s8, s4, s5
	s_sub_i32 s7, s7, s8
	s_add_i32 s9, s4, 1
	s_sub_i32 s8, s7, s5
	s_cmp_ge_u32 s7, s5
	s_cselect_b32 s4, s9, s4
	s_cselect_b32 s7, s8, s7
	s_add_i32 s8, s4, 1
	s_cmp_ge_u32 s7, s5
	s_cselect_b32 s4, s8, s4
	s_xor_b32 s4, s4, s6
	s_sub_i32 s33, s4, s6
	s_abs_i32 s31, s33
	v_cvt_f32_u32_e32 v1, s31
	s_load_dwordx16 s[4:19], s[0:1], 0x0
	v_rcp_iflag_f32_e32 v1, v1
	s_waitcnt lgkmcnt(0)
	s_cmp_eq_u64 s[10:11], 0
	v_mul_f32_e32 v1, 0x4f7ffffe, v1
	v_cvt_u32_f32_e32 v1, v1
	s_nop 0
	v_readfirstlane_b32 s34, v1
	s_cbranch_scc1 .LBB46_2
; %bb.1:
	s_abs_i32 s28, s28
	v_cvt_f32_u32_e32 v1, s28
	s_sub_i32 s37, 0, s28
	s_abs_i32 s36, s30
	s_ashr_i32 s35, s30, 31
	v_rcp_iflag_f32_e32 v1, v1
	s_load_dwordx2 s[26:27], s[0:1], 0xc8
	v_mul_f32_e32 v1, 0x4f7ffffe, v1
	v_cvt_u32_f32_e32 v1, v1
	s_nop 0
	v_readfirstlane_b32 s38, v1
	s_mul_i32 s37, s37, s38
	s_mul_hi_u32 s37, s38, s37
	s_add_i32 s38, s38, s37
	s_mul_hi_u32 s37, s36, s38
	s_mul_i32 s37, s37, s28
	s_sub_i32 s36, s36, s37
	s_sub_i32 s37, s36, s28
	s_cmp_ge_u32 s36, s28
	s_cselect_b32 s36, s37, s36
	s_sub_i32 s37, s36, s28
	s_cmp_ge_u32 s36, s28
	s_cselect_b32 s28, s37, s36
	s_xor_b32 s28, s28, s35
	s_sub_i32 s28, s28, s35
	s_ashr_i32 s35, s28, 31
	s_waitcnt lgkmcnt(0)
	s_mul_hi_u32 s36, s26, s28
	s_mul_i32 s35, s26, s35
	s_mul_i32 s27, s27, s28
	s_add_i32 s35, s36, s35
	s_add_i32 s35, s35, s27
	s_mul_i32 s26, s26, s28
	s_add_u32 s26, s10, s26
	s_addc_u32 s27, s11, s35
.LBB46_2:
	s_load_dwordx4 s[36:39], s[0:1], 0x70
	v_lshrrev_b32_e32 v1, 10, v0
	v_bfe_u32 v1, v1, 1, 9
	v_lshl_add_u32 v44, s2, 1, v1
	v_mul_hi_u32 v1, s20, v44
	s_waitcnt lgkmcnt(0)
	s_mul_i32 s10, s30, s38
	s_ashr_i32 s28, s10, 31
	s_mul_i32 s11, s25, s37
	s_add_u32 s4, s4, s10
	s_addc_u32 s5, s5, s28
	s_ashr_i32 s10, s11, 31
	s_add_u32 s4, s4, s11
	v_add_u32_e32 v1, v44, v1
	s_addc_u32 s5, s5, s10
	s_ashr_i32 s11, s37, 31
	s_mov_b32 s10, s37
	v_lshrrev_b32_e32 v1, s21, v1
	v_bfe_u32 v5, v0, 10, 1
	s_lshr_b64 s[38:39], s[10:11], 2
	s_lshr_b32 s10, s11, 2
	v_mul_lo_u32 v1, v1, s22
	s_ashr_i32 s37, s36, 31
	v_mul_lo_u32 v3, s10, v5
	v_sub_u32_e32 v1, v44, v1
	s_lshr_b64 s[10:11], s[36:37], 2
	v_mad_u64_u32 v[6:7], s[10:11], s10, v1, 0
	v_mov_b32_e32 v4, v7
	s_lshr_b32 s10, s37, 2
	v_mul_lo_u32 v2, s38, v5
	v_mad_u64_u32 v[8:9], s[10:11], s10, v1, v[4:5]
	v_mov_b32_e32 v7, v8
	v_and_b32_e32 v4, 0x3ff, v0
	v_lshl_add_u64 v[2:3], v[2:3], 2, s[4:5]
	v_lshl_add_u64 v[2:3], v[6:7], 2, v[2:3]
	v_lshlrev_b32_e32 v6, 4, v4
	v_mov_b32_e32 v7, 0
	v_lshl_add_u64 v[2:3], v[2:3], 0, v[6:7]
	global_load_dwordx4 v[6:9], v[2:3], off
	s_load_dword s4, s[0:1], 0x40
	v_bfe_u32 v0, v0, 10, 10
	v_mov_b32_e32 v2, 0x4400
	v_lshl_add_u32 v46, v0, 8, v2
	v_lshlrev_b32_e32 v43, 3, v4
	v_add_u32_e32 v10, v46, v43
	s_cmp_eq_u64 s[14:15], 0
	s_waitcnt vmcnt(0) lgkmcnt(0)
	v_fma_mixlo_f16 v2, s4, v6, 0
	v_fma_mixlo_f16 v3, s4, v8, 0
	v_mov_b32_e32 v6, v9
	v_and_b32_e32 v8, 0xffff, v2
	v_and_b32_e32 v9, 0xffff, v3
	v_pk_mul_f32 v[2:3], s[4:5], v[6:7] op_sel_hi:[0,1]
	v_cvt_pk_f16_f32 v2, v2, v3
	v_lshlrev_b32_e32 v3, 16, v2
	v_and_b32_e32 v2, 0xffff0000, v2
	v_or_b32_e32 v2, v2, v8
	v_or3_b32 v3, v3, v9, 0
	v_or3_b32 v2, 0, 0, v2
	ds_write_b64 v10, v[2:3]
	s_waitcnt lgkmcnt(0)
	s_barrier
	s_cbranch_scc1 .LBB46_4
; %bb.3:
	s_load_dword s4, s[0:1], 0xd0
	s_mov_b32 s5, 0
	s_waitcnt lgkmcnt(0)
	s_mul_i32 s4, s4, s30
	s_add_i32 s4, s4, s2
	s_lshl_b64 s[4:5], s[4:5], 2
	s_add_u32 s4, s14, s4
	s_addc_u32 s5, s15, s5
	s_load_dword s24, s[4:5], 0x0
.LBB46_4:
	s_lshl_b32 s2, s3, 6
	s_waitcnt lgkmcnt(0)
	s_cmp_lt_i32 s2, s24
	v_mbcnt_lo_u32_b32 v2, -1, 0
	s_cbranch_scc1 .LBB46_7
; %bb.5:
	v_mbcnt_hi_u32_b32 v25, -1, v2
	v_and_b32_e32 v3, 0x60, v25
	v_add_u32_e32 v47, 32, v3
	v_xor_b32_e32 v56, 16, v25
	v_xor_b32_e32 v53, 8, v25
	;; [unrolled: 1-line block ×5, first 2 shown]
	v_lshlrev_b32_e32 v45, 2, v4
	s_cbranch_execz .LBB46_8
; %bb.6:
	v_mov_b32_e32 v80, 0
	v_mov_b32_e32 v82, 0
	;; [unrolled: 1-line block ×4, first 2 shown]
	s_branch .LBB46_10
.LBB46_7:
                                        ; implicit-def: $vgpr25
                                        ; implicit-def: $vgpr47
                                        ; implicit-def: $vgpr56
                                        ; implicit-def: $vgpr53
                                        ; implicit-def: $vgpr51
                                        ; implicit-def: $vgpr50
                                        ; implicit-def: $vgpr48
	v_lshlrev_b32_e32 v45, 2, v4
.LBB46_8:
	s_sub_i32 s4, 0, s31
	s_mul_i32 s4, s4, s34
	s_mul_hi_u32 s4, s34, s4
	s_add_i32 s34, s34, s4
	s_load_dwordx2 s[4:5], s[0:1], 0x8c
	s_load_dwordx4 s[36:39], s[0:1], 0x98
	s_abs_i32 s14, s25
	s_mul_hi_u32 s15, s14, s34
	s_ashr_i32 s28, s25, 31
	s_waitcnt lgkmcnt(0)
	s_ashr_i32 s11, s4, 2
	s_ashr_i32 s4, s30, 31
	s_mul_hi_u32 s34, s36, s30
	s_mul_i32 s35, s36, s4
	s_add_i32 s34, s34, s35
	s_mul_i32 s35, s37, s30
	s_ashr_i32 s33, s33, 31
	s_ashr_i32 s10, s38, 2
	;; [unrolled: 1-line block ×3, first 2 shown]
	s_add_i32 s34, s34, s35
	s_mul_i32 s35, s36, s30
	s_add_u32 s6, s6, s35
	s_addc_u32 s7, s7, s34
	s_xor_b32 s28, s28, s33
	s_mul_i32 s33, s15, s31
	s_sub_i32 s14, s14, s33
	s_add_i32 s33, s15, 1
	s_sub_i32 s34, s14, s31
	s_cmp_ge_u32 s14, s31
	s_cselect_b32 s15, s33, s15
	s_cselect_b32 s14, s34, s14
	s_add_i32 s33, s15, 1
	s_cmp_ge_u32 s14, s31
	s_load_dwordx2 s[20:21], s[0:1], 0xa8
	s_cselect_b32 s14, s33, s15
	s_xor_b32 s14, s14, s28
	s_sub_i32 s28, s14, s28
	s_mul_i32 s5, s28, s5
	s_ashr_i32 s15, s5, 31
	s_add_u32 s14, s6, s5
	s_waitcnt lgkmcnt(0)
	s_mul_hi_u32 s5, s20, s30
	s_mul_i32 s4, s20, s4
	s_addc_u32 s15, s7, s15
	s_add_i32 s4, s5, s4
	s_mul_i32 s5, s21, s30
	s_add_i32 s4, s4, s5
	s_mul_i32 s5, s20, s30
	s_add_u32 s5, s8, s5
	s_mul_i32 s28, s28, s39
	s_addc_u32 s4, s9, s4
	s_ashr_i32 s6, s28, 31
	s_add_u32 s20, s5, s28
	v_lshrrev_b32_e32 v3, 4, v4
	v_and_b32_e32 v6, 60, v45
	s_addc_u32 s21, s4, s6
	v_lshl_add_u32 v3, v0, 1, v3
	v_lshlrev_b32_e32 v26, 2, v6
	s_movk_i32 s4, 0x110
	v_mad_u32_u24 v49, v3, s4, v26
	v_mul_lo_u32 v8, s11, v3
	s_lshl_b32 s4, s11, 3
	v_add_u32_e32 v10, s4, v8
	v_add_u32_e32 v12, s4, v10
	;; [unrolled: 1-line block ×7, first 2 shown]
	v_mad_u64_u32 v[24:25], s[4:5], v1, s29, v[4:5]
	v_lshl_or_b32 v64, v3, 8, v26
	v_mul_lo_u32 v26, s10, v3
	s_lshl_b32 s4, s10, 3
	v_add_u32_e32 v28, s4, v26
	v_add_u32_e32 v30, s4, v28
	;; [unrolled: 1-line block ×5, first 2 shown]
	v_mov_b32_e32 v1, 0x4800
	v_add_u32_e32 v38, s4, v36
	v_mbcnt_hi_u32_b32 v25, -1, v2
	v_mov_b32_e32 v7, 0
	v_lshl_add_u32 v62, v0, 7, v1
	v_add_u32_e32 v40, s4, v38
	s_add_u32 s8, s0, 0xd0
	v_and_b32_e32 v0, 0x60, v25
	v_ashrrev_i32_e32 v9, 31, v8
	v_add_u32_e32 v52, 0x880, v49
	v_ashrrev_i32_e32 v11, 31, v10
	v_add_u32_e32 v54, 0x1100, v49
	;; [unrolled: 2-line block ×7, first 2 shown]
	v_ashrrev_i32_e32 v23, 31, v22
	v_mul_u32_u24_e32 v61, 0x110, v4
	v_lshl_add_u32 v63, v4, 1, v62
	v_ashrrev_i32_e32 v27, 31, v26
	v_add_u32_e32 v65, 0x800, v64
	v_ashrrev_i32_e32 v29, 31, v28
	v_add_u32_e32 v66, 0x1000, v64
	v_ashrrev_i32_e32 v31, 31, v30
	v_add_u32_e32 v67, 0x1800, v64
	v_ashrrev_i32_e32 v33, 31, v32
	v_add_u32_e32 v68, 0x2000, v64
	v_ashrrev_i32_e32 v35, 31, v34
	v_add_u32_e32 v69, 0x2800, v64
	v_ashrrev_i32_e32 v37, 31, v36
	v_add_u32_e32 v70, 0x3000, v64
	v_ashrrev_i32_e32 v39, 31, v38
	v_add_u32_e32 v71, 0x3800, v64
	v_ashrrev_i32_e32 v41, 31, v40
	s_addc_u32 s9, s1, 0
	v_mov_b32_e32 v42, 0xfeffffff
	v_lshlrev_b32_e32 v6, 2, v6
	v_add_u32_e32 v47, 32, v0
	v_xor_b32_e32 v56, 16, v25
	v_xor_b32_e32 v53, 8, v25
	;; [unrolled: 1-line block ×5, first 2 shown]
	s_mov_b32 s28, 0x3fb8aa3b
	s_mov_b32 s29, 0xc2ce8ed0
	;; [unrolled: 1-line block ×3, first 2 shown]
	v_mov_b32_e32 v72, 0x7f800000
	s_mov_b32 s33, 0x10001
	v_add_u32_e32 v73, 0x800, v43
	v_add_u32_e32 v74, 0x1000, v43
	;; [unrolled: 1-line block ×7, first 2 shown]
	v_mov_b32_e32 v81, v7
	v_mov_b32_e32 v80, v7
	;; [unrolled: 1-line block ×3, first 2 shown]
.LBB46_9:                               ; =>This Inner Loop Header: Depth=1
	v_cmp_lt_i32_e32 vcc, v56, v47
	v_mov_b32_e32 v0, v42
	s_mul_hi_i32 s5, s2, s11
	v_cndmask_b32_e32 v3, v25, v56, vcc
	v_cmp_lt_i32_e32 vcc, v53, v47
	s_mul_i32 s4, s2, s11
	s_lshl_b64 s[4:5], s[4:5], 2
	v_cndmask_b32_e32 v42, v25, v53, vcc
	v_cmp_lt_i32_e32 vcc, v51, v47
	v_add_u32_e32 v84, s2, v24
	s_add_u32 s4, s14, s4
	v_cndmask_b32_e32 v83, v25, v51, vcc
	v_cmp_lt_i32_e32 vcc, v50, v47
	v_ashrrev_i32_e32 v85, 31, v84
	s_addc_u32 s5, s15, s5
	v_cndmask_b32_e32 v86, v25, v50, vcc
	v_cmp_lt_i32_e32 vcc, v48, v47
	v_mov_b32_e32 v132, v82
	v_lshlrev_b32_e32 v133, 2, v83
	v_cndmask_b32_e32 v87, v25, v48, vcc
	v_lshlrev_b32_e32 v134, 2, v86
	v_lshlrev_b32_e32 v135, 2, v87
	v_lshl_add_u64 v[114:115], v[84:85], 1, s[26:27]
	v_lshl_add_u64 v[82:83], v[8:9], 2, s[4:5]
	;; [unrolled: 1-line block ×17, first 2 shown]
	global_load_dwordx4 v[82:85], v[106:107], off
	global_load_dwordx4 v[86:89], v[108:109], off
	global_load_dwordx4 v[90:93], v[110:111], off
	global_load_dwordx4 v[94:97], v[112:113], off
	global_load_dwordx4 v[98:101], v[116:117], off
	global_load_dwordx4 v[102:105], v[118:119], off
                                        ; kill: killed $vgpr108_vgpr109
                                        ; kill: killed $vgpr116_vgpr117
                                        ; kill: killed $vgpr106_vgpr107
                                        ; kill: killed $vgpr112_vgpr113
                                        ; kill: killed $vgpr110_vgpr111
                                        ; kill: killed $vgpr118_vgpr119
	s_nop 0
	global_load_dwordx4 v[106:109], v[120:121], off
	global_load_dwordx4 v[110:113], v[122:123], off
	s_mul_hi_i32 s7, s2, s10
	s_mul_i32 s6, s2, s10
	s_lshl_b64 s[6:7], s[6:7], 2
	s_add_u32 s4, s20, s6
	s_addc_u32 s5, s21, s7
	v_mov_b32_e32 v1, 0
	v_mov_b32_e32 v2, 0
	v_lshl_add_u64 v[116:117], v[26:27], 2, s[4:5]
	v_lshl_add_u64 v[118:119], v[28:29], 2, s[4:5]
	;; [unrolled: 1-line block ×6, first 2 shown]
	v_lshlrev_b32_e32 v3, 2, v3
	v_lshlrev_b32_e32 v42, 2, v42
	s_waitcnt vmcnt(7)
	ds_write_b128 v49, v[82:85]
	v_lshl_add_u64 v[82:83], v[32:33], 2, s[4:5]
	v_lshl_add_u64 v[84:85], v[34:35], 2, s[4:5]
	s_waitcnt vmcnt(6)
	ds_write_b128 v52, v[86:89]
	v_lshl_add_u64 v[86:87], v[36:37], 2, s[4:5]
	v_lshl_add_u64 v[88:89], v[38:39], 2, s[4:5]
	;; [unrolled: 4-line block ×3, first 2 shown]
	v_lshl_add_u64 v[124:125], v[84:85], 0, v[6:7]
	v_lshl_add_u64 v[126:127], v[86:87], 0, v[6:7]
	v_lshl_add_u64 v[128:129], v[88:89], 0, v[6:7]
	v_lshl_add_u64 v[130:131], v[90:91], 0, v[6:7]
	s_waitcnt vmcnt(4)
	ds_write_b128 v55, v[94:97]
	s_waitcnt vmcnt(3)
	ds_write_b128 v57, v[98:101]
	;; [unrolled: 2-line block ×5, first 2 shown]
	s_waitcnt lgkmcnt(0)
	s_barrier
	ds_read_b128 v[82:85], v61
	ds_read_b128 v[86:89], v46
	ds_read_b128 v[90:93], v61 offset:8704
	s_waitcnt lgkmcnt(1)
	;;#ASMSTART
	v_dot2_f32_f16 v1, v82, v86, v1
	;;#ASMEND
	s_nop 0
	;;#ASMSTART
	v_dot2_f32_f16 v1, v83, v87, v1
	;;#ASMEND
	s_nop 0
	;;#ASMSTART
	v_dot2_f32_f16 v1, v84, v88, v1
	;;#ASMEND
	s_nop 0
	;;#ASMSTART
	v_dot2_f32_f16 v1, v85, v89, v1
	;;#ASMEND
	s_waitcnt lgkmcnt(0)
	;;#ASMSTART
	v_dot2_f32_f16 v2, v90, v86, v2
	;;#ASMEND
	s_nop 0
	;;#ASMSTART
	v_dot2_f32_f16 v2, v91, v87, v2
	;;#ASMEND
	s_nop 0
	;;#ASMSTART
	v_dot2_f32_f16 v2, v92, v88, v2
	;;#ASMEND
	s_nop 0
	;;#ASMSTART
	v_dot2_f32_f16 v2, v93, v89, v2
	;;#ASMEND
	ds_read_b128 v[82:85], v61 offset:16
	ds_read_b128 v[86:89], v46 offset:16
	ds_read_b128 v[90:93], v61 offset:8720
	s_waitcnt lgkmcnt(1)
	;;#ASMSTART
	v_dot2_f32_f16 v1, v82, v86, v1
	;;#ASMEND
	s_nop 0
	;;#ASMSTART
	v_dot2_f32_f16 v1, v83, v87, v1
	;;#ASMEND
	s_nop 0
	;;#ASMSTART
	v_dot2_f32_f16 v1, v84, v88, v1
	;;#ASMEND
	s_nop 0
	;;#ASMSTART
	v_dot2_f32_f16 v1, v85, v89, v1
	;;#ASMEND
	s_waitcnt lgkmcnt(0)
	;;#ASMSTART
	v_dot2_f32_f16 v2, v90, v86, v2
	;;#ASMEND
	s_nop 0
	;;#ASMSTART
	v_dot2_f32_f16 v2, v91, v87, v2
	;;#ASMEND
	s_nop 0
	;;#ASMSTART
	v_dot2_f32_f16 v2, v92, v88, v2
	;;#ASMEND
	s_nop 0
	;;#ASMSTART
	v_dot2_f32_f16 v2, v93, v89, v2
	;;#ASMEND
	ds_read_b128 v[82:85], v61 offset:32
	ds_read_b128 v[86:89], v46 offset:32
	;; [unrolled: 35-line block ×15, first 2 shown]
	ds_read_b128 v[90:93], v61 offset:8944
	s_waitcnt lgkmcnt(1)
	;;#ASMSTART
	v_dot2_f32_f16 v1, v82, v86, v1
	;;#ASMEND
	s_nop 0
	;;#ASMSTART
	v_dot2_f32_f16 v1, v83, v87, v1
	;;#ASMEND
	s_nop 0
	;; [unrolled: 4-line block ×3, first 2 shown]
	;;#ASMSTART
	v_dot2_f32_f16 v1, v85, v89, v1
	;;#ASMEND
	s_waitcnt lgkmcnt(0)
	;;#ASMSTART
	v_dot2_f32_f16 v2, v90, v86, v2
	;;#ASMEND
	s_nop 0
	;;#ASMSTART
	v_dot2_f32_f16 v2, v91, v87, v2
	;;#ASMEND
	s_nop 0
	;; [unrolled: 4-line block ×3, first 2 shown]
	;;#ASMSTART
	v_dot2_f32_f16 v2, v93, v89, v2
	;;#ASMEND
	global_load_ushort v82, v[114:115], off
	global_load_ushort v83, v[114:115], off offset:64
	s_barrier
	global_load_dwordx4 v[84:87], v[116:117], off
	global_load_dwordx4 v[88:91], v[118:119], off
	;; [unrolled: 1-line block ×6, first 2 shown]
                                        ; kill: killed $vgpr120_vgpr121
                                        ; kill: killed $vgpr122_vgpr123
                                        ; kill: killed $vgpr116_vgpr117
                                        ; kill: killed $vgpr124_vgpr125
                                        ; kill: killed $vgpr118_vgpr119
                                        ; kill: killed $vgpr126_vgpr127
	global_load_dwordx4 v[108:111], v[128:129], off
	global_load_dwordx4 v[112:115], v[130:131], off
	s_waitcnt vmcnt(9)
	v_cvt_f32_f16_e32 v82, v82
	s_waitcnt vmcnt(8)
	v_cvt_f32_f16_e32 v83, v83
	v_add_f32_e32 v1, v1, v82
	v_add_f32_e32 v2, v2, v83
	;; [unrolled: 1-line block ×4, first 2 shown]
	v_max3_f32 v82, v0, v82, v83
	ds_bpermute_b32 v3, v3, v82
	s_waitcnt lgkmcnt(0)
	v_max_f32_e32 v3, v3, v3
	v_max_f32_e32 v3, v82, v3
	ds_bpermute_b32 v42, v42, v3
	s_waitcnt lgkmcnt(0)
	v_max_f32_e32 v42, v42, v42
	v_max_f32_e32 v3, v3, v42
	;; [unrolled: 4-line block ×5, first 2 shown]
	v_sub_f32_e32 v0, v0, v42
	v_sub_f32_e32 v1, v1, v42
	;; [unrolled: 1-line block ×3, first 2 shown]
	v_mul_f32_e32 v3, 0x3fb8aa3b, v1
	v_mul_f32_e32 v82, 0x3fb8aa3b, v2
	;; [unrolled: 1-line block ×3, first 2 shown]
	v_fma_f32 v116, v1, s28, -v3
	v_rndne_f32_e32 v117, v3
	v_fma_f32 v118, v2, s28, -v82
	v_rndne_f32_e32 v119, v82
	;; [unrolled: 2-line block ×3, first 2 shown]
	v_fmac_f32_e32 v116, 0x32a5705f, v1
	v_sub_f32_e32 v3, v3, v117
	v_fmac_f32_e32 v118, 0x32a5705f, v2
	v_sub_f32_e32 v82, v82, v119
	;; [unrolled: 2-line block ×3, first 2 shown]
	v_add_f32_e32 v3, v3, v116
	v_add_f32_e32 v82, v82, v118
	;; [unrolled: 1-line block ×3, first 2 shown]
	v_cvt_i32_f32_e32 v117, v117
	v_cvt_i32_f32_e32 v119, v119
	;; [unrolled: 1-line block ×3, first 2 shown]
	v_exp_f32_e32 v3, v3
	v_exp_f32_e32 v82, v82
	;; [unrolled: 1-line block ×3, first 2 shown]
	v_cmp_ngt_f32_e32 vcc, s29, v2
	v_ldexp_f32 v3, v3, v117
	v_ldexp_f32 v82, v82, v119
	;; [unrolled: 1-line block ×3, first 2 shown]
	v_cmp_ngt_f32_e64 s[4:5], s29, v0
	v_cmp_ngt_f32_e64 s[6:7], s29, v1
	v_cndmask_b32_e32 v82, 0, v82, vcc
	v_cmp_nlt_f32_e32 vcc, s31, v2
	v_cndmask_b32_e64 v3, 0, v3, s[6:7]
	v_cndmask_b32_e64 v2, 0, v83, s[4:5]
	v_cmp_nlt_f32_e64 s[4:5], s31, v0
	v_cmp_nlt_f32_e64 s[6:7], s31, v1
	v_cndmask_b32_e32 v1, v72, v82, vcc
	v_cndmask_b32_e64 v2, v72, v2, s[4:5]
	v_cndmask_b32_e64 v0, v72, v3, s[6:7]
	v_cvt_f16_f32_e32 v3, v0
	v_add_f32_e32 v82, v0, v1
	v_cvt_f16_f32_e32 v0, v2
	v_cvt_f16_f32_e32 v1, v1
	v_fmac_f32_e32 v82, v132, v2
	ds_write_b16 v63, v3
	ds_write_b16 v63, v1 offset:64
	s_waitcnt vmcnt(7)
	ds_write_b128 v64, v[84:87]
	s_waitcnt vmcnt(6)
	ds_write_b128 v65, v[88:91]
	;; [unrolled: 2-line block ×8, first 2 shown]
	v_mul_u32_u24_e32 v83, 0x10001, v0
	s_waitcnt lgkmcnt(0)
	s_barrier
	ds_read2_b64 v[84:87], v43 offset1:32
	ds_read_b128 v[88:91], v62
	ds_read_b128 v[92:95], v62 offset:16
	ds_read_b128 v[96:99], v62 offset:32
	;; [unrolled: 1-line block ×3, first 2 shown]
	ds_read2_b64 v[100:103], v43 offset0:64 offset1:96
	ds_read2_b64 v[104:107], v43 offset0:128 offset1:160
	ds_read2_b64 v[108:111], v43 offset0:192 offset1:224
	ds_read2_b64 v[112:115], v73 offset1:32
	ds_read2_b64 v[116:119], v73 offset0:64 offset1:96
	ds_read2_b64 v[120:123], v73 offset0:128 offset1:160
	s_waitcnt lgkmcnt(9)
	v_mul_u32_u24_sdwa v124, v88, s33 dst_sel:DWORD dst_unused:UNUSED_PAD src0_sel:WORD_0 src1_sel:DWORD
	v_pk_mul_f16 v84, v84, v124
	v_pk_mul_f16 v85, v85, v124
	v_pk_fma_f16 v81, v81, v83, v84
	v_mul_u32_u24_sdwa v84, v88, s33 dst_sel:DWORD dst_unused:UNUSED_PAD src0_sel:WORD_1 src1_sel:DWORD
	v_pk_fma_f16 v80, v80, v83, v85
	v_pk_fma_f16 v81, v86, v84, v81
	v_pk_fma_f16 v80, v87, v84, v80
	v_mul_u32_u24_sdwa v83, v89, s33 dst_sel:DWORD dst_unused:UNUSED_PAD src0_sel:WORD_0 src1_sel:DWORD
	v_mul_u32_u24_sdwa v88, v89, s33 dst_sel:DWORD dst_unused:UNUSED_PAD src0_sel:WORD_1 src1_sel:DWORD
	s_waitcnt lgkmcnt(5)
	v_pk_fma_f16 v81, v100, v83, v81
	v_pk_fma_f16 v80, v101, v83, v80
	;; [unrolled: 1-line block ×4, first 2 shown]
	v_mul_u32_u24_sdwa v83, v90, s33 dst_sel:DWORD dst_unused:UNUSED_PAD src0_sel:WORD_0 src1_sel:DWORD
	v_mul_u32_u24_sdwa v124, v90, s33 dst_sel:DWORD dst_unused:UNUSED_PAD src0_sel:WORD_1 src1_sel:DWORD
	s_waitcnt lgkmcnt(4)
	v_pk_fma_f16 v81, v104, v83, v81
	v_pk_fma_f16 v80, v105, v83, v80
	v_mul_u32_u24_sdwa v125, v91, s33 dst_sel:DWORD dst_unused:UNUSED_PAD src0_sel:WORD_0 src1_sel:DWORD
	v_pk_fma_f16 v81, v106, v124, v81
	v_pk_fma_f16 v80, v107, v124, v80
	v_mul_u32_u24_sdwa v126, v91, s33 dst_sel:DWORD dst_unused:UNUSED_PAD src0_sel:WORD_1 src1_sel:DWORD
	s_waitcnt lgkmcnt(3)
	v_pk_fma_f16 v81, v108, v125, v81
	v_pk_fma_f16 v80, v109, v125, v80
	v_pk_fma_f16 v81, v110, v126, v81
	v_pk_fma_f16 v80, v111, v126, v80
	v_mul_u32_u24_sdwa v83, v92, s33 dst_sel:DWORD dst_unused:UNUSED_PAD src0_sel:WORD_0 src1_sel:DWORD
	v_mul_u32_u24_sdwa v92, v92, s33 dst_sel:DWORD dst_unused:UNUSED_PAD src0_sel:WORD_1 src1_sel:DWORD
	s_waitcnt lgkmcnt(2)
	v_pk_fma_f16 v81, v112, v83, v81
	v_pk_fma_f16 v80, v113, v83, v80
	ds_read2_b64 v[84:87], v73 offset0:192 offset1:224
	v_pk_fma_f16 v81, v114, v92, v81
	v_pk_fma_f16 v80, v115, v92, v80
	v_mul_u32_u24_sdwa v83, v93, s33 dst_sel:DWORD dst_unused:UNUSED_PAD src0_sel:WORD_0 src1_sel:DWORD
	v_mul_u32_u24_sdwa v92, v93, s33 dst_sel:DWORD dst_unused:UNUSED_PAD src0_sel:WORD_1 src1_sel:DWORD
	s_waitcnt lgkmcnt(2)
	v_pk_fma_f16 v81, v116, v83, v81
	v_pk_fma_f16 v80, v117, v83, v80
	ds_read2_b64 v[100:103], v74 offset1:32
	v_pk_fma_f16 v81, v118, v92, v81
	v_pk_fma_f16 v80, v119, v92, v80
	v_mul_u32_u24_sdwa v83, v94, s33 dst_sel:DWORD dst_unused:UNUSED_PAD src0_sel:WORD_0 src1_sel:DWORD
	v_mul_u32_u24_sdwa v124, v94, s33 dst_sel:DWORD dst_unused:UNUSED_PAD src0_sel:WORD_1 src1_sel:DWORD
	s_waitcnt lgkmcnt(2)
	v_pk_fma_f16 v81, v120, v83, v81
	v_pk_fma_f16 v80, v121, v83, v80
	ds_read2_b64 v[88:91], v74 offset0:64 offset1:96
	v_mul_u32_u24_sdwa v125, v95, s33 dst_sel:DWORD dst_unused:UNUSED_PAD src0_sel:WORD_0 src1_sel:DWORD
	v_pk_fma_f16 v81, v122, v124, v81
	v_pk_fma_f16 v80, v123, v124, v80
	v_mul_u32_u24_sdwa v126, v95, s33 dst_sel:DWORD dst_unused:UNUSED_PAD src0_sel:WORD_1 src1_sel:DWORD
	s_waitcnt lgkmcnt(2)
	v_pk_fma_f16 v81, v84, v125, v81
	v_pk_fma_f16 v80, v85, v125, v80
	ds_read2_b64 v[104:107], v74 offset0:128 offset1:160
	v_pk_fma_f16 v81, v86, v126, v81
	v_pk_fma_f16 v80, v87, v126, v80
	v_mul_u32_u24_sdwa v83, v96, s33 dst_sel:DWORD dst_unused:UNUSED_PAD src0_sel:WORD_0 src1_sel:DWORD
	v_mul_u32_u24_sdwa v96, v96, s33 dst_sel:DWORD dst_unused:UNUSED_PAD src0_sel:WORD_1 src1_sel:DWORD
	s_waitcnt lgkmcnt(2)
	v_pk_fma_f16 v81, v100, v83, v81
	v_pk_fma_f16 v80, v101, v83, v80
	ds_read2_b64 v[108:111], v74 offset0:192 offset1:224
	v_pk_fma_f16 v81, v102, v96, v81
	v_pk_fma_f16 v80, v103, v96, v80
	v_mul_u32_u24_sdwa v83, v97, s33 dst_sel:DWORD dst_unused:UNUSED_PAD src0_sel:WORD_0 src1_sel:DWORD
	v_mul_u32_u24_sdwa v96, v97, s33 dst_sel:DWORD dst_unused:UNUSED_PAD src0_sel:WORD_1 src1_sel:DWORD
	s_waitcnt lgkmcnt(2)
	v_pk_fma_f16 v81, v88, v83, v81
	v_pk_fma_f16 v80, v89, v83, v80
	ds_read2_b64 v[112:115], v75 offset1:32
	v_pk_fma_f16 v81, v90, v96, v81
	v_pk_fma_f16 v80, v91, v96, v80
	v_mul_u32_u24_sdwa v83, v98, s33 dst_sel:DWORD dst_unused:UNUSED_PAD src0_sel:WORD_0 src1_sel:DWORD
	v_mul_u32_u24_sdwa v124, v98, s33 dst_sel:DWORD dst_unused:UNUSED_PAD src0_sel:WORD_1 src1_sel:DWORD
	s_waitcnt lgkmcnt(2)
	v_pk_fma_f16 v81, v104, v83, v81
	v_pk_fma_f16 v80, v105, v83, v80
	ds_read2_b64 v[116:119], v75 offset0:64 offset1:96
	v_mul_u32_u24_sdwa v125, v99, s33 dst_sel:DWORD dst_unused:UNUSED_PAD src0_sel:WORD_0 src1_sel:DWORD
	v_pk_fma_f16 v81, v106, v124, v81
	v_pk_fma_f16 v80, v107, v124, v80
	v_mul_u32_u24_sdwa v126, v99, s33 dst_sel:DWORD dst_unused:UNUSED_PAD src0_sel:WORD_1 src1_sel:DWORD
	s_waitcnt lgkmcnt(2)
	v_pk_fma_f16 v81, v108, v125, v81
	v_pk_fma_f16 v80, v109, v125, v80
	ds_read2_b64 v[92:95], v75 offset0:128 offset1:160
	v_pk_fma_f16 v81, v110, v126, v81
	v_pk_fma_f16 v80, v111, v126, v80
	v_mul_u32_u24_sdwa v83, v0, s33 dst_sel:DWORD dst_unused:UNUSED_PAD src0_sel:WORD_0 src1_sel:DWORD
	v_mul_u32_u24_sdwa v0, v0, s33 dst_sel:DWORD dst_unused:UNUSED_PAD src0_sel:WORD_1 src1_sel:DWORD
	s_waitcnt lgkmcnt(2)
	v_pk_fma_f16 v81, v112, v83, v81
	v_pk_fma_f16 v80, v113, v83, v80
	ds_read2_b64 v[120:123], v75 offset0:192 offset1:224
	v_pk_fma_f16 v81, v114, v0, v81
	v_pk_fma_f16 v0, v115, v0, v80
	v_mul_u32_u24_sdwa v80, v1, s33 dst_sel:DWORD dst_unused:UNUSED_PAD src0_sel:WORD_0 src1_sel:DWORD
	ds_read_b128 v[100:103], v62 offset:64
	ds_read_b128 v[112:115], v62 offset:80
	v_mul_u32_u24_sdwa v1, v1, s33 dst_sel:DWORD dst_unused:UNUSED_PAD src0_sel:WORD_1 src1_sel:DWORD
	s_waitcnt lgkmcnt(4)
	v_pk_fma_f16 v81, v116, v80, v81
	v_pk_fma_f16 v0, v117, v80, v0
	ds_read2_b64 v[84:87], v76 offset1:32
	v_pk_fma_f16 v80, v118, v1, v81
	v_pk_fma_f16 v0, v119, v1, v0
	v_mul_u32_u24_sdwa v1, v2, s33 dst_sel:DWORD dst_unused:UNUSED_PAD src0_sel:WORD_0 src1_sel:DWORD
	v_mul_u32_u24_sdwa v81, v2, s33 dst_sel:DWORD dst_unused:UNUSED_PAD src0_sel:WORD_1 src1_sel:DWORD
	s_waitcnt lgkmcnt(4)
	v_pk_fma_f16 v80, v92, v1, v80
	v_pk_fma_f16 v92, v93, v1, v0
	ds_read2_b64 v[88:91], v76 offset0:64 offset1:96
	v_mul_u32_u24_sdwa v83, v3, s33 dst_sel:DWORD dst_unused:UNUSED_PAD src0_sel:WORD_0 src1_sel:DWORD
	v_pk_fma_f16 v80, v94, v81, v80
	v_pk_fma_f16 v81, v95, v81, v92
	v_mul_u32_u24_sdwa v124, v3, s33 dst_sel:DWORD dst_unused:UNUSED_PAD src0_sel:WORD_1 src1_sel:DWORD
	s_waitcnt lgkmcnt(4)
	v_pk_fma_f16 v80, v120, v83, v80
	v_pk_fma_f16 v81, v121, v83, v81
	ds_read2_b64 v[96:99], v76 offset0:128 offset1:160
	v_pk_fma_f16 v80, v122, v124, v80
	v_pk_fma_f16 v81, v123, v124, v81
	s_waitcnt lgkmcnt(4)
	v_mul_u32_u24_sdwa v83, v100, s33 dst_sel:DWORD dst_unused:UNUSED_PAD src0_sel:WORD_0 src1_sel:DWORD
	v_mul_u32_u24_sdwa v100, v100, s33 dst_sel:DWORD dst_unused:UNUSED_PAD src0_sel:WORD_1 src1_sel:DWORD
	s_waitcnt lgkmcnt(2)
	v_pk_fma_f16 v80, v84, v83, v80
	v_pk_fma_f16 v81, v85, v83, v81
	ds_read2_b64 v[104:107], v76 offset0:192 offset1:224
	v_pk_fma_f16 v80, v86, v100, v80
	v_pk_fma_f16 v81, v87, v100, v81
	v_mul_u32_u24_sdwa v83, v101, s33 dst_sel:DWORD dst_unused:UNUSED_PAD src0_sel:WORD_0 src1_sel:DWORD
	v_mul_u32_u24_sdwa v100, v101, s33 dst_sel:DWORD dst_unused:UNUSED_PAD src0_sel:WORD_1 src1_sel:DWORD
	s_waitcnt lgkmcnt(2)
	v_pk_fma_f16 v80, v88, v83, v80
	v_pk_fma_f16 v81, v89, v83, v81
	ds_read2_b64 v[108:111], v77 offset1:32
	v_pk_fma_f16 v80, v90, v100, v80
	v_pk_fma_f16 v81, v91, v100, v81
	v_mul_u32_u24_sdwa v83, v102, s33 dst_sel:DWORD dst_unused:UNUSED_PAD src0_sel:WORD_0 src1_sel:DWORD
	v_mul_u32_u24_sdwa v124, v102, s33 dst_sel:DWORD dst_unused:UNUSED_PAD src0_sel:WORD_1 src1_sel:DWORD
	s_waitcnt lgkmcnt(2)
	v_pk_fma_f16 v80, v96, v83, v80
	v_pk_fma_f16 v81, v97, v83, v81
	ds_read2_b64 v[116:119], v77 offset0:64 offset1:96
	v_mul_u32_u24_sdwa v125, v103, s33 dst_sel:DWORD dst_unused:UNUSED_PAD src0_sel:WORD_0 src1_sel:DWORD
	v_pk_fma_f16 v80, v98, v124, v80
	v_pk_fma_f16 v81, v99, v124, v81
	v_mul_u32_u24_sdwa v126, v103, s33 dst_sel:DWORD dst_unused:UNUSED_PAD src0_sel:WORD_1 src1_sel:DWORD
	s_waitcnt lgkmcnt(2)
	v_pk_fma_f16 v80, v104, v125, v80
	v_pk_fma_f16 v81, v105, v125, v81
	ds_read2_b64 v[0:3], v77 offset0:128 offset1:160
	v_mul_u32_u24_sdwa v83, v112, s33 dst_sel:DWORD dst_unused:UNUSED_PAD src0_sel:WORD_0 src1_sel:DWORD
	v_pk_fma_f16 v80, v106, v126, v80
	v_pk_fma_f16 v81, v107, v126, v81
	;; [unrolled: 8-line block ×3, first 2 shown]
	ds_read_b128 v[84:87], v62 offset:96
	ds_read_b128 v[108:111], v62 offset:112
	v_mul_u32_u24_sdwa v113, v113, s33 dst_sel:DWORD dst_unused:UNUSED_PAD src0_sel:WORD_1 src1_sel:DWORD
	s_waitcnt lgkmcnt(4)
	v_pk_fma_f16 v80, v116, v124, v80
	v_pk_fma_f16 v81, v117, v124, v81
	ds_read2_b64 v[120:123], v78 offset1:32
	v_mul_u32_u24_sdwa v125, v114, s33 dst_sel:DWORD dst_unused:UNUSED_PAD src0_sel:WORD_0 src1_sel:DWORD
	v_pk_fma_f16 v80, v118, v113, v80
	v_pk_fma_f16 v81, v119, v113, v81
	v_mul_u32_u24_sdwa v114, v114, s33 dst_sel:DWORD dst_unused:UNUSED_PAD src0_sel:WORD_1 src1_sel:DWORD
	s_waitcnt lgkmcnt(4)
	v_pk_fma_f16 v0, v0, v125, v80
	v_pk_fma_f16 v1, v1, v125, v81
	ds_read2_b64 v[88:91], v78 offset0:64 offset1:96
	v_mul_u32_u24_sdwa v126, v115, s33 dst_sel:DWORD dst_unused:UNUSED_PAD src0_sel:WORD_0 src1_sel:DWORD
	v_pk_fma_f16 v80, v2, v114, v0
	v_pk_fma_f16 v81, v3, v114, v1
	v_mul_u32_u24_sdwa v115, v115, s33 dst_sel:DWORD dst_unused:UNUSED_PAD src0_sel:WORD_1 src1_sel:DWORD
	s_waitcnt lgkmcnt(4)
	v_pk_fma_f16 v80, v92, v126, v80
	v_pk_fma_f16 v81, v93, v126, v81
	ds_read2_b64 v[100:103], v78 offset0:128 offset1:160
	s_waitcnt lgkmcnt(4)
	v_mul_u32_u24_sdwa v83, v84, s33 dst_sel:DWORD dst_unused:UNUSED_PAD src0_sel:WORD_0 src1_sel:DWORD
	v_pk_fma_f16 v80, v94, v115, v80
	v_pk_fma_f16 v81, v95, v115, v81
	v_mul_u32_u24_sdwa v112, v84, s33 dst_sel:DWORD dst_unused:UNUSED_PAD src0_sel:WORD_1 src1_sel:DWORD
	s_waitcnt lgkmcnt(2)
	v_pk_fma_f16 v80, v120, v83, v80
	v_pk_fma_f16 v81, v121, v83, v81
	ds_read2_b64 v[96:99], v78 offset0:192 offset1:224
	v_mul_u32_u24_sdwa v113, v85, s33 dst_sel:DWORD dst_unused:UNUSED_PAD src0_sel:WORD_0 src1_sel:DWORD
	v_pk_fma_f16 v80, v122, v112, v80
	v_pk_fma_f16 v81, v123, v112, v81
	v_mul_u32_u24_sdwa v116, v85, s33 dst_sel:DWORD dst_unused:UNUSED_PAD src0_sel:WORD_1 src1_sel:DWORD
	s_waitcnt lgkmcnt(2)
	v_pk_fma_f16 v80, v88, v113, v80
	v_pk_fma_f16 v81, v89, v113, v81
	ds_read2_b64 v[104:107], v79 offset1:32
	v_mul_u32_u24_sdwa v117, v86, s33 dst_sel:DWORD dst_unused:UNUSED_PAD src0_sel:WORD_0 src1_sel:DWORD
	v_pk_fma_f16 v80, v90, v116, v80
	v_pk_fma_f16 v81, v91, v116, v81
	v_mul_u32_u24_sdwa v118, v86, s33 dst_sel:DWORD dst_unused:UNUSED_PAD src0_sel:WORD_1 src1_sel:DWORD
	s_waitcnt lgkmcnt(2)
	v_pk_fma_f16 v80, v100, v117, v80
	v_pk_fma_f16 v81, v101, v117, v81
	v_mul_u32_u24_sdwa v119, v87, s33 dst_sel:DWORD dst_unused:UNUSED_PAD src0_sel:WORD_0 src1_sel:DWORD
	v_mul_u32_u24_sdwa v124, v87, s33 dst_sel:DWORD dst_unused:UNUSED_PAD src0_sel:WORD_1 src1_sel:DWORD
	ds_read2_b64 v[84:87], v79 offset0:64 offset1:96
	v_pk_fma_f16 v80, v102, v118, v80
	v_pk_fma_f16 v81, v103, v118, v81
	s_waitcnt lgkmcnt(2)
	v_pk_fma_f16 v80, v96, v119, v80
	v_pk_fma_f16 v81, v97, v119, v81
	ds_read2_b64 v[0:3], v79 offset0:128 offset1:160
	v_mul_u32_u24_sdwa v114, v108, s33 dst_sel:DWORD dst_unused:UNUSED_PAD src0_sel:WORD_0 src1_sel:DWORD
	v_pk_fma_f16 v80, v98, v124, v80
	v_pk_fma_f16 v81, v99, v124, v81
	v_mul_u32_u24_sdwa v108, v108, s33 dst_sel:DWORD dst_unused:UNUSED_PAD src0_sel:WORD_1 src1_sel:DWORD
	ds_read2_b64 v[92:95], v79 offset0:192 offset1:224
	s_waitcnt lgkmcnt(0)
	s_barrier
	s_load_dword s4, s[8:9], 0x4
	v_pk_fma_f16 v80, v104, v114, v80
	v_pk_fma_f16 v81, v105, v114, v81
	v_mul_u32_u24_sdwa v115, v109, s33 dst_sel:DWORD dst_unused:UNUSED_PAD src0_sel:WORD_0 src1_sel:DWORD
	v_pk_fma_f16 v80, v106, v108, v80
	v_pk_fma_f16 v81, v107, v108, v81
	v_mul_u32_u24_sdwa v109, v109, s33 dst_sel:DWORD dst_unused:UNUSED_PAD src0_sel:WORD_1 src1_sel:DWORD
	v_pk_fma_f16 v80, v84, v115, v80
	v_pk_fma_f16 v81, v85, v115, v81
	v_mul_u32_u24_sdwa v125, v110, s33 dst_sel:DWORD dst_unused:UNUSED_PAD src0_sel:WORD_0 src1_sel:DWORD
	v_pk_fma_f16 v80, v86, v109, v80
	v_pk_fma_f16 v81, v87, v109, v81
	v_mul_u32_u24_sdwa v110, v110, s33 dst_sel:DWORD dst_unused:UNUSED_PAD src0_sel:WORD_1 src1_sel:DWORD
	v_pk_fma_f16 v0, v0, v125, v80
	v_pk_fma_f16 v1, v1, v125, v81
	v_mul_u32_u24_sdwa v126, v111, s33 dst_sel:DWORD dst_unused:UNUSED_PAD src0_sel:WORD_0 src1_sel:DWORD
	s_waitcnt lgkmcnt(0)
	s_lshl_b32 s4, s4, 6
	v_pk_fma_f16 v0, v2, v110, v0
	v_pk_fma_f16 v1, v3, v110, v1
	v_mul_u32_u24_sdwa v111, v111, s33 dst_sel:DWORD dst_unused:UNUSED_PAD src0_sel:WORD_1 src1_sel:DWORD
	s_add_i32 s2, s4, s2
	v_pk_fma_f16 v0, v92, v126, v0
	v_pk_fma_f16 v1, v93, v126, v1
	s_cmp_ge_i32 s2, s24
	v_pk_fma_f16 v81, v94, v111, v0
	v_pk_fma_f16 v80, v95, v111, v1
	s_cbranch_scc0 .LBB46_9
.LBB46_10:
	v_cmp_lt_i32_e32 vcc, v56, v47
	s_cmp_lg_u64 s[12:13], 0
	s_cselect_b64 s[4:5], -1, 0
	v_cndmask_b32_e32 v0, v25, v56, vcc
	v_lshlrev_b32_e32 v0, 2, v0
	ds_bpermute_b32 v0, v0, v82
	v_cmp_lt_i32_e32 vcc, v53, v47
	s_cmp_eq_u32 s3, 0
	s_cselect_b64 s[6:7], -1, 0
	v_cndmask_b32_e32 v1, v25, v53, vcc
	v_lshlrev_b32_e32 v1, 2, v1
	s_waitcnt lgkmcnt(0)
	v_add_f32_e32 v0, v82, v0
	ds_bpermute_b32 v1, v1, v0
	v_cmp_lt_i32_e32 vcc, v51, v47
	s_and_b64 s[4:5], s[6:7], s[4:5]
	s_waitcnt lgkmcnt(0)
	v_add_f32_e32 v0, v0, v1
	v_cndmask_b32_e32 v2, v25, v51, vcc
	v_lshlrev_b32_e32 v2, 2, v2
	ds_bpermute_b32 v1, v2, v0
	v_cmp_lt_i32_e32 vcc, v50, v47
	s_waitcnt lgkmcnt(0)
	v_add_f32_e32 v0, v0, v1
	v_cndmask_b32_e32 v2, v25, v50, vcc
	v_lshlrev_b32_e32 v2, 2, v2
	ds_bpermute_b32 v1, v2, v0
	v_cmp_lt_i32_e32 vcc, v48, v47
	s_waitcnt lgkmcnt(0)
	v_add_f32_e32 v0, v0, v1
	v_cndmask_b32_e32 v2, v25, v48, vcc
	v_lshlrev_b32_e32 v2, 2, v2
	ds_bpermute_b32 v1, v2, v0
	s_and_b64 vcc, exec, s[4:5]
	s_waitcnt lgkmcnt(0)
	v_add_f32_e32 v43, v0, v1
	s_cbranch_vccz .LBB46_13
; %bb.11:
	v_add_u32_e32 v0, s25, v5
	v_ashrrev_i32_e32 v1, 31, v0
	v_lshl_add_u64 v[0:1], v[0:1], 2, s[12:13]
	global_load_dword v1, v[0:1], off
	v_max_f32_e32 v0, v42, v42
	s_mov_b32 s2, 0x3fb8aa3b
	s_mov_b32 s4, 0xc2ce8ed0
	s_waitcnt vmcnt(0)
	v_max_f32_e32 v2, v1, v1
	v_max_f32_e32 v0, v0, v2
	v_sub_f32_e32 v2, v42, v0
	v_sub_f32_e32 v1, v1, v0
	v_mul_f32_e32 v3, 0x3fb8aa3b, v2
	v_mul_f32_e32 v6, 0x3fb8aa3b, v1
	v_fma_f32 v7, v2, s2, -v3
	v_rndne_f32_e32 v8, v3
	v_fma_f32 v9, v1, s2, -v6
	v_rndne_f32_e32 v10, v6
	v_fmac_f32_e32 v7, 0x32a5705f, v2
	v_sub_f32_e32 v3, v3, v8
	v_fmac_f32_e32 v9, 0x32a5705f, v1
	v_sub_f32_e32 v6, v6, v10
	v_add_f32_e32 v3, v3, v7
	v_cvt_i32_f32_e32 v8, v8
	v_add_f32_e32 v6, v6, v9
	v_exp_f32_e32 v3, v3
	v_cvt_i32_f32_e32 v10, v10
	v_exp_f32_e32 v6, v6
	v_cmp_ngt_f32_e32 vcc, s4, v2
	v_ldexp_f32 v3, v3, v8
	s_mov_b32 s2, 0x42b17218
	v_ldexp_f32 v6, v6, v10
	v_cndmask_b32_e32 v3, 0, v3, vcc
	v_cmp_ngt_f32_e32 vcc, s4, v1
	v_mov_b32_e32 v7, 0x7f800000
	s_nop 0
	v_cndmask_b32_e32 v6, 0, v6, vcc
	v_cmp_nlt_f32_e32 vcc, s2, v2
	s_nop 1
	v_cndmask_b32_e32 v2, v7, v3, vcc
	v_cvt_f16_f32_e32 v3, v2
	v_cmp_nlt_f32_e32 vcc, s2, v1
	s_nop 1
	v_cndmask_b32_e32 v1, v7, v6, vcc
	v_fmac_f32_e32 v1, v43, v2
	v_mul_u32_u24_e32 v2, 0x10001, v3
	v_pk_mul_f16 v81, v81, v2
	v_pk_mul_f16 v80, v80, v2
	v_mov_b64_e32 v[42:43], v[0:1]
	v_cmp_gt_i32_e32 vcc, s22, v44
	s_and_saveexec_b64 s[4:5], vcc
	s_cbranch_execnz .LBB46_14
.LBB46_12:
	s_endpgm
.LBB46_13:
	v_mov_b32_e32 v1, v43
	v_cmp_gt_i32_e32 vcc, s22, v44
	s_and_saveexec_b64 s[4:5], vcc
	s_cbranch_execz .LBB46_12
.LBB46_14:
	s_load_dword s2, s[0:1], 0xd4
	v_div_scale_f32 v0, s[0:1], v1, v1, 1.0
	v_rcp_f32_e32 v6, v0
	s_mul_i32 s30, s30, s22
	s_waitcnt lgkmcnt(0)
	s_cmp_lg_u32 s2, 1
	s_cselect_b64 s[0:1], -1, 0
	v_fma_f32 v7, -v0, v6, 1.0
	v_fmac_f32_e32 v6, v7, v6
	v_div_scale_f32 v7, vcc, 1.0, v1, 1.0
	v_mul_f32_e32 v8, v7, v6
	v_fma_f32 v9, -v0, v8, v7
	v_fmac_f32_e32 v8, v9, v6
	v_fma_f32 v0, -v0, v8, v7
	v_div_fmas_f32 v0, v0, v6, v8
	v_div_fixup_f32 v0, v0, v1, 1.0
	v_cndmask_b32_e64 v6, v0, 1.0, s[0:1]
	v_add_u32_e32 v0, s30, v44
	v_mul_lo_u32 v0, v0, s23
	v_add3_u32 v0, s25, v5, v0
	v_mul_lo_u32 v0, s2, v0
	v_add_u32_e32 v0, s3, v0
	v_mov_b32_e32 v2, s16
	v_mov_b32_e32 v3, s17
	v_lshl_add_u32 v8, v0, 7, v45
	v_mov_b32_e32 v9, 0
	v_lshl_add_u64 v[8:9], v[8:9], 2, v[2:3]
	v_cvt_f32_f16_sdwa v3, v81 dst_sel:DWORD dst_unused:UNUSED_PAD src0_sel:WORD_1
	v_cvt_f32_f16_e32 v2, v81
	v_cvt_f32_f16_sdwa v11, v80 dst_sel:DWORD dst_unused:UNUSED_PAD src0_sel:WORD_1
	v_cvt_f32_f16_e32 v10, v80
	v_cmp_eq_u32_e32 vcc, 0, v4
	s_and_b64 s[0:1], vcc, s[0:1]
	v_pk_mul_f32 v[2:3], v[6:7], v[2:3] op_sel_hi:[0,1]
	v_pk_mul_f32 v[4:5], v[6:7], v[10:11] op_sel_hi:[0,1]
	global_store_dwordx4 v[8:9], v[2:5], off
	s_and_b64 exec, exec, s[0:1]
	s_cbranch_execz .LBB46_12
; %bb.15:
	v_mov_b32_e32 v2, s18
	v_mov_b32_e32 v3, s19
	v_ashrrev_i32_e32 v1, 31, v0
	v_lshl_add_u64 v[0:1], v[0:1], 3, v[2:3]
	global_store_dwordx2 v[0:1], v[42:43], off
	s_endpgm
	.section	.rodata,"a",@progbits
	.p2align	6, 0x0
	.amdhsa_kernel _ZL15flash_attn_tileILi128ELi128ELi2ELi2ELb0EEvPKcS1_S1_S1_S1_PKiPfP15HIP_vector_typeIfLj2EEffffjfiS5_IjLj3EEiiiiiiiiiiiliiliiiiil
		.amdhsa_group_segment_fixed_size 18944
		.amdhsa_private_segment_fixed_size 0
		.amdhsa_kernarg_size 464
		.amdhsa_user_sgpr_count 2
		.amdhsa_user_sgpr_dispatch_ptr 0
		.amdhsa_user_sgpr_queue_ptr 0
		.amdhsa_user_sgpr_kernarg_segment_ptr 1
		.amdhsa_user_sgpr_dispatch_id 0
		.amdhsa_user_sgpr_kernarg_preload_length 0
		.amdhsa_user_sgpr_kernarg_preload_offset 0
		.amdhsa_user_sgpr_private_segment_size 0
		.amdhsa_uses_dynamic_stack 0
		.amdhsa_enable_private_segment 0
		.amdhsa_system_sgpr_workgroup_id_x 1
		.amdhsa_system_sgpr_workgroup_id_y 1
		.amdhsa_system_sgpr_workgroup_id_z 1
		.amdhsa_system_sgpr_workgroup_info 0
		.amdhsa_system_vgpr_workitem_id 1
		.amdhsa_next_free_vgpr 136
		.amdhsa_next_free_sgpr 96
		.amdhsa_accum_offset 136
		.amdhsa_reserve_vcc 1
		.amdhsa_float_round_mode_32 0
		.amdhsa_float_round_mode_16_64 0
		.amdhsa_float_denorm_mode_32 3
		.amdhsa_float_denorm_mode_16_64 3
		.amdhsa_dx10_clamp 1
		.amdhsa_ieee_mode 1
		.amdhsa_fp16_overflow 0
		.amdhsa_tg_split 0
		.amdhsa_exception_fp_ieee_invalid_op 0
		.amdhsa_exception_fp_denorm_src 0
		.amdhsa_exception_fp_ieee_div_zero 0
		.amdhsa_exception_fp_ieee_overflow 0
		.amdhsa_exception_fp_ieee_underflow 0
		.amdhsa_exception_fp_ieee_inexact 0
		.amdhsa_exception_int_div_zero 0
	.end_amdhsa_kernel
	.section	.text._ZL15flash_attn_tileILi128ELi128ELi2ELi2ELb0EEvPKcS1_S1_S1_S1_PKiPfP15HIP_vector_typeIfLj2EEffffjfiS5_IjLj3EEiiiiiiiiiiiliiliiiiil,"axG",@progbits,_ZL15flash_attn_tileILi128ELi128ELi2ELi2ELb0EEvPKcS1_S1_S1_S1_PKiPfP15HIP_vector_typeIfLj2EEffffjfiS5_IjLj3EEiiiiiiiiiiiliiliiiiil,comdat
.Lfunc_end46:
	.size	_ZL15flash_attn_tileILi128ELi128ELi2ELi2ELb0EEvPKcS1_S1_S1_S1_PKiPfP15HIP_vector_typeIfLj2EEffffjfiS5_IjLj3EEiiiiiiiiiiiliiliiiiil, .Lfunc_end46-_ZL15flash_attn_tileILi128ELi128ELi2ELi2ELb0EEvPKcS1_S1_S1_S1_PKiPfP15HIP_vector_typeIfLj2EEffffjfiS5_IjLj3EEiiiiiiiiiiiliiliiiiil
                                        ; -- End function
	.set _ZL15flash_attn_tileILi128ELi128ELi2ELi2ELb0EEvPKcS1_S1_S1_S1_PKiPfP15HIP_vector_typeIfLj2EEffffjfiS5_IjLj3EEiiiiiiiiiiiliiliiiiil.num_vgpr, 136
	.set _ZL15flash_attn_tileILi128ELi128ELi2ELi2ELb0EEvPKcS1_S1_S1_S1_PKiPfP15HIP_vector_typeIfLj2EEffffjfiS5_IjLj3EEiiiiiiiiiiiliiliiiiil.num_agpr, 0
	.set _ZL15flash_attn_tileILi128ELi128ELi2ELi2ELb0EEvPKcS1_S1_S1_S1_PKiPfP15HIP_vector_typeIfLj2EEffffjfiS5_IjLj3EEiiiiiiiiiiiliiliiiiil.numbered_sgpr, 40
	.set _ZL15flash_attn_tileILi128ELi128ELi2ELi2ELb0EEvPKcS1_S1_S1_S1_PKiPfP15HIP_vector_typeIfLj2EEffffjfiS5_IjLj3EEiiiiiiiiiiiliiliiiiil.num_named_barrier, 0
	.set _ZL15flash_attn_tileILi128ELi128ELi2ELi2ELb0EEvPKcS1_S1_S1_S1_PKiPfP15HIP_vector_typeIfLj2EEffffjfiS5_IjLj3EEiiiiiiiiiiiliiliiiiil.private_seg_size, 0
	.set _ZL15flash_attn_tileILi128ELi128ELi2ELi2ELb0EEvPKcS1_S1_S1_S1_PKiPfP15HIP_vector_typeIfLj2EEffffjfiS5_IjLj3EEiiiiiiiiiiiliiliiiiil.uses_vcc, 1
	.set _ZL15flash_attn_tileILi128ELi128ELi2ELi2ELb0EEvPKcS1_S1_S1_S1_PKiPfP15HIP_vector_typeIfLj2EEffffjfiS5_IjLj3EEiiiiiiiiiiiliiliiiiil.uses_flat_scratch, 0
	.set _ZL15flash_attn_tileILi128ELi128ELi2ELi2ELb0EEvPKcS1_S1_S1_S1_PKiPfP15HIP_vector_typeIfLj2EEffffjfiS5_IjLj3EEiiiiiiiiiiiliiliiiiil.has_dyn_sized_stack, 0
	.set _ZL15flash_attn_tileILi128ELi128ELi2ELi2ELb0EEvPKcS1_S1_S1_S1_PKiPfP15HIP_vector_typeIfLj2EEffffjfiS5_IjLj3EEiiiiiiiiiiiliiliiiiil.has_recursion, 0
	.set _ZL15flash_attn_tileILi128ELi128ELi2ELi2ELb0EEvPKcS1_S1_S1_S1_PKiPfP15HIP_vector_typeIfLj2EEffffjfiS5_IjLj3EEiiiiiiiiiiiliiliiiiil.has_indirect_call, 0
	.section	.AMDGPU.csdata,"",@progbits
; Kernel info:
; codeLenInByte = 8592
; TotalNumSgprs: 46
; NumVgprs: 136
; NumAgprs: 0
; TotalNumVgprs: 136
; ScratchSize: 0
; MemoryBound: 0
; FloatMode: 240
; IeeeMode: 1
; LDSByteSize: 18944 bytes/workgroup (compile time only)
; SGPRBlocks: 12
; VGPRBlocks: 16
; NumSGPRsForWavesPerEU: 102
; NumVGPRsForWavesPerEU: 136
; AccumOffset: 136
; Occupancy: 3
; WaveLimiterHint : 1
; COMPUTE_PGM_RSRC2:SCRATCH_EN: 0
; COMPUTE_PGM_RSRC2:USER_SGPR: 2
; COMPUTE_PGM_RSRC2:TRAP_HANDLER: 0
; COMPUTE_PGM_RSRC2:TGID_X_EN: 1
; COMPUTE_PGM_RSRC2:TGID_Y_EN: 1
; COMPUTE_PGM_RSRC2:TGID_Z_EN: 1
; COMPUTE_PGM_RSRC2:TIDIG_COMP_CNT: 1
; COMPUTE_PGM_RSRC3_GFX90A:ACCUM_OFFSET: 33
; COMPUTE_PGM_RSRC3_GFX90A:TG_SPLIT: 0
	.section	.text._ZL33flash_attn_stream_k_fixup_uniformILi128ELi2ELi2EEvPfPK15HIP_vector_typeIfLj2EEiiiiiiS1_IjLj3EES5_S5_,"axG",@progbits,_ZL33flash_attn_stream_k_fixup_uniformILi128ELi2ELi2EEvPfPK15HIP_vector_typeIfLj2EEiiiiiiS1_IjLj3EES5_S5_,comdat
	.globl	_ZL33flash_attn_stream_k_fixup_uniformILi128ELi2ELi2EEvPfPK15HIP_vector_typeIfLj2EEiiiiiiS1_IjLj3EES5_S5_ ; -- Begin function _ZL33flash_attn_stream_k_fixup_uniformILi128ELi2ELi2EEvPfPK15HIP_vector_typeIfLj2EEiiiiiiS1_IjLj3EES5_S5_
	.p2align	8
	.type	_ZL33flash_attn_stream_k_fixup_uniformILi128ELi2ELi2EEvPfPK15HIP_vector_typeIfLj2EEiiiiiiS1_IjLj3EES5_S5_,@function
_ZL33flash_attn_stream_k_fixup_uniformILi128ELi2ELi2EEvPfPK15HIP_vector_typeIfLj2EEiiiiiiS1_IjLj3EES5_S5_: ; @_ZL33flash_attn_stream_k_fixup_uniformILi128ELi2ELi2EEvPfPK15HIP_vector_typeIfLj2EEiiiiiiS1_IjLj3EES5_S5_
; %bb.0:
	s_load_dwordx8 s[8:15], s[0:1], 0x1c
	s_load_dwordx2 s[6:7], s[0:1], 0x10
	s_load_dwordx4 s[20:23], s[0:1], 0x3c
	s_waitcnt lgkmcnt(0)
	s_mul_hi_u32 s5, s11, s2
	s_add_i32 s5, s2, s5
	s_lshr_b32 s5, s5, s12
	s_mul_i32 s11, s5, s13
	s_sub_i32 s11, s2, s11
	s_mul_hi_u32 s12, s11, s14
	s_add_i32 s12, s11, s12
	s_lshr_b32 s16, s12, s15
	s_mul_i32 s12, s16, s20
	s_sub_i32 s11, s11, s12
	;; [unrolled: 5-line block ×3, first 2 shown]
	s_lshl_b32 s11, s12, 1
	s_lshl_b32 s12, s17, 1
	s_add_i32 s12, s12, s3
	s_cmp_lt_i32 s12, s6
	s_cselect_b64 s[12:13], -1, 0
	s_add_i32 s14, s11, s4
	s_cmp_lt_i32 s14, s9
	s_cselect_b64 s[14:15], -1, 0
	s_and_b64 s[12:13], s[12:13], s[14:15]
	s_andn2_b64 vcc, exec, s[12:13]
	s_cbranch_vccnz .LBB47_6
; %bb.1:
	s_load_dwordx4 s[12:15], s[0:1], 0x0
	s_mul_i32 s0, s5, s6
	s_add_i32 s0, s0, s3
	s_mul_i32 s0, s0, s7
	s_mul_i32 s16, s16, s9
	s_add_i32 s0, s0, s4
	s_add_i32 s0, s0, s16
	s_mul_i32 s1, s7, s17
	s_add_i32 s0, s0, s11
	s_lshl_b32 s1, s1, 8
	s_lshl_b32 s0, s0, 7
	s_add_i32 s1, s1, s0
	v_or_b32_e32 v4, s1, v0
	s_waitcnt lgkmcnt(0)
	v_mov_b32_e32 v2, s12
	v_mov_b32_e32 v3, s13
	v_ashrrev_i32_e32 v5, 31, v4
	v_lshl_add_u64 v[2:3], v[4:5], 2, v[2:3]
	global_load_dword v5, v[2:3], off
	s_mul_i32 s5, s10, s2
	s_lshl_b32 s11, s3, 1
	s_add_i32 s9, s5, s10
	s_add_i32 s0, s11, s4
	s_lshl_b32 s1, s9, 2
	s_add_i32 s0, s0, s1
	s_add_i32 s0, s0, -4
	s_ashr_i32 s1, s0, 31
	s_lshl_b64 s[0:1], s[0:1], 3
	s_add_u32 s0, s14, s0
	s_addc_u32 s1, s15, s1
	s_load_dword s12, s[0:1], 0x4
	s_add_i32 s6, s9, -2
	s_cmp_lt_i32 s6, s5
	s_cbranch_scc1 .LBB47_4
; %bb.2:
	s_lshl_b32 s6, s8, 4
	s_ashr_i32 s7, s6, 31
	s_lshl_b64 s[6:7], s[6:7], 2
	s_add_u32 s6, s14, s6
	s_addc_u32 s7, s15, s7
	s_add_i32 s2, s2, 1
	s_load_dword s0, s[0:1], 0x0
	s_mul_i32 s1, s10, s2
	s_lshl_b32 s3, s3, 8
	s_lshl_b32 s10, s4, 7
	;; [unrolled: 1-line block ×3, first 2 shown]
	s_add_i32 s3, s10, s3
	s_lshl_b32 s1, s1, 2
	s_add_i32 s3, s3, s2
	s_add_i32 s1, s4, s1
	s_lshl_b32 s2, s8, 2
	s_add_i32 s1, s1, s2
	v_or_b32_e32 v0, s3, v0
	s_add_i32 s1, s1, s11
	s_add_i32 s9, s9, -1
	v_add_u32_e32 v0, 0xfffffc00, v0
	s_add_i32 s2, s1, -8
	s_waitcnt lgkmcnt(0)
	v_mov_b32_e32 v7, s0
	v_mov_b32_e32 v4, s12
	s_mov_b32 s4, 0x3fb8aa3b
	s_mov_b32 s8, 0xc2ce8ed0
	;; [unrolled: 1-line block ×3, first 2 shown]
	v_mov_b32_e32 v6, 0x7f800000
	s_mov_b32 s11, 0xc1a00000
.LBB47_3:                               ; =>This Inner Loop Header: Depth=1
	v_ashrrev_i32_e32 v1, 31, v0
	v_lshl_add_u64 v[8:9], v[0:1], 2, s[6:7]
	global_load_dword v9, v[8:9], off
	s_ashr_i32 s3, s2, 31
	s_lshl_b64 s[0:1], s[2:3], 3
	s_add_u32 s0, s14, s0
	s_addc_u32 s1, s15, s1
	s_load_dwordx2 s[0:1], s[0:1], 0x0
	v_max_f32_e32 v1, v7, v7
	s_add_i32 s9, s9, -1
	s_add_i32 s2, s2, -4
	v_add_u32_e32 v0, 0xfffffe00, v0
	s_waitcnt lgkmcnt(0)
	v_max_f32_e64 v10, s0, s0
	v_max_f32_e32 v1, v1, v10
	v_sub_f32_e32 v11, s0, v1
	v_sub_f32_e32 v10, v7, v1
	v_mul_f32_e32 v12, 0x3fb8aa3b, v11
	v_mov_b32_e32 v7, v1
	v_mul_f32_e32 v1, 0x3fb8aa3b, v10
	v_fma_f32 v15, v11, s4, -v12
	v_rndne_f32_e32 v16, v12
	v_fma_f32 v13, v10, s4, -v1
	v_rndne_f32_e32 v14, v1
	v_fmac_f32_e32 v15, 0x32a5705f, v11
	v_sub_f32_e32 v12, v12, v16
	v_fmac_f32_e32 v13, 0x32a5705f, v10
	v_sub_f32_e32 v1, v1, v14
	v_add_f32_e32 v12, v12, v15
	v_cvt_i32_f32_e32 v16, v16
	v_add_f32_e32 v1, v1, v13
	v_exp_f32_e32 v12, v12
	v_cvt_i32_f32_e32 v14, v14
	v_exp_f32_e32 v1, v1
	v_cmp_ngt_f32_e32 vcc, s8, v11
	v_ldexp_f32 v12, v12, v16
	v_mov_b32_e32 v8, s1
	v_ldexp_f32 v1, v1, v14
	v_cmp_ngt_f32_e64 s[0:1], s8, v10
	v_cndmask_b32_e32 v12, 0, v12, vcc
	v_cmp_nlt_f32_e32 vcc, s10, v11
	v_cndmask_b32_e64 v1, 0, v1, s[0:1]
	v_cmp_nlt_f32_e64 s[0:1], s10, v10
	v_cndmask_b32_e32 v12, v6, v12, vcc
	v_cmp_le_f32_e32 vcc, s11, v11
	v_cndmask_b32_e64 v1, v6, v1, s[0:1]
	v_cmp_le_f32_e64 s[0:1], s11, v10
	v_cndmask_b32_e32 v12, 0, v12, vcc
	s_cmp_le_i32 s9, s5
	v_cndmask_b32_e64 v10, 0, v1, s[0:1]
	s_waitcnt vmcnt(0)
	v_pk_mul_f32 v[8:9], v[8:9], v[12:13] op_sel_hi:[1,0]
	s_nop 0
	v_pk_fma_f32 v[4:5], v[4:5], v[10:11], v[8:9] op_sel_hi:[1,0,1]
	s_cbranch_scc0 .LBB47_3
	s_branch .LBB47_5
.LBB47_4:
	s_waitcnt lgkmcnt(0)
	v_mov_b32_e32 v4, s12
.LBB47_5:
	s_waitcnt vmcnt(0)
	v_div_scale_f32 v0, s[0:1], v4, v4, v5
	v_rcp_f32_e32 v1, v0
	v_div_scale_f32 v6, vcc, v5, v4, v5
	v_fma_f32 v7, -v0, v1, 1.0
	v_fmac_f32_e32 v1, v7, v1
	v_mul_f32_e32 v7, v6, v1
	v_fma_f32 v8, -v0, v7, v6
	v_fmac_f32_e32 v7, v8, v1
	v_fma_f32 v0, -v0, v7, v6
	v_div_fmas_f32 v0, v0, v1, v7
	v_div_fixup_f32 v0, v0, v4, v5
	global_store_dword v[2:3], v0, off
.LBB47_6:
	s_endpgm
	.section	.rodata,"a",@progbits
	.p2align	6, 0x0
	.amdhsa_kernel _ZL33flash_attn_stream_k_fixup_uniformILi128ELi2ELi2EEvPfPK15HIP_vector_typeIfLj2EEiiiiiiS1_IjLj3EES5_S5_
		.amdhsa_group_segment_fixed_size 0
		.amdhsa_private_segment_fixed_size 0
		.amdhsa_kernarg_size 76
		.amdhsa_user_sgpr_count 2
		.amdhsa_user_sgpr_dispatch_ptr 0
		.amdhsa_user_sgpr_queue_ptr 0
		.amdhsa_user_sgpr_kernarg_segment_ptr 1
		.amdhsa_user_sgpr_dispatch_id 0
		.amdhsa_user_sgpr_kernarg_preload_length 0
		.amdhsa_user_sgpr_kernarg_preload_offset 0
		.amdhsa_user_sgpr_private_segment_size 0
		.amdhsa_uses_dynamic_stack 0
		.amdhsa_enable_private_segment 0
		.amdhsa_system_sgpr_workgroup_id_x 1
		.amdhsa_system_sgpr_workgroup_id_y 1
		.amdhsa_system_sgpr_workgroup_id_z 1
		.amdhsa_system_sgpr_workgroup_info 0
		.amdhsa_system_vgpr_workitem_id 0
		.amdhsa_next_free_vgpr 17
		.amdhsa_next_free_sgpr 24
		.amdhsa_accum_offset 20
		.amdhsa_reserve_vcc 1
		.amdhsa_float_round_mode_32 0
		.amdhsa_float_round_mode_16_64 0
		.amdhsa_float_denorm_mode_32 3
		.amdhsa_float_denorm_mode_16_64 3
		.amdhsa_dx10_clamp 1
		.amdhsa_ieee_mode 1
		.amdhsa_fp16_overflow 0
		.amdhsa_tg_split 0
		.amdhsa_exception_fp_ieee_invalid_op 0
		.amdhsa_exception_fp_denorm_src 0
		.amdhsa_exception_fp_ieee_div_zero 0
		.amdhsa_exception_fp_ieee_overflow 0
		.amdhsa_exception_fp_ieee_underflow 0
		.amdhsa_exception_fp_ieee_inexact 0
		.amdhsa_exception_int_div_zero 0
	.end_amdhsa_kernel
	.section	.text._ZL33flash_attn_stream_k_fixup_uniformILi128ELi2ELi2EEvPfPK15HIP_vector_typeIfLj2EEiiiiiiS1_IjLj3EES5_S5_,"axG",@progbits,_ZL33flash_attn_stream_k_fixup_uniformILi128ELi2ELi2EEvPfPK15HIP_vector_typeIfLj2EEiiiiiiS1_IjLj3EES5_S5_,comdat
.Lfunc_end47:
	.size	_ZL33flash_attn_stream_k_fixup_uniformILi128ELi2ELi2EEvPfPK15HIP_vector_typeIfLj2EEiiiiiiS1_IjLj3EES5_S5_, .Lfunc_end47-_ZL33flash_attn_stream_k_fixup_uniformILi128ELi2ELi2EEvPfPK15HIP_vector_typeIfLj2EEiiiiiiS1_IjLj3EES5_S5_
                                        ; -- End function
	.set _ZL33flash_attn_stream_k_fixup_uniformILi128ELi2ELi2EEvPfPK15HIP_vector_typeIfLj2EEiiiiiiS1_IjLj3EES5_S5_.num_vgpr, 17
	.set _ZL33flash_attn_stream_k_fixup_uniformILi128ELi2ELi2EEvPfPK15HIP_vector_typeIfLj2EEiiiiiiS1_IjLj3EES5_S5_.num_agpr, 0
	.set _ZL33flash_attn_stream_k_fixup_uniformILi128ELi2ELi2EEvPfPK15HIP_vector_typeIfLj2EEiiiiiiS1_IjLj3EES5_S5_.numbered_sgpr, 24
	.set _ZL33flash_attn_stream_k_fixup_uniformILi128ELi2ELi2EEvPfPK15HIP_vector_typeIfLj2EEiiiiiiS1_IjLj3EES5_S5_.num_named_barrier, 0
	.set _ZL33flash_attn_stream_k_fixup_uniformILi128ELi2ELi2EEvPfPK15HIP_vector_typeIfLj2EEiiiiiiS1_IjLj3EES5_S5_.private_seg_size, 0
	.set _ZL33flash_attn_stream_k_fixup_uniformILi128ELi2ELi2EEvPfPK15HIP_vector_typeIfLj2EEiiiiiiS1_IjLj3EES5_S5_.uses_vcc, 1
	.set _ZL33flash_attn_stream_k_fixup_uniformILi128ELi2ELi2EEvPfPK15HIP_vector_typeIfLj2EEiiiiiiS1_IjLj3EES5_S5_.uses_flat_scratch, 0
	.set _ZL33flash_attn_stream_k_fixup_uniformILi128ELi2ELi2EEvPfPK15HIP_vector_typeIfLj2EEiiiiiiS1_IjLj3EES5_S5_.has_dyn_sized_stack, 0
	.set _ZL33flash_attn_stream_k_fixup_uniformILi128ELi2ELi2EEvPfPK15HIP_vector_typeIfLj2EEiiiiiiS1_IjLj3EES5_S5_.has_recursion, 0
	.set _ZL33flash_attn_stream_k_fixup_uniformILi128ELi2ELi2EEvPfPK15HIP_vector_typeIfLj2EEiiiiiiS1_IjLj3EES5_S5_.has_indirect_call, 0
	.section	.AMDGPU.csdata,"",@progbits
; Kernel info:
; codeLenInByte = 836
; TotalNumSgprs: 30
; NumVgprs: 17
; NumAgprs: 0
; TotalNumVgprs: 17
; ScratchSize: 0
; MemoryBound: 0
; FloatMode: 240
; IeeeMode: 1
; LDSByteSize: 0 bytes/workgroup (compile time only)
; SGPRBlocks: 3
; VGPRBlocks: 2
; NumSGPRsForWavesPerEU: 30
; NumVGPRsForWavesPerEU: 17
; AccumOffset: 20
; Occupancy: 8
; WaveLimiterHint : 0
; COMPUTE_PGM_RSRC2:SCRATCH_EN: 0
; COMPUTE_PGM_RSRC2:USER_SGPR: 2
; COMPUTE_PGM_RSRC2:TRAP_HANDLER: 0
; COMPUTE_PGM_RSRC2:TGID_X_EN: 1
; COMPUTE_PGM_RSRC2:TGID_Y_EN: 1
; COMPUTE_PGM_RSRC2:TGID_Z_EN: 1
; COMPUTE_PGM_RSRC2:TIDIG_COMP_CNT: 0
; COMPUTE_PGM_RSRC3_GFX90A:ACCUM_OFFSET: 4
; COMPUTE_PGM_RSRC3_GFX90A:TG_SPLIT: 0
	.section	.text._ZL33flash_attn_stream_k_fixup_generalILi128ELi2ELi2EEvPfPK15HIP_vector_typeIfLj2EEiiiiS1_IjLj3EES5_S5_S5_,"axG",@progbits,_ZL33flash_attn_stream_k_fixup_generalILi128ELi2ELi2EEvPfPK15HIP_vector_typeIfLj2EEiiiiS1_IjLj3EES5_S5_S5_,comdat
	.globl	_ZL33flash_attn_stream_k_fixup_generalILi128ELi2ELi2EEvPfPK15HIP_vector_typeIfLj2EEiiiiS1_IjLj3EES5_S5_S5_ ; -- Begin function _ZL33flash_attn_stream_k_fixup_generalILi128ELi2ELi2EEvPfPK15HIP_vector_typeIfLj2EEiiiiS1_IjLj3EES5_S5_S5_
	.p2align	8
	.type	_ZL33flash_attn_stream_k_fixup_generalILi128ELi2ELi2EEvPfPK15HIP_vector_typeIfLj2EEiiiiS1_IjLj3EES5_S5_S5_,@function
_ZL33flash_attn_stream_k_fixup_generalILi128ELi2ELi2EEvPfPK15HIP_vector_typeIfLj2EEiiiiS1_IjLj3EES5_S5_S5_: ; @_ZL33flash_attn_stream_k_fixup_generalILi128ELi2ELi2EEvPfPK15HIP_vector_typeIfLj2EEiiiiS1_IjLj3EES5_S5_S5_
; %bb.0:
	s_load_dwordx4 s[8:11], s[0:1], 0x10
	s_load_dword s22, s[0:1], 0x50
	s_mov_b32 s12, 0
	s_waitcnt lgkmcnt(0)
	s_mul_hi_i32 s13, s11, s2
	s_cmp_lg_u64 s[12:13], 0
	s_mul_i32 s5, s11, s2
	s_cbranch_scc0 .LBB48_20
; %bb.1:
	s_add_u32 s6, s22, 0
	s_addc_u32 s7, 0, 0
	s_xor_b64 s[6:7], s[6:7], 0
	v_cvt_f32_u32_e32 v1, s6
	v_cvt_f32_u32_e32 v2, s7
	s_sub_u32 s12, 0, s6
	s_subb_u32 s18, 0, s7
	v_fmamk_f32 v1, v2, 0x4f800000, v1
	v_rcp_f32_e32 v1, v1
	s_nop 0
	v_mul_f32_e32 v1, 0x5f7ffffc, v1
	v_mul_f32_e32 v2, 0x2f800000, v1
	v_trunc_f32_e32 v2, v2
	v_fmamk_f32 v1, v2, 0xcf800000, v1
	v_cvt_u32_f32_e32 v2, v2
	v_cvt_u32_f32_e32 v1, v1
	v_readfirstlane_b32 s19, v2
	v_readfirstlane_b32 s14, v1
	s_mul_i32 s15, s12, s19
	s_mul_hi_u32 s21, s12, s14
	s_mul_i32 s20, s18, s14
	s_add_i32 s15, s21, s15
	s_add_i32 s15, s15, s20
	s_mul_i32 s23, s12, s14
	s_mul_i32 s21, s14, s15
	s_mul_hi_u32 s24, s14, s23
	s_mul_hi_u32 s20, s14, s15
	s_add_u32 s21, s24, s21
	s_addc_u32 s20, 0, s20
	s_mul_hi_u32 s25, s19, s23
	s_mul_i32 s23, s19, s23
	s_add_u32 s21, s21, s23
	s_mul_hi_u32 s24, s19, s15
	s_addc_u32 s20, s20, s25
	s_addc_u32 s21, s24, 0
	s_mul_i32 s15, s19, s15
	s_add_u32 s15, s20, s15
	s_addc_u32 s20, 0, s21
	s_add_u32 s21, s14, s15
	s_cselect_b64 s[14:15], -1, 0
	s_cmp_lg_u64 s[14:15], 0
	s_addc_u32 s19, s19, s20
	s_mul_i32 s14, s12, s19
	s_mul_hi_u32 s15, s12, s21
	s_add_i32 s14, s15, s14
	s_mul_i32 s18, s18, s21
	s_add_i32 s14, s14, s18
	s_mul_i32 s12, s12, s21
	s_mul_hi_u32 s18, s19, s12
	s_mul_i32 s20, s19, s12
	s_mul_i32 s24, s21, s14
	s_mul_hi_u32 s12, s21, s12
	s_mul_hi_u32 s23, s21, s14
	s_add_u32 s12, s12, s24
	s_addc_u32 s23, 0, s23
	s_add_u32 s12, s12, s20
	s_mul_hi_u32 s15, s19, s14
	s_addc_u32 s12, s23, s18
	s_addc_u32 s15, s15, 0
	s_mul_i32 s14, s19, s14
	s_add_u32 s12, s12, s14
	s_addc_u32 s18, 0, s15
	s_add_u32 s20, s21, s12
	s_cselect_b64 s[14:15], -1, 0
	s_cmp_lg_u64 s[14:15], 0
	s_addc_u32 s18, s19, s18
	s_ashr_i32 s14, s13, 31
	s_add_u32 s12, s5, s14
	s_mov_b32 s15, s14
	s_addc_u32 s13, s13, s14
	s_xor_b64 s[12:13], s[12:13], s[14:15]
	s_mul_i32 s21, s12, s18
	s_mul_hi_u32 s23, s12, s20
	s_mul_hi_u32 s19, s12, s18
	s_add_u32 s21, s23, s21
	s_addc_u32 s19, 0, s19
	s_mul_hi_u32 s24, s13, s20
	s_mul_i32 s20, s13, s20
	s_add_u32 s20, s21, s20
	s_mul_hi_u32 s23, s13, s18
	s_addc_u32 s19, s19, s24
	s_addc_u32 s20, s23, 0
	s_mul_i32 s18, s13, s18
	s_add_u32 s23, s19, s18
	s_addc_u32 s24, 0, s20
	s_mul_i32 s18, s6, s24
	s_mul_hi_u32 s19, s6, s23
	s_add_i32 s18, s19, s18
	s_mul_i32 s19, s7, s23
	s_add_i32 s25, s18, s19
	s_sub_i32 s20, s13, s25
	s_mul_i32 s18, s6, s23
	s_sub_u32 s12, s12, s18
	s_cselect_b64 s[18:19], -1, 0
	s_cmp_lg_u64 s[18:19], 0
	s_subb_u32 s26, s20, s7
	s_sub_u32 s27, s12, s6
	s_cselect_b64 s[20:21], -1, 0
	s_cmp_lg_u64 s[20:21], 0
	s_subb_u32 s20, s26, 0
	s_cmp_ge_u32 s20, s7
	s_cselect_b32 s21, -1, 0
	s_cmp_ge_u32 s27, s6
	s_cselect_b32 s26, -1, 0
	s_cmp_eq_u32 s20, s7
	s_cselect_b32 s20, s26, s21
	s_add_u32 s21, s23, 1
	s_addc_u32 s26, s24, 0
	s_add_u32 s27, s23, 2
	s_addc_u32 s28, s24, 0
	s_cmp_lg_u32 s20, 0
	s_cselect_b32 s20, s27, s21
	s_cselect_b32 s21, s28, s26
	s_cmp_lg_u64 s[18:19], 0
	s_subb_u32 s13, s13, s25
	s_cmp_ge_u32 s13, s7
	s_cselect_b32 s18, -1, 0
	s_cmp_ge_u32 s12, s6
	s_cselect_b32 s6, -1, 0
	s_cmp_eq_u32 s13, s7
	s_cselect_b32 s6, s6, s18
	s_cmp_lg_u32 s6, 0
	s_cselect_b32 s7, s21, s24
	s_cselect_b32 s6, s20, s23
	s_xor_b64 s[12:13], s[14:15], 0
	s_xor_b64 s[6:7], s[6:7], s[12:13]
	s_sub_u32 s6, s6, s12
	s_load_dwordx4 s[12:15], s[0:1], 0x44
	s_cbranch_execnz .LBB48_3
.LBB48_2:
	v_cvt_f32_u32_e32 v1, s22
	s_sub_i32 s6, 0, s22
	v_rcp_iflag_f32_e32 v1, v1
	s_nop 0
	v_mul_f32_e32 v1, 0x4f7ffffe, v1
	v_cvt_u32_f32_e32 v1, v1
	s_nop 0
	v_readfirstlane_b32 s7, v1
	s_mul_i32 s6, s6, s7
	s_mul_hi_u32 s6, s7, s6
	s_add_i32 s7, s7, s6
	s_mul_hi_u32 s6, s5, s7
	s_waitcnt lgkmcnt(0)
	s_mul_i32 s15, s6, s22
	s_sub_i32 s5, s5, s15
	s_add_i32 s7, s6, 1
	s_sub_i32 s15, s5, s22
	s_cmp_ge_u32 s5, s22
	s_cselect_b32 s6, s7, s6
	s_cselect_b32 s5, s15, s5
	s_add_i32 s7, s6, 1
	s_cmp_ge_u32 s5, s22
	s_cselect_b32 s6, s7, s6
.LBB48_3:
	s_add_i32 s5, s2, 1
	s_mul_hi_i32 s21, s11, s5
	s_mov_b32 s20, 0
	s_cmp_lg_u64 s[20:21], 0
	s_mul_i32 s5, s11, s5
	s_cbranch_scc0 .LBB48_21
; %bb.4:
	s_add_u32 s16, s22, 0
	s_addc_u32 s17, 0, 0
	s_xor_b64 s[18:19], s[16:17], 0
	v_cvt_f32_u32_e32 v1, s18
	v_cvt_f32_u32_e32 v2, s19
	s_sub_u32 s7, 0, s18
	s_waitcnt lgkmcnt(0)
	s_subb_u32 s15, 0, s19
	v_fmamk_f32 v1, v2, 0x4f800000, v1
	v_rcp_f32_e32 v1, v1
	s_nop 0
	v_mul_f32_e32 v1, 0x5f7ffffc, v1
	v_mul_f32_e32 v2, 0x2f800000, v1
	v_trunc_f32_e32 v2, v2
	v_fmamk_f32 v1, v2, 0xcf800000, v1
	v_cvt_u32_f32_e32 v2, v2
	v_cvt_u32_f32_e32 v1, v1
	v_readfirstlane_b32 s20, v2
	v_readfirstlane_b32 s23, v1
	s_mul_i32 s24, s7, s20
	s_mul_hi_u32 s26, s7, s23
	s_mul_i32 s25, s15, s23
	s_add_i32 s24, s26, s24
	s_add_i32 s24, s24, s25
	s_mul_i32 s27, s7, s23
	s_mul_i32 s26, s23, s24
	s_mul_hi_u32 s28, s23, s27
	s_mul_hi_u32 s25, s23, s24
	s_add_u32 s26, s28, s26
	s_addc_u32 s25, 0, s25
	s_mul_hi_u32 s29, s20, s27
	s_mul_i32 s27, s20, s27
	s_add_u32 s26, s26, s27
	s_mul_hi_u32 s28, s20, s24
	s_addc_u32 s25, s25, s29
	s_addc_u32 s26, s28, 0
	s_mul_i32 s24, s20, s24
	s_add_u32 s24, s25, s24
	s_addc_u32 s26, 0, s26
	s_add_u32 s23, s23, s24
	s_cselect_b64 s[24:25], -1, 0
	s_cmp_lg_u64 s[24:25], 0
	s_addc_u32 s20, s20, s26
	s_mul_i32 s24, s7, s20
	s_mul_hi_u32 s25, s7, s23
	s_add_i32 s24, s25, s24
	s_mul_i32 s15, s15, s23
	s_add_i32 s24, s24, s15
	s_mul_i32 s7, s7, s23
	s_mul_hi_u32 s25, s20, s7
	s_mul_i32 s26, s20, s7
	s_mul_i32 s28, s23, s24
	s_mul_hi_u32 s7, s23, s7
	s_mul_hi_u32 s27, s23, s24
	s_add_u32 s7, s7, s28
	s_addc_u32 s27, 0, s27
	s_add_u32 s7, s7, s26
	s_mul_hi_u32 s15, s20, s24
	s_addc_u32 s7, s27, s25
	s_addc_u32 s15, s15, 0
	s_mul_i32 s24, s20, s24
	s_add_u32 s7, s7, s24
	s_addc_u32 s15, 0, s15
	s_add_u32 s7, s23, s7
	s_cselect_b64 s[24:25], -1, 0
	s_cmp_lg_u64 s[24:25], 0
	s_addc_u32 s15, s20, s15
	s_ashr_i32 s24, s21, 31
	s_add_u32 s20, s5, s24
	s_mov_b32 s25, s24
	s_addc_u32 s21, s21, s24
	s_xor_b64 s[20:21], s[20:21], s[24:25]
	s_mul_i32 s26, s20, s15
	s_mul_hi_u32 s27, s20, s7
	s_mul_hi_u32 s23, s20, s15
	s_add_u32 s26, s27, s26
	s_addc_u32 s23, 0, s23
	s_mul_hi_u32 s28, s21, s7
	s_mul_i32 s7, s21, s7
	s_add_u32 s7, s26, s7
	s_mul_hi_u32 s27, s21, s15
	s_addc_u32 s7, s23, s28
	s_addc_u32 s23, s27, 0
	s_mul_i32 s15, s21, s15
	s_add_u32 s7, s7, s15
	s_addc_u32 s15, 0, s23
	s_mul_i32 s23, s18, s15
	s_mul_hi_u32 s26, s18, s7
	s_add_i32 s23, s26, s23
	s_mul_i32 s26, s19, s7
	s_add_i32 s23, s23, s26
	s_sub_i32 s28, s21, s23
	s_mul_i32 s26, s18, s7
	s_sub_u32 s20, s20, s26
	s_cselect_b64 s[26:27], -1, 0
	s_cmp_lg_u64 s[26:27], 0
	s_subb_u32 s30, s28, s19
	s_sub_u32 s31, s20, s18
	s_cselect_b64 s[28:29], -1, 0
	s_cmp_lg_u64 s[28:29], 0
	s_subb_u32 s28, s30, 0
	s_cmp_ge_u32 s28, s19
	s_cselect_b32 s29, -1, 0
	s_cmp_ge_u32 s31, s18
	s_cselect_b32 s30, -1, 0
	s_cmp_eq_u32 s28, s19
	s_cselect_b32 s28, s30, s29
	s_add_u32 s29, s7, 1
	s_addc_u32 s30, s15, 0
	s_add_u32 s31, s7, 2
	s_addc_u32 s33, s15, 0
	s_cmp_lg_u32 s28, 0
	s_cselect_b32 s28, s31, s29
	s_cselect_b32 s29, s33, s30
	s_cmp_lg_u64 s[26:27], 0
	s_subb_u32 s21, s21, s23
	s_cmp_ge_u32 s21, s19
	s_cselect_b32 s23, -1, 0
	s_cmp_ge_u32 s20, s18
	s_cselect_b32 s18, -1, 0
	s_cmp_eq_u32 s21, s19
	s_cselect_b32 s18, s18, s23
	s_cmp_lg_u32 s18, 0
	s_cselect_b32 s19, s29, s15
	s_cselect_b32 s18, s28, s7
	s_xor_b64 s[20:21], s[24:25], 0
	s_xor_b64 s[18:19], s[18:19], s[20:21]
	s_sub_u32 s18, s18, s20
	s_cbranch_execnz .LBB48_6
.LBB48_5:
	v_cvt_f32_u32_e32 v1, s22
	s_sub_i32 s7, 0, s22
	v_rcp_iflag_f32_e32 v1, v1
	s_nop 0
	v_mul_f32_e32 v1, 0x4f7ffffe, v1
	v_cvt_u32_f32_e32 v1, v1
	s_waitcnt lgkmcnt(0)
	v_readfirstlane_b32 s15, v1
	s_mul_i32 s7, s7, s15
	s_mul_hi_u32 s7, s15, s7
	s_add_i32 s15, s15, s7
	s_mul_hi_u32 s7, s5, s15
	s_mul_i32 s16, s7, s22
	s_sub_i32 s5, s5, s16
	s_add_i32 s15, s7, 1
	s_sub_i32 s16, s5, s22
	s_cmp_ge_u32 s5, s22
	s_cselect_b32 s7, s15, s7
	s_cselect_b32 s5, s16, s5
	s_add_i32 s15, s7, 1
	s_cmp_ge_u32 s5, s22
	s_cselect_b32 s18, s15, s7
.LBB48_6:
	s_cmp_eq_u32 s6, s18
	s_waitcnt lgkmcnt(0)
	s_mul_hi_u32 s5, s6, s12
	s_cselect_b64 s[16:17], -1, 0
	s_add_i32 s5, s5, s6
	s_lshr_b32 s7, s5, s13
	s_mul_i32 s5, s7, s14
	s_cmp_eq_u32 s5, s6
	s_mul_hi_u32 s5, s18, s12
	s_cselect_b64 s[20:21], -1, 0
	s_add_i32 s5, s5, s18
	s_lshr_b32 s5, s5, s13
	s_cmp_eq_u32 s7, s5
	s_mul_i32 s5, s5, s14
	s_cselect_b64 s[24:25], -1, 0
	s_cmp_lg_u32 s5, s18
	s_cselect_b64 s[18:19], -1, 0
	s_and_b64 s[18:19], s[24:25], s[18:19]
	s_or_b64 s[16:17], s[16:17], s[20:21]
	s_or_b64 s[16:17], s[16:17], s[18:19]
	s_and_b64 vcc, exec, s[16:17]
	s_cbranch_vccnz .LBB48_23
; %bb.7:
	s_load_dwordx8 s[24:31], s[0:1], 0x20
	s_load_dword s15, s[0:1], 0x40
	s_waitcnt lgkmcnt(0)
	s_mul_hi_u32 s5, s6, s24
	s_add_i32 s5, s5, s6
	s_lshr_b32 s5, s5, s25
	s_mul_i32 s16, s5, s26
	s_sub_i32 s16, s6, s16
	s_mul_hi_u32 s17, s16, s27
	s_add_i32 s17, s16, s17
	s_lshr_b32 s20, s17, s28
	s_mul_i32 s17, s20, s29
	s_sub_i32 s16, s16, s17
	s_mul_hi_u32 s17, s16, s30
	s_add_i32 s17, s16, s17
	s_lshr_b32 s17, s17, s31
	s_mul_i32 s15, s17, s15
	s_sub_i32 s15, s16, s15
	s_mul_hi_u32 s16, s15, s12
	s_add_i32 s15, s15, s16
	s_lshr_b32 s23, s15, s13
	s_lshl_b32 s15, s23, 1
	s_lshl_b32 s21, s17, 1
	s_add_i32 s15, s15, s3
	s_cmp_lt_i32 s15, s8
	s_cselect_b64 s[16:17], -1, 0
	s_add_i32 s15, s21, s4
	s_cmp_lt_i32 s15, s10
	s_cselect_b64 s[18:19], -1, 0
	s_and_b64 s[16:17], s[16:17], s[18:19]
	s_andn2_b64 vcc, exec, s[16:17]
	s_cbranch_vccnz .LBB48_23
; %bb.8:
	s_load_dwordx4 s[16:19], s[0:1], 0x0
	s_mov_b32 s0, 0
	s_lshl_b32 s15, s3, 1
	s_lshl_b32 s24, s22, 4
	s_mov_b32 s25, s0
	s_add_i32 s15, s15, s4
	s_waitcnt lgkmcnt(0)
	v_mov_b32_e32 v2, s16
	v_mov_b32_e32 v3, s17
	s_lshl_b64 s[16:17], s[24:25], 2
	s_add_u32 s16, s18, s16
	s_mul_i32 s1, s5, s8
	s_addc_u32 s17, s19, s17
	s_add_i32 s1, s1, s3
	s_mul_i32 s1, s1, s9
	s_mul_i32 s20, s20, s10
	s_add_i32 s1, s1, s4
	s_add_i32 s1, s1, s20
	s_mul_i32 s5, s9, s23
	s_add_i32 s1, s1, s21
	s_lshl_b32 s5, s5, 8
	s_lshl_b32 s1, s1, 7
	s_add_i32 s5, s5, s1
	v_or_b32_e32 v4, s5, v0
	v_ashrrev_i32_e32 v5, 31, v4
	v_lshl_add_u64 v[2:3], v[4:5], 2, v[2:3]
	global_load_dword v1, v[2:3], off
	v_cvt_f32_u32_e32 v4, s22
	s_lshl_b32 s1, s2, 2
	s_add_i32 s4, s15, s1
	s_ashr_i32 s5, s4, 31
	s_lshl_b64 s[4:5], s[4:5], 3
	v_rcp_iflag_f32_e32 v4, v4
	s_add_u32 s4, s18, s4
	s_addc_u32 s5, s19, s5
	s_load_dwordx2 s[4:5], s[4:5], 0x0
	v_mul_f32_e32 v4, 0x4f7ffffe, v4
	v_cvt_u32_f32_e32 v7, v4
	s_add_i32 s24, s2, -1
	v_lshl_or_b32 v6, s15, 7, v0
	s_waitcnt lgkmcnt(0)
	v_mov_b32_e32 v0, s5
	v_mov_b32_e32 v9, s4
	s_mov_b32 s10, 0x3fb8aa3b
	s_mov_b32 s20, 0xc2ce8ed0
	;; [unrolled: 1-line block ×4, first 2 shown]
	v_mov_b32_e32 v8, 0x7f800000
	s_mul_hi_i32 s1, s24, s11
	s_cmp_lg_u64 s[0:1], 0
	s_mul_i32 s8, s24, s11
	s_cbranch_scc0 .LBB48_19
.LBB48_9:
	s_add_u32 s2, s22, 0
	s_addc_u32 s3, 0, 0
	s_xor_b64 s[2:3], s[2:3], 0
	v_cvt_f32_u32_e32 v4, s2
	v_cvt_f32_u32_e32 v5, s3
	s_sub_u32 s9, 0, s2
	s_subb_u32 s25, 0, s3
	v_fmac_f32_e32 v4, 0x4f800000, v5
	v_rcp_f32_e32 v4, v4
	s_nop 0
	v_mul_f32_e32 v4, 0x5f7ffffc, v4
	v_mul_f32_e32 v5, 0x2f800000, v4
	v_trunc_f32_e32 v5, v5
	v_fmac_f32_e32 v4, 0xcf800000, v5
	v_cvt_u32_f32_e32 v5, v5
	v_cvt_u32_f32_e32 v4, v4
	v_readfirstlane_b32 s26, v5
	v_readfirstlane_b32 s4, v4
	s_mul_i32 s5, s9, s26
	s_mul_hi_u32 s28, s9, s4
	s_mul_i32 s27, s25, s4
	s_add_i32 s5, s28, s5
	s_mul_i32 s29, s9, s4
	s_add_i32 s5, s5, s27
	s_mul_i32 s28, s4, s5
	s_mul_hi_u32 s30, s4, s29
	s_mul_hi_u32 s27, s4, s5
	s_add_u32 s28, s30, s28
	s_addc_u32 s27, 0, s27
	s_mul_hi_u32 s31, s26, s29
	s_mul_i32 s29, s26, s29
	s_add_u32 s28, s28, s29
	s_mul_hi_u32 s30, s26, s5
	s_addc_u32 s27, s27, s31
	s_addc_u32 s28, s30, 0
	s_mul_i32 s5, s26, s5
	s_add_u32 s5, s27, s5
	s_addc_u32 s27, 0, s28
	s_add_u32 s28, s4, s5
	s_cselect_b64 s[4:5], -1, 0
	s_cmp_lg_u64 s[4:5], 0
	s_addc_u32 s26, s26, s27
	s_mul_i32 s4, s9, s26
	s_mul_hi_u32 s5, s9, s28
	s_add_i32 s4, s5, s4
	s_mul_i32 s25, s25, s28
	s_add_i32 s4, s4, s25
	s_mul_i32 s9, s9, s28
	s_mul_hi_u32 s25, s26, s9
	s_mul_i32 s27, s26, s9
	s_mul_i32 s30, s28, s4
	s_mul_hi_u32 s9, s28, s9
	s_mul_hi_u32 s29, s28, s4
	s_add_u32 s9, s9, s30
	s_addc_u32 s29, 0, s29
	s_add_u32 s9, s9, s27
	s_mul_hi_u32 s5, s26, s4
	s_addc_u32 s9, s29, s25
	s_addc_u32 s5, s5, 0
	s_mul_i32 s4, s26, s4
	s_add_u32 s4, s9, s4
	s_addc_u32 s9, 0, s5
	s_add_u32 s25, s28, s4
	s_cselect_b64 s[4:5], -1, 0
	s_cmp_lg_u64 s[4:5], 0
	s_addc_u32 s9, s26, s9
	s_ashr_i32 s4, s1, 31
	s_add_u32 s26, s8, s4
	s_mov_b32 s5, s4
	s_addc_u32 s27, s1, s4
	s_xor_b64 s[26:27], s[26:27], s[4:5]
	s_mul_i32 s28, s26, s9
	s_mul_hi_u32 s29, s26, s25
	s_mul_hi_u32 s1, s26, s9
	s_add_u32 s28, s29, s28
	s_addc_u32 s1, 0, s1
	s_mul_hi_u32 s30, s27, s25
	s_mul_i32 s25, s27, s25
	s_add_u32 s25, s28, s25
	s_mul_hi_u32 s29, s27, s9
	s_addc_u32 s1, s1, s30
	s_addc_u32 s25, s29, 0
	s_mul_i32 s9, s27, s9
	s_add_u32 s1, s1, s9
	s_addc_u32 s9, 0, s25
	s_mul_i32 s25, s2, s9
	s_mul_hi_u32 s28, s2, s1
	s_add_i32 s25, s28, s25
	s_mul_i32 s28, s3, s1
	s_add_i32 s25, s25, s28
	s_sub_i32 s30, s27, s25
	s_mul_i32 s28, s2, s1
	s_sub_u32 s26, s26, s28
	s_cselect_b64 s[28:29], -1, 0
	s_cmp_lg_u64 s[28:29], 0
	s_subb_u32 s33, s30, s3
	s_sub_u32 s34, s26, s2
	s_cselect_b64 s[30:31], -1, 0
	s_cmp_lg_u64 s[30:31], 0
	s_subb_u32 s30, s33, 0
	s_cmp_ge_u32 s30, s3
	s_cselect_b32 s31, -1, 0
	s_cmp_ge_u32 s34, s2
	s_cselect_b32 s33, -1, 0
	s_cmp_eq_u32 s30, s3
	s_cselect_b32 s30, s33, s31
	s_add_u32 s31, s1, 1
	s_addc_u32 s33, s9, 0
	s_add_u32 s34, s1, 2
	s_addc_u32 s35, s9, 0
	s_cmp_lg_u32 s30, 0
	s_cselect_b32 s30, s34, s31
	s_cselect_b32 s31, s35, s33
	s_cmp_lg_u64 s[28:29], 0
	s_subb_u32 s25, s27, s25
	s_cmp_ge_u32 s25, s3
	s_cselect_b32 s27, -1, 0
	s_cmp_ge_u32 s26, s2
	s_cselect_b32 s2, -1, 0
	s_cmp_eq_u32 s25, s3
	s_cselect_b32 s2, s2, s27
	s_cmp_lg_u32 s2, 0
	s_cselect_b32 s3, s31, s9
	s_cselect_b32 s2, s30, s1
	s_xor_b64 s[4:5], s[4:5], 0
	s_xor_b64 s[2:3], s[2:3], s[4:5]
	s_sub_u32 s4, s2, s4
	s_cbranch_execnz .LBB48_11
.LBB48_10:
	s_sub_i32 s1, 0, s22
	v_readfirstlane_b32 s2, v7
	s_mul_i32 s1, s1, s2
	s_mul_hi_u32 s1, s2, s1
	s_add_i32 s2, s2, s1
	s_mul_hi_u32 s1, s8, s2
	s_mul_i32 s3, s1, s22
	s_sub_i32 s3, s8, s3
	s_add_i32 s2, s1, 1
	s_sub_i32 s4, s3, s22
	s_cmp_ge_u32 s3, s22
	s_cselect_b32 s1, s2, s1
	s_cselect_b32 s3, s4, s3
	s_add_i32 s2, s1, 1
	s_cmp_ge_u32 s3, s22
	s_cselect_b32 s4, s2, s1
.LBB48_11:
	s_cmp_lg_u32 s6, s4
	s_cbranch_scc0 .LBB48_15
; %bb.12:
	s_add_i32 s1, s24, s22
	s_lshl_b32 s1, s1, 2
	s_add_i32 s2, s1, s15
	s_mov_b32 s3, s0
	s_lshl_b64 s[2:3], s[2:3], 3
	s_add_u32 s8, s18, s2
	s_mul_hi_u32 s1, s4, s12
	s_addc_u32 s9, s19, s3
	s_add_i32 s1, s1, s4
	s_lshr_b32 s1, s1, s13
	s_mul_i32 s2, s1, s14
	s_cmp_eq_u32 s2, s4
	s_cselect_b64 s[2:3], -1, 0
	s_cmp_lt_u32 s1, s7
	s_cselect_b64 s[26:27], -1, 0
	s_or_b64 s[26:27], s[26:27], s[2:3]
	s_mov_b64 s[2:3], -1
	s_and_b64 vcc, exec, s[26:27]
	s_mov_b32 s1, s24
	s_mov_b32 s25, s6
	s_cbranch_vccnz .LBB48_14
; %bb.13:
	s_add_i32 s1, s24, -1
	s_mov_b64 s[2:3], 0
	s_mov_b32 s25, s4
.LBB48_14:
	v_lshl_add_u32 v4, s24, 9, v6
	v_ashrrev_i32_e32 v5, 31, v4
	v_lshl_add_u64 v[4:5], v[4:5], 2, s[16:17]
	global_load_dword v5, v[4:5], off
	s_load_dwordx2 s[4:5], s[8:9], 0x0
	v_max_f32_e32 v4, v9, v9
	s_waitcnt lgkmcnt(0)
	v_max_f32_e64 v10, s4, s4
	v_max_f32_e32 v10, v4, v10
	v_sub_f32_e32 v11, v9, v10
	v_sub_f32_e32 v13, s4, v10
	v_mul_f32_e32 v4, 0x3fb8aa3b, v11
	v_mul_f32_e32 v12, 0x3fb8aa3b, v13
	v_fma_f32 v14, v11, s10, -v4
	v_rndne_f32_e32 v15, v4
	v_fma_f32 v16, v13, s10, -v12
	v_rndne_f32_e32 v17, v12
	v_fmac_f32_e32 v14, 0x32a5705f, v11
	v_sub_f32_e32 v4, v4, v15
	v_fmac_f32_e32 v16, 0x32a5705f, v13
	v_sub_f32_e32 v12, v12, v17
	v_add_f32_e32 v4, v4, v14
	v_cvt_i32_f32_e32 v15, v15
	v_add_f32_e32 v12, v12, v16
	v_exp_f32_e32 v14, v4
	v_cvt_i32_f32_e32 v17, v17
	v_exp_f32_e32 v12, v12
	v_cmp_ngt_f32_e32 vcc, s20, v11
	v_ldexp_f32 v14, v14, v15
	v_mov_b32_e32 v4, s5
	v_ldexp_f32 v12, v12, v17
	v_cndmask_b32_e32 v14, 0, v14, vcc
	v_cmp_ngt_f32_e32 vcc, s20, v13
	s_nop 1
	v_cndmask_b32_e32 v12, 0, v12, vcc
	v_cmp_nlt_f32_e32 vcc, s21, v11
	s_nop 1
	v_cndmask_b32_e32 v14, v8, v14, vcc
	v_cmp_nlt_f32_e32 vcc, s21, v13
	s_nop 1
	v_cndmask_b32_e32 v15, v8, v12, vcc
	v_cmp_le_f32_e32 vcc, s23, v11
	s_nop 1
	v_cndmask_b32_e32 v12, 0, v14, vcc
	v_cmp_le_f32_e32 vcc, s23, v13
	s_nop 1
	v_cndmask_b32_e32 v14, 0, v15, vcc
	s_waitcnt vmcnt(0)
	v_pk_mul_f32 v[4:5], v[4:5], v[14:15] op_sel_hi:[1,0]
	s_nop 0
	v_pk_fma_f32 v[4:5], v[0:1], v[12:13], v[4:5] op_sel_hi:[1,0,1]
	s_cbranch_execz .LBB48_16
	s_branch .LBB48_17
.LBB48_15:
                                        ; implicit-def: $vgpr4_vgpr5
                                        ; implicit-def: $sgpr2_sgpr3
                                        ; implicit-def: $vgpr10
                                        ; implicit-def: $sgpr1
                                        ; implicit-def: $sgpr25
.LBB48_16:
	s_add_i32 s1, s24, -1
	s_mov_b64 s[2:3], 0
	s_mov_b32 s25, s6
	v_mov_b32_e32 v10, v9
	s_waitcnt vmcnt(0)
	v_mov_b64_e32 v[4:5], v[0:1]
.LBB48_17:
	s_andn2_b64 vcc, exec, s[2:3]
	s_cbranch_vccz .LBB48_22
; %bb.18:
	s_mov_b32 s6, s25
	s_mov_b32 s24, s1
	v_mov_b32_e32 v9, v10
	s_waitcnt vmcnt(0)
	v_mov_b64_e32 v[0:1], v[4:5]
	s_mul_hi_i32 s1, s24, s11
	s_cmp_lg_u64 s[0:1], 0
	s_mul_i32 s8, s24, s11
	s_cbranch_scc1 .LBB48_9
.LBB48_19:
                                        ; implicit-def: $sgpr4_sgpr5
	s_branch .LBB48_10
.LBB48_20:
                                        ; implicit-def: $sgpr6_sgpr7
	s_load_dwordx4 s[12:15], s[0:1], 0x44
	s_branch .LBB48_2
.LBB48_21:
                                        ; implicit-def: $sgpr18_sgpr19
	s_branch .LBB48_5
.LBB48_22:
	v_div_scale_f32 v0, s[0:1], v4, v4, v5
	s_waitcnt vmcnt(0)
	v_rcp_f32_e32 v1, v0
	v_div_scale_f32 v6, vcc, v5, v4, v5
	v_fma_f32 v7, -v0, v1, 1.0
	v_fmac_f32_e32 v1, v7, v1
	v_mul_f32_e32 v7, v6, v1
	v_fma_f32 v8, -v0, v7, v6
	v_fmac_f32_e32 v7, v8, v1
	v_fma_f32 v0, -v0, v7, v6
	v_div_fmas_f32 v0, v0, v1, v7
	v_div_fixup_f32 v0, v0, v4, v5
	global_store_dword v[2:3], v0, off
.LBB48_23:
	s_endpgm
	.section	.rodata,"a",@progbits
	.p2align	6, 0x0
	.amdhsa_kernel _ZL33flash_attn_stream_k_fixup_generalILi128ELi2ELi2EEvPfPK15HIP_vector_typeIfLj2EEiiiiS1_IjLj3EES5_S5_S5_
		.amdhsa_group_segment_fixed_size 0
		.amdhsa_private_segment_fixed_size 0
		.amdhsa_kernarg_size 336
		.amdhsa_user_sgpr_count 2
		.amdhsa_user_sgpr_dispatch_ptr 0
		.amdhsa_user_sgpr_queue_ptr 0
		.amdhsa_user_sgpr_kernarg_segment_ptr 1
		.amdhsa_user_sgpr_dispatch_id 0
		.amdhsa_user_sgpr_kernarg_preload_length 0
		.amdhsa_user_sgpr_kernarg_preload_offset 0
		.amdhsa_user_sgpr_private_segment_size 0
		.amdhsa_uses_dynamic_stack 0
		.amdhsa_enable_private_segment 0
		.amdhsa_system_sgpr_workgroup_id_x 1
		.amdhsa_system_sgpr_workgroup_id_y 1
		.amdhsa_system_sgpr_workgroup_id_z 1
		.amdhsa_system_sgpr_workgroup_info 0
		.amdhsa_system_vgpr_workitem_id 0
		.amdhsa_next_free_vgpr 18
		.amdhsa_next_free_sgpr 36
		.amdhsa_accum_offset 20
		.amdhsa_reserve_vcc 1
		.amdhsa_float_round_mode_32 0
		.amdhsa_float_round_mode_16_64 0
		.amdhsa_float_denorm_mode_32 3
		.amdhsa_float_denorm_mode_16_64 3
		.amdhsa_dx10_clamp 1
		.amdhsa_ieee_mode 1
		.amdhsa_fp16_overflow 0
		.amdhsa_tg_split 0
		.amdhsa_exception_fp_ieee_invalid_op 0
		.amdhsa_exception_fp_denorm_src 0
		.amdhsa_exception_fp_ieee_div_zero 0
		.amdhsa_exception_fp_ieee_overflow 0
		.amdhsa_exception_fp_ieee_underflow 0
		.amdhsa_exception_fp_ieee_inexact 0
		.amdhsa_exception_int_div_zero 0
	.end_amdhsa_kernel
	.section	.text._ZL33flash_attn_stream_k_fixup_generalILi128ELi2ELi2EEvPfPK15HIP_vector_typeIfLj2EEiiiiS1_IjLj3EES5_S5_S5_,"axG",@progbits,_ZL33flash_attn_stream_k_fixup_generalILi128ELi2ELi2EEvPfPK15HIP_vector_typeIfLj2EEiiiiS1_IjLj3EES5_S5_S5_,comdat
.Lfunc_end48:
	.size	_ZL33flash_attn_stream_k_fixup_generalILi128ELi2ELi2EEvPfPK15HIP_vector_typeIfLj2EEiiiiS1_IjLj3EES5_S5_S5_, .Lfunc_end48-_ZL33flash_attn_stream_k_fixup_generalILi128ELi2ELi2EEvPfPK15HIP_vector_typeIfLj2EEiiiiS1_IjLj3EES5_S5_S5_
                                        ; -- End function
	.set _ZL33flash_attn_stream_k_fixup_generalILi128ELi2ELi2EEvPfPK15HIP_vector_typeIfLj2EEiiiiS1_IjLj3EES5_S5_S5_.num_vgpr, 18
	.set _ZL33flash_attn_stream_k_fixup_generalILi128ELi2ELi2EEvPfPK15HIP_vector_typeIfLj2EEiiiiS1_IjLj3EES5_S5_S5_.num_agpr, 0
	.set _ZL33flash_attn_stream_k_fixup_generalILi128ELi2ELi2EEvPfPK15HIP_vector_typeIfLj2EEiiiiS1_IjLj3EES5_S5_S5_.numbered_sgpr, 36
	.set _ZL33flash_attn_stream_k_fixup_generalILi128ELi2ELi2EEvPfPK15HIP_vector_typeIfLj2EEiiiiS1_IjLj3EES5_S5_S5_.num_named_barrier, 0
	.set _ZL33flash_attn_stream_k_fixup_generalILi128ELi2ELi2EEvPfPK15HIP_vector_typeIfLj2EEiiiiS1_IjLj3EES5_S5_S5_.private_seg_size, 0
	.set _ZL33flash_attn_stream_k_fixup_generalILi128ELi2ELi2EEvPfPK15HIP_vector_typeIfLj2EEiiiiS1_IjLj3EES5_S5_S5_.uses_vcc, 1
	.set _ZL33flash_attn_stream_k_fixup_generalILi128ELi2ELi2EEvPfPK15HIP_vector_typeIfLj2EEiiiiS1_IjLj3EES5_S5_S5_.uses_flat_scratch, 0
	.set _ZL33flash_attn_stream_k_fixup_generalILi128ELi2ELi2EEvPfPK15HIP_vector_typeIfLj2EEiiiiS1_IjLj3EES5_S5_S5_.has_dyn_sized_stack, 0
	.set _ZL33flash_attn_stream_k_fixup_generalILi128ELi2ELi2EEvPfPK15HIP_vector_typeIfLj2EEiiiiS1_IjLj3EES5_S5_S5_.has_recursion, 0
	.set _ZL33flash_attn_stream_k_fixup_generalILi128ELi2ELi2EEvPfPK15HIP_vector_typeIfLj2EEiiiiS1_IjLj3EES5_S5_S5_.has_indirect_call, 0
	.section	.AMDGPU.csdata,"",@progbits
; Kernel info:
; codeLenInByte = 2940
; TotalNumSgprs: 42
; NumVgprs: 18
; NumAgprs: 0
; TotalNumVgprs: 18
; ScratchSize: 0
; MemoryBound: 0
; FloatMode: 240
; IeeeMode: 1
; LDSByteSize: 0 bytes/workgroup (compile time only)
; SGPRBlocks: 5
; VGPRBlocks: 2
; NumSGPRsForWavesPerEU: 42
; NumVGPRsForWavesPerEU: 18
; AccumOffset: 20
; Occupancy: 8
; WaveLimiterHint : 0
; COMPUTE_PGM_RSRC2:SCRATCH_EN: 0
; COMPUTE_PGM_RSRC2:USER_SGPR: 2
; COMPUTE_PGM_RSRC2:TRAP_HANDLER: 0
; COMPUTE_PGM_RSRC2:TGID_X_EN: 1
; COMPUTE_PGM_RSRC2:TGID_Y_EN: 1
; COMPUTE_PGM_RSRC2:TGID_Z_EN: 1
; COMPUTE_PGM_RSRC2:TIDIG_COMP_CNT: 0
; COMPUTE_PGM_RSRC3_GFX90A:ACCUM_OFFSET: 4
; COMPUTE_PGM_RSRC3_GFX90A:TG_SPLIT: 0
	.section	.text._ZL15flash_attn_tileILi128ELi128ELi1ELi2ELb0EEvPKcS1_S1_S1_S1_PKiPfP15HIP_vector_typeIfLj2EEffffjfiS5_IjLj3EEiiiiiiiiiiiliiliiiiil,"axG",@progbits,_ZL15flash_attn_tileILi128ELi128ELi1ELi2ELb0EEvPKcS1_S1_S1_S1_PKiPfP15HIP_vector_typeIfLj2EEffffjfiS5_IjLj3EEiiiiiiiiiiiliiliiiiil,comdat
	.globl	_ZL15flash_attn_tileILi128ELi128ELi1ELi2ELb0EEvPKcS1_S1_S1_S1_PKiPfP15HIP_vector_typeIfLj2EEffffjfiS5_IjLj3EEiiiiiiiiiiiliiliiiiil ; -- Begin function _ZL15flash_attn_tileILi128ELi128ELi1ELi2ELb0EEvPKcS1_S1_S1_S1_PKiPfP15HIP_vector_typeIfLj2EEffffjfiS5_IjLj3EEiiiiiiiiiiiliiliiiiil
	.p2align	8
	.type	_ZL15flash_attn_tileILi128ELi128ELi1ELi2ELb0EEvPKcS1_S1_S1_S1_PKiPfP15HIP_vector_typeIfLj2EEffffjfiS5_IjLj3EEiiiiiiiiiiiliiliiiiil,@function
_ZL15flash_attn_tileILi128ELi128ELi1ELi2ELb0EEvPKcS1_S1_S1_S1_PKiPfP15HIP_vector_typeIfLj2EEffffjfiS5_IjLj3EEiiiiiiiiiiiliiliiiiil: ; @_ZL15flash_attn_tileILi128ELi128ELi1ELi2ELb0EEvPKcS1_S1_S1_S1_PKiPfP15HIP_vector_typeIfLj2EEffffjfiS5_IjLj3EEiiiiiiiiiiiliiliiiiil
; %bb.0:
	s_load_dwordx4 s[20:23], s[0:1], 0x5c
	s_load_dwordx2 s[24:25], s[0:1], 0x80
	s_load_dwordx2 s[28:29], s[0:1], 0xb8
	s_mov_b64 s[26:27], 0
	s_waitcnt lgkmcnt(0)
	s_lshr_b32 s5, s23, 31
	s_add_i32 s5, s23, s5
	s_ashr_i32 s5, s5, 1
	v_cvt_f32_u32_e32 v1, s5
	s_sub_i32 s6, 0, s5
	v_rcp_iflag_f32_e32 v1, v1
	s_nop 0
	v_mul_f32_e32 v1, 0x4f7ffffe, v1
	v_cvt_u32_f32_e32 v1, v1
	s_nop 0
	v_readfirstlane_b32 s7, v1
	s_mul_i32 s6, s6, s7
	s_mul_hi_u32 s6, s7, s6
	s_add_i32 s7, s7, s6
	s_mul_hi_u32 s6, s4, s7
	s_mul_i32 s7, s6, s5
	s_sub_i32 s7, s4, s7
	s_add_i32 s8, s6, 1
	s_sub_i32 s9, s7, s5
	s_cmp_ge_u32 s7, s5
	s_cselect_b32 s6, s8, s6
	s_cselect_b32 s7, s9, s7
	s_add_i32 s8, s6, 1
	s_cmp_ge_u32 s7, s5
	s_cselect_b32 s30, s8, s6
	s_abs_i32 s5, s25
	v_cvt_f32_u32_e32 v1, s5
	s_sub_i32 s7, 0, s5
	s_abs_i32 s6, s23
	s_lshl_b32 s35, s4, 1
	v_rcp_iflag_f32_e32 v1, v1
	s_xor_b32 s4, s23, s25
	s_ashr_i32 s4, s4, 31
	s_mul_i32 s25, s30, s23
	v_mul_f32_e32 v1, 0x4f7ffffe, v1
	v_cvt_u32_f32_e32 v1, v1
	s_nop 0
	v_readfirstlane_b32 s8, v1
	s_mul_i32 s7, s7, s8
	s_mul_hi_u32 s7, s8, s7
	s_add_i32 s8, s8, s7
	s_mul_hi_u32 s7, s6, s8
	s_mul_i32 s8, s7, s5
	s_sub_i32 s6, s6, s8
	s_add_i32 s9, s7, 1
	s_sub_i32 s8, s6, s5
	s_cmp_ge_u32 s6, s5
	s_cselect_b32 s7, s9, s7
	s_cselect_b32 s6, s8, s6
	s_add_i32 s8, s7, 1
	s_cmp_ge_u32 s6, s5
	s_cselect_b32 s5, s8, s7
	s_xor_b32 s5, s5, s4
	s_sub_i32 s33, s5, s4
	s_abs_i32 s31, s33
	v_cvt_f32_u32_e32 v1, s31
	s_load_dwordx16 s[4:19], s[0:1], 0x0
	v_rcp_iflag_f32_e32 v1, v1
	s_waitcnt lgkmcnt(0)
	s_cmp_eq_u64 s[10:11], 0
	v_mul_f32_e32 v1, 0x4f7ffffe, v1
	v_cvt_u32_f32_e32 v1, v1
	s_nop 0
	v_readfirstlane_b32 s34, v1
	s_cbranch_scc1 .LBB49_2
; %bb.1:
	s_abs_i32 s28, s28
	v_cvt_f32_u32_e32 v1, s28
	s_sub_i32 s38, 0, s28
	s_abs_i32 s37, s30
	s_ashr_i32 s36, s30, 31
	v_rcp_iflag_f32_e32 v1, v1
	s_load_dwordx2 s[26:27], s[0:1], 0xc8
	v_mul_f32_e32 v1, 0x4f7ffffe, v1
	v_cvt_u32_f32_e32 v1, v1
	s_nop 0
	v_readfirstlane_b32 s39, v1
	s_mul_i32 s38, s38, s39
	s_mul_hi_u32 s38, s39, s38
	s_add_i32 s39, s39, s38
	s_mul_hi_u32 s38, s37, s39
	s_mul_i32 s38, s38, s28
	s_sub_i32 s37, s37, s38
	s_sub_i32 s38, s37, s28
	s_cmp_ge_u32 s37, s28
	s_cselect_b32 s37, s38, s37
	s_sub_i32 s38, s37, s28
	s_cmp_ge_u32 s37, s28
	s_cselect_b32 s28, s38, s37
	s_xor_b32 s28, s28, s36
	s_sub_i32 s28, s28, s36
	s_ashr_i32 s36, s28, 31
	s_waitcnt lgkmcnt(0)
	s_mul_hi_u32 s37, s26, s28
	s_mul_i32 s36, s26, s36
	s_mul_i32 s27, s27, s28
	s_add_i32 s36, s37, s36
	s_add_i32 s36, s36, s27
	s_mul_i32 s26, s26, s28
	s_add_u32 s26, s10, s26
	s_addc_u32 s27, s11, s36
.LBB49_2:
	v_bfe_u32 v30, v0, 10, 10
	v_lshlrev_b32_e32 v1, 7, v30
	v_and_b32_e32 v26, 0x3ff, v0
	v_and_b32_e32 v1, 0x180, v1
	v_lshlrev_b32_e32 v27, 2, v26
	v_add_u32_e32 v2, v1, v27
	s_movk_i32 s10, 0x80
	s_sub_i32 s25, s35, s25
	v_cmp_gt_u32_e32 vcc, s10, v2
	v_bfe_u32 v25, v0, 10, 2
	v_lshlrev_b32_e32 v31, 3, v26
	v_bfe_u32 v29, v30, 2, 1
	v_lshrrev_b32_e32 v28, 3, v30
	s_and_saveexec_b64 s[10:11], vcc
	s_cbranch_execz .LBB49_4
; %bb.3:
	s_load_dwordx4 s[36:39], s[0:1], 0x70
	v_add_u32_e32 v0, s2, v28
	v_mul_hi_u32 v4, s20, v0
	v_add_u32_e32 v4, v0, v4
	v_lshrrev_b32_e32 v4, s21, v4
	s_waitcnt lgkmcnt(0)
	s_mul_i32 s28, s30, s38
	s_ashr_i32 s39, s28, 31
	s_mul_i32 s35, s25, s37
	s_add_u32 s4, s4, s28
	s_addc_u32 s5, s5, s39
	s_ashr_i32 s28, s35, 31
	s_add_u32 s4, s4, s35
	s_mov_b32 s38, s37
	s_addc_u32 s5, s5, s28
	s_ashr_i32 s39, s37, 31
	s_lshr_b64 s[40:41], s[38:39], 2
	s_lshr_b32 s28, s39, 2
	v_mul_lo_u32 v3, s28, v29
	v_mul_lo_u32 v2, s40, v29
	s_ashr_i32 s37, s36, 31
	v_mul_lo_u32 v4, v4, s22
	v_lshl_add_u64 v[2:3], v[2:3], 2, s[4:5]
	s_lshr_b64 s[4:5], s[36:37], 2
	v_sub_u32_e32 v6, v0, v4
	v_mad_u64_u32 v[4:5], s[4:5], s4, v6, 0
	v_mov_b32_e32 v0, v5
	s_lshr_b32 s4, s37, 2
	v_mad_u64_u32 v[6:7], s[4:5], s4, v6, v[0:1]
	v_mov_b32_e32 v5, v6
	v_lshl_add_u64 v[2:3], v[4:5], 2, v[2:3]
	v_lshlrev_b32_e32 v0, 2, v1
	v_mov_b32_e32 v1, 0
	v_lshl_add_u64 v[2:3], v[2:3], 0, v[0:1]
	v_lshlrev_b32_e32 v0, 2, v27
	v_lshl_add_u64 v[0:1], v[2:3], 0, v[0:1]
	global_load_dwordx4 v[0:3], v[0:1], off
	s_load_dword s4, s[0:1], 0x40
	v_lshrrev_b32_e32 v4, 2, v30
	v_add_u32_e32 v4, v4, v25
	v_lshl_add_u32 v4, v4, 8, v31
	s_waitcnt vmcnt(0) lgkmcnt(0)
	v_fma_mixlo_f16 v5, s4, v0, 0
	v_mov_b32_e32 v0, v3
	v_pk_mul_f32 v[0:1], s[4:5], v[0:1] op_sel_hi:[0,1]
	v_cvt_pk_f16_f32 v0, v0, v1
	v_fma_mixlo_f16 v2, s4, v2, 0
	v_and_b32_e32 v3, 0xffff, v5
	v_lshlrev_b32_e32 v1, 16, v0
	v_and_b32_e32 v0, 0xffff0000, v0
	v_and_b32_e32 v2, 0xffff, v2
	v_or_b32_e32 v0, v0, v3
	v_or3_b32 v1, v1, v2, 0
	v_or3_b32 v0, 0, 0, v0
	ds_write_b64 v4, v[0:1] offset:18944
.LBB49_4:
	s_or_b64 exec, exec, s[10:11]
	s_cmp_eq_u64 s[14:15], 0
	s_waitcnt lgkmcnt(0)
	s_barrier
	s_cbranch_scc1 .LBB49_6
; %bb.5:
	s_load_dword s4, s[0:1], 0xd0
	s_mov_b32 s5, 0
	s_waitcnt lgkmcnt(0)
	s_mul_i32 s4, s4, s30
	s_add_i32 s4, s4, s2
	s_lshl_b64 s[4:5], s[4:5], 2
	s_add_u32 s4, s14, s4
	s_addc_u32 s5, s15, s5
	s_load_dword s24, s[4:5], 0x0
.LBB49_6:
	s_lshl_b32 s10, s3, 7
	s_waitcnt lgkmcnt(0)
	s_cmp_lt_i32 s10, s24
	v_mbcnt_lo_u32_b32 v0, -1, 0
	s_cbranch_scc1 .LBB49_13
; %bb.7:
	v_mbcnt_hi_u32_b32 v13, -1, v0
	v_and_b32_e32 v1, 0x60, v13
	v_add_u32_e32 v33, 32, v1
	v_xor_b32_e32 v40, 16, v13
	v_xor_b32_e32 v37, 8, v13
	;; [unrolled: 1-line block ×5, first 2 shown]
	v_lshlrev_b32_e32 v32, 2, v30
	v_cmp_eq_u32_e64 s[4:5], 0, v26
	s_cbranch_execz .LBB49_14
; %bb.8:
	v_mov_b32_e32 v1, 0
	v_mov_b32_e32 v48, 0
	;; [unrolled: 1-line block ×4, first 2 shown]
.LBB49_9:
	v_cmp_lt_i32_e32 vcc, v40, v33
	v_cmp_ne_u32_e64 s[4:5], 0, v25
	s_nop 0
	v_cndmask_b32_e32 v2, v13, v40, vcc
	v_lshlrev_b32_e32 v2, 2, v2
	ds_bpermute_b32 v2, v2, v48
	v_cmp_lt_i32_e32 vcc, v37, v33
	s_waitcnt lgkmcnt(0)
	v_add_f32_e32 v2, v48, v2
	v_cndmask_b32_e32 v3, v13, v37, vcc
	v_lshlrev_b32_e32 v3, 2, v3
	ds_bpermute_b32 v3, v3, v2
	v_cmp_lt_i32_e32 vcc, v36, v33
	s_waitcnt lgkmcnt(0)
	v_add_f32_e32 v2, v2, v3
	;; [unrolled: 6-line block ×4, first 2 shown]
	v_cndmask_b32_e32 v4, v13, v34, vcc
	v_lshlrev_b32_e32 v4, 2, v4
	ds_bpermute_b32 v3, v4, v2
	v_cmp_eq_u32_e32 vcc, 0, v25
	s_waitcnt lgkmcnt(0)
	v_add_f32_e32 v25, v2, v3
	v_lshl_add_u32 v2, v30, 8, v31
	s_and_saveexec_b64 s[6:7], s[4:5]
	s_xor_b64 s[6:7], exec, s[6:7]
	s_cbranch_execnz .LBB49_19
; %bb.10:
	s_andn2_saveexec_b64 s[4:5], s[6:7]
	s_cbranch_execnz .LBB49_22
.LBB49_11:
	s_or_b64 exec, exec, s[4:5]
	s_and_saveexec_b64 s[4:5], vcc
	s_cbranch_execnz .LBB49_23
.LBB49_12:
	s_endpgm
.LBB49_13:
                                        ; implicit-def: $vgpr13
                                        ; implicit-def: $vgpr33
                                        ; implicit-def: $vgpr40
                                        ; implicit-def: $vgpr37
                                        ; implicit-def: $vgpr36
                                        ; implicit-def: $vgpr35
                                        ; implicit-def: $vgpr34
	v_lshlrev_b32_e32 v32, 2, v30
	v_cmp_eq_u32_e64 s[4:5], 0, v26
.LBB49_14:
	s_load_dwordx2 s[14:15], s[0:1], 0x8c
	s_load_dwordx4 s[36:39], s[0:1], 0x98
	s_sub_i32 s11, 0, s31
	s_mul_i32 s11, s11, s34
	s_mul_hi_u32 s11, s34, s11
	s_add_i32 s34, s34, s11
	s_waitcnt lgkmcnt(0)
	s_ashr_i32 s11, s38, 2
	s_ashr_i32 s38, s29, 1
	;; [unrolled: 1-line block ×3, first 2 shown]
	s_mul_hi_u32 s42, s36, s30
	s_mul_i32 s43, s36, s29
	s_abs_i32 s28, s25
	s_add_i32 s42, s42, s43
	s_mul_i32 s37, s37, s30
	s_mul_hi_u32 s40, s28, s34
	s_ashr_i32 s41, s25, 31
	s_ashr_i32 s33, s33, 31
	;; [unrolled: 1-line block ×3, first 2 shown]
	s_add_i32 s42, s42, s37
	s_mul_i32 s36, s36, s30
	s_add_u32 s6, s6, s36
	s_mul_i32 s36, s40, s31
	s_addc_u32 s7, s7, s42
	s_sub_i32 s28, s28, s36
	s_xor_b32 s33, s41, s33
	s_add_i32 s36, s40, 1
	s_sub_i32 s37, s28, s31
	s_cmp_ge_u32 s28, s31
	s_cselect_b32 s36, s36, s40
	s_cselect_b32 s28, s37, s28
	s_add_i32 s37, s36, 1
	s_cmp_ge_u32 s28, s31
	s_cselect_b32 s28, s37, s36
	s_load_dwordx2 s[34:35], s[0:1], 0xa8
	s_xor_b32 s28, s28, s33
	s_sub_i32 s31, s28, s33
	s_mul_i32 s15, s31, s15
	s_ashr_i32 s28, s15, 31
	s_add_u32 s15, s6, s15
	s_addc_u32 s28, s7, s28
	s_waitcnt lgkmcnt(0)
	s_mul_hi_u32 s6, s34, s30
	s_mul_i32 s7, s34, s29
	s_add_i32 s6, s6, s7
	s_mul_i32 s7, s35, s30
	s_add_i32 s6, s6, s7
	s_mul_i32 s7, s34, s30
	s_add_u32 s7, s8, s7
	s_mul_i32 s31, s31, s39
	v_lshlrev_b32_e32 v13, 6, v30
	s_addc_u32 s6, s9, s6
	s_ashr_i32 s8, s31, 31
	v_and_b32_e32 v14, 0xff00, v13
	v_add_u32_e32 v13, s2, v28
	s_add_u32 s29, s7, s31
	v_lshrrev_b32_e32 v1, 3, v26
	v_and_b32_e32 v2, 28, v27
	v_mul_hi_u32 v15, s20, v13
	s_addc_u32 s31, s6, s8
	v_add_u32_e32 v1, v1, v32
	v_lshlrev_b32_e32 v4, 2, v2
	s_movk_i32 s6, 0x90
	v_add_u32_e32 v15, v13, v15
	v_mad_u32_u24 v38, v1, s6, v4
	v_mul_lo_u32 v4, s14, v1
	s_lshl_b32 s6, s14, 5
	v_lshlrev_b32_e32 v1, 5, v30
	v_lshrrev_b32_e32 v15, s21, v15
	v_add_u32_e32 v6, s6, v4
	v_and_b32_e32 v1, 0x60, v1
	v_mul_lo_u32 v15, v15, s22
	v_add_u32_e32 v8, s6, v6
	v_add_u32_e32 v12, v1, v26
	v_sub_u32_e32 v13, v13, v15
	v_add_u32_e32 v10, s6, v8
	v_mul_u32_u24_e32 v43, 0x90, v12
	v_mad_u64_u32 v[12:13], s[6:7], v13, s38, v[12:13]
	v_and_b32_e32 v13, 3, v26
	s_movk_i32 s6, 0x3fc
	v_and_or_b32 v13, v30, s6, v13
	v_mov_b32_e32 v15, 0x4c00
	v_lshl_add_u32 v46, v13, 2, v15
	v_add_u32_e32 v13, 0x4800, v14
	v_lshl_or_b32 v1, v1, 1, v13
	v_lshl_add_u32 v47, v26, 1, v1
	v_lshrrev_b32_e32 v1, 4, v26
	v_lshl_add_u32 v1, v30, 1, v1
	v_mul_lo_u32 v16, s11, v1
	s_lshl_b32 s6, s11, 4
	v_add_u32_e32 v20, s6, v16
	v_and_b32_e32 v18, 60, v27
	v_add_u32_e32 v22, s6, v20
	v_add_u32_e32 v44, 0x4a00, v14
	v_lshlrev_b32_e32 v14, 2, v18
	v_add_u32_e32 v54, s6, v22
	v_lshl_or_b32 v53, v25, 1, v13
	v_mbcnt_hi_u32_b32 v13, -1, v0
	v_mov_b32_e32 v3, 0
	v_lshl_or_b32 v49, v1, 8, v14
	v_ashrrev_i32_e32 v17, 31, v16
	v_ashrrev_i32_e32 v21, 31, v20
	;; [unrolled: 1-line block ×4, first 2 shown]
	v_lshlrev_b32_e32 v1, 8, v25
	s_add_u32 s6, s0, 0xd0
	v_and_b32_e32 v0, 0x60, v13
	v_ashrrev_i32_e32 v5, 31, v4
	v_add_u32_e32 v39, 0x1200, v38
	v_ashrrev_i32_e32 v7, 31, v6
	v_add_u32_e32 v41, 0x2400, v38
	;; [unrolled: 2-line block ×4, first 2 shown]
	v_add_u32_e32 v50, 0x1000, v49
	v_add_u32_e32 v51, 0x2000, v49
	;; [unrolled: 1-line block ×3, first 2 shown]
	s_addc_u32 s7, s1, 0
	v_mov_b32_e32 v56, 0xfeffffff
	v_lshlrev_b32_e32 v14, 2, v2
	v_mov_b32_e32 v15, v3
	v_add_u32_e32 v33, 32, v0
	v_xor_b32_e32 v40, 16, v13
	v_xor_b32_e32 v37, 8, v13
	;; [unrolled: 1-line block ×5, first 2 shown]
	s_mov_b32 s20, 0x3fb8aa3b
	s_mov_b32 s21, 0xc2ce8ed0
	s_mov_b32 s33, 0x42b17218
	v_lshlrev_b64 v[16:17], 2, v[16:17]
	v_lshlrev_b32_e32 v2, 2, v18
	v_lshlrev_b64 v[18:19], 2, v[20:21]
	v_lshlrev_b64 v[20:21], 2, v[22:23]
	;; [unrolled: 1-line block ×3, first 2 shown]
	v_add_u32_e32 v54, v31, v1
	v_mov_b32_e32 v55, 0x7f800000
	v_mov_b32_e32 v0, v3
	;; [unrolled: 1-line block ×4, first 2 shown]
.LBB49_15:                              ; =>This Inner Loop Header: Depth=1
	s_mul_hi_i32 s9, s10, s14
	s_mul_i32 s8, s10, s14
	s_lshl_b64 s[8:9], s[8:9], 2
	s_add_u32 s8, s15, s8
	s_addc_u32 s9, s28, s9
	v_lshl_add_u64 v[58:59], v[4:5], 2, s[8:9]
	v_lshl_add_u64 v[66:67], v[8:9], 2, s[8:9]
	;; [unrolled: 1-line block ×7, first 2 shown]
	global_load_dwordx4 v[58:61], v[74:75], off
	global_load_dwordx4 v[62:65], v[76:77], off
	v_lshl_add_u64 v[80:81], v[66:67], 0, v[14:15]
	global_load_dwordx4 v[66:69], v[78:79], off
	global_load_dwordx4 v[70:73], v[80:81], off
	v_mov_b32_e32 v24, 0
	v_cmp_lt_i32_e32 vcc, v40, v33
	s_waitcnt vmcnt(3)
	ds_write_b128 v38, v[58:61]
	s_waitcnt vmcnt(2)
	ds_write_b128 v39, v[62:65]
	;; [unrolled: 2-line block ×4, first 2 shown]
	s_waitcnt lgkmcnt(0)
	s_barrier
	ds_read_b128 v[58:61], v43
	ds_read_b128 v[62:65], v44
	s_waitcnt lgkmcnt(0)
	;;#ASMSTART
	v_dot2_f32_f16 v24, v58, v62, v24
	;;#ASMEND
	s_nop 0
	;;#ASMSTART
	v_dot2_f32_f16 v24, v59, v63, v24
	;;#ASMEND
	s_nop 0
	;;#ASMSTART
	v_dot2_f32_f16 v24, v60, v64, v24
	;;#ASMEND
	s_nop 0
	;;#ASMSTART
	v_dot2_f32_f16 v24, v61, v65, v24
	;;#ASMEND
	ds_read_b128 v[58:61], v43 offset:16
	ds_read_b128 v[62:65], v44 offset:16
	s_waitcnt lgkmcnt(0)
	;;#ASMSTART
	v_dot2_f32_f16 v24, v58, v62, v24
	;;#ASMEND
	s_nop 0
	;;#ASMSTART
	v_dot2_f32_f16 v24, v59, v63, v24
	;;#ASMEND
	s_nop 0
	;;#ASMSTART
	v_dot2_f32_f16 v24, v60, v64, v24
	;;#ASMEND
	s_nop 0
	;;#ASMSTART
	v_dot2_f32_f16 v24, v61, v65, v24
	;;#ASMEND
	ds_read_b128 v[58:61], v43 offset:32
	ds_read_b128 v[62:65], v44 offset:32
	;; [unrolled: 18-line block ×7, first 2 shown]
	s_waitcnt lgkmcnt(0)
	;;#ASMSTART
	v_dot2_f32_f16 v24, v58, v62, v24
	;;#ASMEND
	s_nop 0
	;;#ASMSTART
	v_dot2_f32_f16 v24, v59, v63, v24
	;;#ASMEND
	s_nop 0
	;; [unrolled: 4-line block ×3, first 2 shown]
	;;#ASMSTART
	v_dot2_f32_f16 v24, v61, v65, v24
	;;#ASMEND
	s_barrier
	global_load_dwordx4 v[58:61], v[74:75], off offset:128
	global_load_dwordx4 v[62:65], v[76:77], off offset:128
	;; [unrolled: 1-line block ×4, first 2 shown]
	s_waitcnt vmcnt(3)
	ds_write_b128 v38, v[58:61]
	s_waitcnt vmcnt(2)
	ds_write_b128 v39, v[62:65]
	;; [unrolled: 2-line block ×4, first 2 shown]
	s_waitcnt lgkmcnt(0)
	s_barrier
	ds_read_b128 v[58:61], v43
	ds_read_b128 v[62:65], v44 offset:128
	s_waitcnt lgkmcnt(0)
	;;#ASMSTART
	v_dot2_f32_f16 v24, v58, v62, v24
	;;#ASMEND
	s_nop 0
	;;#ASMSTART
	v_dot2_f32_f16 v24, v59, v63, v24
	;;#ASMEND
	v_add_u32_e32 v66, s10, v12
	;;#ASMSTART
	v_dot2_f32_f16 v24, v60, v64, v24
	;;#ASMEND
	v_ashrrev_i32_e32 v67, 31, v66
	;;#ASMSTART
	v_dot2_f32_f16 v24, v61, v65, v24
	;;#ASMEND
	ds_read_b128 v[58:61], v43 offset:16
	ds_read_b128 v[62:65], v44 offset:144
	s_waitcnt lgkmcnt(0)
	;;#ASMSTART
	v_dot2_f32_f16 v24, v58, v62, v24
	;;#ASMEND
	s_nop 0
	;;#ASMSTART
	v_dot2_f32_f16 v24, v59, v63, v24
	;;#ASMEND
	v_lshl_add_u64 v[66:67], v[66:67], 1, s[26:27]
	;;#ASMSTART
	v_dot2_f32_f16 v24, v60, v64, v24
	;;#ASMEND
	s_nop 0
	;;#ASMSTART
	v_dot2_f32_f16 v24, v61, v65, v24
	;;#ASMEND
	ds_read_b128 v[58:61], v43 offset:32
	ds_read_b128 v[62:65], v44 offset:160
	s_waitcnt lgkmcnt(0)
	;;#ASMSTART
	v_dot2_f32_f16 v24, v58, v62, v24
	;;#ASMEND
	s_nop 0
	;;#ASMSTART
	v_dot2_f32_f16 v24, v59, v63, v24
	;;#ASMEND
	s_nop 0
	;;#ASMSTART
	v_dot2_f32_f16 v24, v60, v64, v24
	;;#ASMEND
	s_nop 0
	;;#ASMSTART
	v_dot2_f32_f16 v24, v61, v65, v24
	;;#ASMEND
	ds_read_b128 v[58:61], v43 offset:48
	ds_read_b128 v[62:65], v44 offset:176
	s_waitcnt lgkmcnt(0)
	;;#ASMSTART
	v_dot2_f32_f16 v24, v58, v62, v24
	;;#ASMEND
	s_nop 0
	;;#ASMSTART
	v_dot2_f32_f16 v24, v59, v63, v24
	;;#ASMEND
	s_nop 0
	;; [unrolled: 18-line block ×5, first 2 shown]
	;;#ASMSTART
	v_dot2_f32_f16 v24, v60, v64, v24
	;;#ASMEND
	s_nop 0
	;;#ASMSTART
	v_dot2_f32_f16 v24, v61, v65, v24
	;;#ASMEND
	ds_read_b128 v[58:61], v43 offset:112
	ds_read_b128 v[62:65], v44 offset:240
	s_waitcnt lgkmcnt(0)
	;;#ASMSTART
	v_dot2_f32_f16 v24, v58, v62, v24
	;;#ASMEND
	s_nop 0
	;;#ASMSTART
	v_dot2_f32_f16 v24, v59, v63, v24
	;;#ASMEND
	v_cndmask_b32_e32 v58, v13, v40, vcc
	;;#ASMSTART
	v_dot2_f32_f16 v24, v60, v64, v24
	;;#ASMEND
	v_max_f32_e32 v59, v56, v56
	;;#ASMSTART
	v_dot2_f32_f16 v24, v61, v65, v24
	;;#ASMEND
	global_load_ushort v57, v[66:67], off
	v_lshlrev_b32_e32 v58, 2, v58
	v_cmp_lt_i32_e32 vcc, v37, v33
	s_waitcnt vmcnt(0)
	v_cvt_f32_f16_e32 v57, v57
	v_add_f32_e32 v57, v24, v57
	v_add_f32_e32 v24, 0x40051340, v57
	v_max_f32_e32 v24, v59, v24
	ds_bpermute_b32 v58, v58, v24
	v_cndmask_b32_e32 v59, v13, v37, vcc
	v_lshlrev_b32_e32 v59, 2, v59
	v_cmp_lt_i32_e32 vcc, v36, v33
	s_waitcnt lgkmcnt(0)
	v_max_f32_e32 v58, v58, v58
	v_max_f32_e32 v24, v24, v58
	ds_bpermute_b32 v58, v59, v24
	v_cndmask_b32_e32 v59, v13, v36, vcc
	v_lshlrev_b32_e32 v59, 2, v59
	v_cmp_lt_i32_e32 vcc, v35, v33
	s_waitcnt lgkmcnt(0)
	v_max_f32_e32 v58, v58, v58
	;; [unrolled: 7-line block ×3, first 2 shown]
	v_max_f32_e32 v24, v24, v58
	ds_bpermute_b32 v58, v59, v24
	v_cndmask_b32_e32 v59, v13, v34, vcc
	v_lshlrev_b32_e32 v59, 2, v59
	s_waitcnt lgkmcnt(0)
	v_max_f32_e32 v58, v58, v58
	v_max_f32_e32 v24, v24, v58
	ds_bpermute_b32 v58, v59, v24
	s_and_saveexec_b64 s[8:9], s[4:5]
	s_cbranch_execz .LBB49_17
; %bb.16:                               ;   in Loop: Header=BB49_15 Depth=1
	s_waitcnt lgkmcnt(0)
	v_max_f32_e32 v58, v58, v58
	v_max_f32_e32 v24, v24, v24
	;; [unrolled: 1-line block ×3, first 2 shown]
	ds_write_b32 v45, v24
.LBB49_17:                              ;   in Loop: Header=BB49_15 Depth=1
	s_or_b64 exec, exec, s[8:9]
	s_mul_hi_i32 s9, s10, s11
	s_mul_i32 s8, s10, s11
	s_lshl_b64 s[8:9], s[8:9], 2
	s_add_u32 s8, s29, s8
	s_addc_u32 s9, s31, s9
	s_waitcnt lgkmcnt(0)
	v_lshl_add_u64 v[58:59], s[8:9], 0, v[16:17]
	v_lshl_add_u64 v[66:67], v[58:59], 0, v[2:3]
	;; [unrolled: 1-line block ×3, first 2 shown]
	s_barrier
	v_lshl_add_u64 v[68:69], v[58:59], 0, v[2:3]
	global_load_dwordx4 v[58:61], v[66:67], off
	global_load_dwordx4 v[62:65], v[68:69], off
	v_lshl_add_u64 v[66:67], s[8:9], 0, v[20:21]
	v_lshl_add_u64 v[74:75], v[66:67], 0, v[2:3]
	;; [unrolled: 1-line block ×4, first 2 shown]
	global_load_dwordx4 v[66:69], v[74:75], off
	global_load_dwordx4 v[70:73], v[76:77], off
	ds_read_b32 v24, v46
	v_and_b32_e32 v74, 0x7c, v13
	v_add_u32_e32 v74, 4, v74
	v_cmp_lt_i32_e32 vcc, v35, v74
	s_or_b32 s8, s10, 64
	s_mul_hi_i32 s9, s8, s11
	v_cndmask_b32_e32 v75, v13, v35, vcc
	v_lshlrev_b32_e32 v75, 2, v75
	s_waitcnt lgkmcnt(0)
	ds_bpermute_b32 v75, v75, v24
	v_cmp_lt_i32_e32 vcc, v34, v74
	v_max_f32_e32 v24, v24, v24
	s_mul_i32 s8, s8, s11
	v_cndmask_b32_e32 v74, v13, v34, vcc
	s_waitcnt lgkmcnt(0)
	v_max_f32_e32 v75, v75, v75
	v_lshlrev_b32_e32 v74, 2, v74
	v_max_f32_e32 v24, v24, v75
	ds_bpermute_b32 v74, v74, v24
	s_lshl_b64 s[8:9], s[8:9], 2
	s_add_u32 s8, s29, s8
	s_addc_u32 s9, s31, s9
	v_lshl_add_u64 v[90:91], s[8:9], 0, v[16:17]
	s_waitcnt lgkmcnt(0)
	v_max_f32_e32 v74, v74, v74
	v_max_f32_e32 v24, v24, v74
	v_sub_f32_e32 v57, v57, v24
	v_mul_f32_e32 v74, 0x3fb8aa3b, v57
	v_fma_f32 v75, v57, s20, -v74
	v_rndne_f32_e32 v76, v74
	v_fmac_f32_e32 v75, 0x32a5705f, v57
	v_sub_f32_e32 v74, v74, v76
	v_add_f32_e32 v74, v74, v75
	v_cvt_i32_f32_e32 v76, v76
	v_exp_f32_e32 v74, v74
	v_cmp_ngt_f32_e32 vcc, s21, v57
	v_lshl_add_u64 v[98:99], v[90:91], 0, v[2:3]
	v_lshl_add_u64 v[90:91], s[8:9], 0, v[18:19]
	v_ldexp_f32 v74, v74, v76
	v_cndmask_b32_e32 v74, 0, v74, vcc
	v_cmp_nlt_f32_e32 vcc, s33, v57
	v_lshl_add_u64 v[100:101], v[90:91], 0, v[2:3]
	v_sub_f32_e32 v56, v56, v24
	v_cndmask_b32_e32 v57, v55, v74, vcc
	v_cvt_f16_f32_e32 v74, v57
	v_cmp_ngt_f32_e32 vcc, s21, v56
	ds_write_b16 v47, v74
	s_waitcnt vmcnt(3)
	ds_write_b128 v49, v[58:61]
	s_waitcnt vmcnt(2)
	ds_write_b128 v50, v[62:65]
	;; [unrolled: 2-line block ×4, first 2 shown]
	s_waitcnt lgkmcnt(0)
	s_barrier
	ds_read2st64_b64 v[58:61], v54 offset1:2
	ds_read_u16 v110, v53
	ds_read_u16 v111, v53 offset:8
	ds_read_u16 v112, v53 offset:16
	;; [unrolled: 1-line block ×7, first 2 shown]
	ds_read2st64_b64 v[62:65], v54 offset0:4 offset1:6
	ds_read2st64_b64 v[66:69], v54 offset0:8 offset1:10
	;; [unrolled: 1-line block ×7, first 2 shown]
	ds_read_u16 v118, v53 offset:64
	ds_read_u16 v119, v53 offset:72
	;; [unrolled: 1-line block ×8, first 2 shown]
	s_waitcnt lgkmcnt(0)
	s_barrier
	global_load_dwordx4 v[90:93], v[98:99], off
	global_load_dwordx4 v[94:97], v[100:101], off
	v_lshl_add_u64 v[98:99], s[8:9], 0, v[20:21]
	v_lshl_add_u64 v[106:107], v[98:99], 0, v[2:3]
	;; [unrolled: 1-line block ×4, first 2 shown]
	global_load_dwordx4 v[98:101], v[106:107], off
	global_load_dwordx4 v[102:105], v[108:109], off
	v_mul_f32_e32 v106, 0x3fb8aa3b, v56
	v_fma_f32 v107, v56, s20, -v106
	v_rndne_f32_e32 v108, v106
	v_fmac_f32_e32 v107, 0x32a5705f, v56
	v_sub_f32_e32 v106, v106, v108
	v_add_f32_e32 v106, v106, v107
	v_cvt_i32_f32_e32 v108, v108
	v_exp_f32_e32 v106, v106
	v_mul_u32_u24_e32 v107, 0x10001, v110
	v_pk_mul_f16 v58, v58, v107
	v_pk_mul_f16 v59, v59, v107
	v_ldexp_f32 v106, v106, v108
	v_cndmask_b32_e32 v106, 0, v106, vcc
	v_cmp_nlt_f32_e32 vcc, s33, v56
	v_mul_u32_u24_e32 v108, 0x10001, v111
	v_mul_u32_u24_e32 v109, 0x10001, v112
	v_cndmask_b32_e32 v56, v55, v106, vcc
	v_cvt_f16_f32_e32 v106, v56
	v_fma_f32 v48, v48, v56, v57
	v_mul_u32_u24_e32 v56, 0x10001, v116
	s_waitcnt vmcnt(3)
	ds_write_b128 v49, v[90:93]
	s_waitcnt vmcnt(2)
	ds_write_b128 v50, v[94:97]
	;; [unrolled: 2-line block ×4, first 2 shown]
	v_mul_u32_u24_e32 v106, 0x10001, v106
	v_pk_fma_f16 v0, v0, v106, v58
	v_pk_fma_f16 v1, v1, v106, v59
	;; [unrolled: 1-line block ×6, first 2 shown]
	v_mul_u32_u24_e32 v58, 0x10001, v113
	v_pk_fma_f16 v0, v64, v58, v0
	v_pk_fma_f16 v1, v65, v58, v1
	v_mul_u32_u24_e32 v58, 0x10001, v114
	v_pk_fma_f16 v0, v66, v58, v0
	v_pk_fma_f16 v1, v67, v58, v1
	;; [unrolled: 3-line block ×3, first 2 shown]
	v_pk_fma_f16 v0, v70, v56, v0
	v_pk_fma_f16 v1, v71, v56, v1
	v_mul_u32_u24_e32 v56, 0x10001, v117
	v_pk_fma_f16 v0, v72, v56, v0
	v_pk_fma_f16 v1, v73, v56, v1
	v_mul_u32_u24_e32 v56, 0x10001, v118
	;; [unrolled: 3-line block ×9, first 2 shown]
	v_pk_fma_f16 v0, v88, v56, v0
	v_pk_fma_f16 v1, v89, v56, v1
	s_waitcnt lgkmcnt(0)
	s_barrier
	ds_read2st64_b64 v[56:59], v54 offset1:2
	ds_read_u16 v60, v53 offset:128
	ds_read_u16 v64, v53 offset:136
	;; [unrolled: 1-line block ×8, first 2 shown]
	s_waitcnt lgkmcnt(7)
	v_mul_u32_u24_e32 v60, 0x10001, v60
	v_pk_fma_f16 v0, v56, v60, v0
	v_pk_fma_f16 v1, v57, v60, v1
	ds_read2st64_b64 v[60:63], v54 offset0:4 offset1:6
	s_waitcnt lgkmcnt(7)
	v_mul_u32_u24_e32 v56, 0x10001, v64
	v_pk_fma_f16 v0, v58, v56, v0
	v_pk_fma_f16 v1, v59, v56, v1
	s_waitcnt lgkmcnt(6)
	v_mul_u32_u24_e32 v56, 0x10001, v65
	s_waitcnt lgkmcnt(0)
	v_pk_fma_f16 v0, v60, v56, v0
	v_pk_fma_f16 v1, v61, v56, v1
	ds_read2st64_b64 v[56:59], v54 offset0:8 offset1:10
	v_mul_u32_u24_e32 v60, 0x10001, v66
	v_pk_fma_f16 v0, v62, v60, v0
	v_pk_fma_f16 v1, v63, v60, v1
	v_mul_u32_u24_e32 v60, 0x10001, v67
	s_waitcnt lgkmcnt(0)
	v_pk_fma_f16 v0, v56, v60, v0
	v_pk_fma_f16 v1, v57, v60, v1
	ds_read2st64_b64 v[60:63], v54 offset0:12 offset1:14
	v_mul_u32_u24_e32 v56, 0x10001, v68
	v_pk_fma_f16 v0, v58, v56, v0
	v_pk_fma_f16 v1, v59, v56, v1
	v_mul_u32_u24_e32 v56, 0x10001, v69
	s_waitcnt lgkmcnt(0)
	v_pk_fma_f16 v0, v60, v56, v0
	v_pk_fma_f16 v1, v61, v56, v1
	v_mul_u32_u24_e32 v56, 0x10001, v70
	v_pk_fma_f16 v0, v62, v56, v0
	v_pk_fma_f16 v1, v63, v56, v1
	ds_read2st64_b64 v[56:59], v54 offset0:16 offset1:18
	ds_read_u16 v60, v53 offset:192
	ds_read_u16 v64, v53 offset:200
	;; [unrolled: 1-line block ×8, first 2 shown]
	s_waitcnt lgkmcnt(7)
	v_mul_u32_u24_e32 v60, 0x10001, v60
	v_pk_fma_f16 v0, v56, v60, v0
	v_pk_fma_f16 v1, v57, v60, v1
	ds_read2st64_b64 v[60:63], v54 offset0:20 offset1:22
	s_waitcnt lgkmcnt(7)
	v_mul_u32_u24_e32 v56, 0x10001, v64
	v_pk_fma_f16 v0, v58, v56, v0
	v_pk_fma_f16 v1, v59, v56, v1
	s_waitcnt lgkmcnt(6)
	v_mul_u32_u24_e32 v56, 0x10001, v65
	s_waitcnt lgkmcnt(0)
	v_pk_fma_f16 v0, v60, v56, v0
	v_pk_fma_f16 v1, v61, v56, v1
	ds_read2st64_b64 v[56:59], v54 offset0:24 offset1:26
	v_mul_u32_u24_e32 v60, 0x10001, v66
	v_pk_fma_f16 v0, v62, v60, v0
	v_pk_fma_f16 v1, v63, v60, v1
	v_mul_u32_u24_e32 v60, 0x10001, v67
	s_waitcnt lgkmcnt(0)
	v_pk_fma_f16 v0, v56, v60, v0
	v_pk_fma_f16 v1, v57, v60, v1
	v_mul_u32_u24_e32 v56, 0x10001, v68
	v_pk_fma_f16 v0, v58, v56, v0
	v_pk_fma_f16 v1, v59, v56, v1
	ds_read2st64_b64 v[56:59], v54 offset0:28 offset1:30
	s_waitcnt lgkmcnt(0)
	s_barrier
	s_load_dword s8, s[6:7], 0x4
	v_mul_u32_u24_e32 v60, 0x10001, v69
	v_pk_fma_f16 v0, v56, v60, v0
	v_pk_fma_f16 v1, v57, v60, v1
	v_mul_u32_u24_e32 v56, 0x10001, v70
	s_waitcnt lgkmcnt(0)
	s_lshl_b32 s8, s8, 7
	s_add_i32 s10, s8, s10
	v_pk_fma_f16 v0, v58, v56, v0
	s_cmp_ge_i32 s10, s24
	v_pk_fma_f16 v1, v59, v56, v1
	s_cbranch_scc1 .LBB49_9
; %bb.18:                               ;   in Loop: Header=BB49_15 Depth=1
	v_mov_b32_e32 v56, v24
	s_branch .LBB49_15
.LBB49_19:
	v_cmp_eq_u32_e64 s[4:5], 0, v26
	ds_write_b64 v2, v[0:1]
	s_and_saveexec_b64 s[8:9], s[4:5]
; %bb.20:
	ds_write_b32 v32, v25 offset:18944
; %bb.21:
	s_or_b64 exec, exec, s[8:9]
                                        ; implicit-def: $vgpr2
                                        ; implicit-def: $vgpr32
	s_andn2_saveexec_b64 s[4:5], s[6:7]
	s_cbranch_execz .LBB49_11
.LBB49_22:
	s_waitcnt lgkmcnt(0)
	s_barrier
	ds_read2_b64 v[4:7], v2 offset0:32 offset1:64
	v_add_u32_e32 v3, 0x4a04, v32
	ds_read2_b32 v[8:9], v3 offset1:1
	s_waitcnt lgkmcnt(1)
	v_pk_add_f16 v3, v4, v0
	v_pk_add_f16 v4, v5, v1
	ds_read_b64 v[0:1], v2 offset:768
	ds_read_b32 v2, v32 offset:18956
	s_waitcnt lgkmcnt(2)
	v_add_f32_e32 v5, v25, v8
	v_pk_add_f16 v3, v6, v3
	v_pk_add_f16 v4, v7, v4
	v_add_f32_e32 v5, v5, v9
	s_waitcnt lgkmcnt(1)
	v_pk_add_f16 v0, v0, v3
	v_pk_add_f16 v1, v1, v4
	s_waitcnt lgkmcnt(0)
	v_add_f32_e32 v25, v5, v2
	s_or_b64 exec, exec, s[4:5]
	s_and_saveexec_b64 s[4:5], vcc
	s_cbranch_execz .LBB49_12
.LBB49_23:
	s_cmp_eq_u64 s[12:13], 0
	s_cselect_b64 s[4:5], -1, 0
	s_cmp_lg_u32 s3, 0
	s_cselect_b64 s[6:7], -1, 0
	s_or_b64 s[4:5], s[6:7], s[4:5]
	v_add_u32_e32 v2, s25, v29
	s_and_b64 vcc, exec, s[4:5]
	s_cbranch_vccnz .LBB49_25
; %bb.24:
	v_ashrrev_i32_e32 v3, 31, v2
	v_lshl_add_u64 v[4:5], v[2:3], 2, s[12:13]
	global_load_dword v3, v[4:5], off
	v_max_f32_e32 v4, v24, v24
	s_mov_b32 s4, 0x3fb8aa3b
	s_mov_b32 s5, 0xc2ce8ed0
	s_waitcnt vmcnt(0)
	v_max_f32_e32 v5, v3, v3
	v_max_f32_e32 v4, v4, v5
	v_sub_f32_e32 v5, v24, v4
	v_sub_f32_e32 v3, v3, v4
	v_mul_f32_e32 v6, 0x3fb8aa3b, v5
	v_mul_f32_e32 v7, 0x3fb8aa3b, v3
	v_fma_f32 v8, v5, s4, -v6
	v_rndne_f32_e32 v9, v6
	v_fma_f32 v10, v3, s4, -v7
	v_rndne_f32_e32 v11, v7
	v_fmac_f32_e32 v8, 0x32a5705f, v5
	v_sub_f32_e32 v6, v6, v9
	v_fmac_f32_e32 v10, 0x32a5705f, v3
	v_sub_f32_e32 v7, v7, v11
	v_add_f32_e32 v6, v6, v8
	v_cvt_i32_f32_e32 v9, v9
	v_add_f32_e32 v7, v7, v10
	v_exp_f32_e32 v6, v6
	v_cvt_i32_f32_e32 v11, v11
	v_exp_f32_e32 v7, v7
	v_cmp_ngt_f32_e32 vcc, s5, v5
	v_ldexp_f32 v6, v6, v9
	s_mov_b32 s4, 0x42b17218
	v_ldexp_f32 v7, v7, v11
	v_cndmask_b32_e32 v6, 0, v6, vcc
	v_cmp_ngt_f32_e32 vcc, s5, v3
	v_mov_b32_e32 v8, 0x7f800000
	s_nop 0
	v_cndmask_b32_e32 v7, 0, v7, vcc
	v_cmp_nlt_f32_e32 vcc, s4, v5
	s_nop 1
	v_cndmask_b32_e32 v6, v8, v6, vcc
	v_cvt_f16_f32_e32 v9, v6
	v_cmp_nlt_f32_e32 vcc, s4, v3
	v_mul_u32_u24_e32 v3, 0x10001, v9
	s_nop 0
	v_cndmask_b32_e32 v5, v8, v7, vcc
	v_fmac_f32_e32 v5, v25, v6
	v_pk_mul_f16 v0, v0, v3
	v_pk_mul_f16 v1, v1, v3
	v_mov_b64_e32 v[24:25], v[4:5]
	s_branch .LBB49_26
.LBB49_25:
	v_mov_b32_e32 v5, v25
.LBB49_26:
	s_load_dword s6, s[0:1], 0xd4
	v_div_scale_f32 v3, s[0:1], v5, v5, 1.0
	v_rcp_f32_e32 v4, v3
	s_mul_i32 s4, s30, s22
	s_waitcnt lgkmcnt(0)
	s_cmp_lg_u32 s6, 1
	s_cselect_b64 s[0:1], -1, 0
	v_fma_f32 v8, -v3, v4, 1.0
	v_fmac_f32_e32 v4, v8, v4
	v_div_scale_f32 v8, vcc, 1.0, v5, 1.0
	v_mul_f32_e32 v9, v8, v4
	v_fma_f32 v10, -v3, v9, v8
	v_fmac_f32_e32 v9, v10, v4
	v_fma_f32 v3, -v3, v9, v8
	v_div_fmas_f32 v3, v3, v4, v9
	v_div_fixup_f32 v3, v3, v5, 1.0
	s_add_i32 s4, s4, s2
	v_cndmask_b32_e64 v8, v3, 1.0, s[0:1]
	v_add_u32_e32 v3, s4, v28
	v_mad_u64_u32 v[2:3], s[4:5], v3, s23, v[2:3]
	v_cvt_f32_f16_sdwa v11, v0 dst_sel:DWORD dst_unused:UNUSED_PAD src0_sel:WORD_1
	v_cvt_f32_f16_e32 v10, v0
	v_cvt_f32_f16_sdwa v13, v1 dst_sel:DWORD dst_unused:UNUSED_PAD src0_sel:WORD_1
	v_cvt_f32_f16_e32 v12, v1
	v_mul_lo_u32 v2, s6, v2
	v_add_u32_e32 v2, s3, v2
	v_mov_b32_e32 v6, s16
	v_mov_b32_e32 v7, s17
	v_lshl_add_u32 v4, v2, 7, v27
	v_mov_b32_e32 v5, 0
	v_cmp_eq_u32_e32 vcc, 0, v26
	v_lshl_add_u64 v[0:1], v[4:5], 2, v[6:7]
	s_and_b64 s[0:1], vcc, s[0:1]
	v_pk_mul_f32 v[4:5], v[8:9], v[10:11] op_sel_hi:[0,1]
	v_pk_mul_f32 v[6:7], v[8:9], v[12:13] op_sel_hi:[0,1]
	global_store_dwordx4 v[0:1], v[4:7], off
	s_and_b64 exec, exec, s[0:1]
	s_cbranch_execz .LBB49_12
; %bb.27:
	v_mov_b32_e32 v0, s18
	v_mov_b32_e32 v1, s19
	v_ashrrev_i32_e32 v3, 31, v2
	v_lshl_add_u64 v[0:1], v[2:3], 3, v[0:1]
	global_store_dwordx2 v[0:1], v[24:25], off
	s_endpgm
	.section	.rodata,"a",@progbits
	.p2align	6, 0x0
	.amdhsa_kernel _ZL15flash_attn_tileILi128ELi128ELi1ELi2ELb0EEvPKcS1_S1_S1_S1_PKiPfP15HIP_vector_typeIfLj2EEffffjfiS5_IjLj3EEiiiiiiiiiiiliiliiiiil
		.amdhsa_group_segment_fixed_size 19488
		.amdhsa_private_segment_fixed_size 0
		.amdhsa_kernarg_size 464
		.amdhsa_user_sgpr_count 2
		.amdhsa_user_sgpr_dispatch_ptr 0
		.amdhsa_user_sgpr_queue_ptr 0
		.amdhsa_user_sgpr_kernarg_segment_ptr 1
		.amdhsa_user_sgpr_dispatch_id 0
		.amdhsa_user_sgpr_kernarg_preload_length 0
		.amdhsa_user_sgpr_kernarg_preload_offset 0
		.amdhsa_user_sgpr_private_segment_size 0
		.amdhsa_uses_dynamic_stack 0
		.amdhsa_enable_private_segment 0
		.amdhsa_system_sgpr_workgroup_id_x 1
		.amdhsa_system_sgpr_workgroup_id_y 1
		.amdhsa_system_sgpr_workgroup_id_z 1
		.amdhsa_system_sgpr_workgroup_info 0
		.amdhsa_system_vgpr_workitem_id 1
		.amdhsa_next_free_vgpr 126
		.amdhsa_next_free_sgpr 44
		.amdhsa_accum_offset 128
		.amdhsa_reserve_vcc 1
		.amdhsa_float_round_mode_32 0
		.amdhsa_float_round_mode_16_64 0
		.amdhsa_float_denorm_mode_32 3
		.amdhsa_float_denorm_mode_16_64 3
		.amdhsa_dx10_clamp 1
		.amdhsa_ieee_mode 1
		.amdhsa_fp16_overflow 0
		.amdhsa_tg_split 0
		.amdhsa_exception_fp_ieee_invalid_op 0
		.amdhsa_exception_fp_denorm_src 0
		.amdhsa_exception_fp_ieee_div_zero 0
		.amdhsa_exception_fp_ieee_overflow 0
		.amdhsa_exception_fp_ieee_underflow 0
		.amdhsa_exception_fp_ieee_inexact 0
		.amdhsa_exception_int_div_zero 0
	.end_amdhsa_kernel
	.section	.text._ZL15flash_attn_tileILi128ELi128ELi1ELi2ELb0EEvPKcS1_S1_S1_S1_PKiPfP15HIP_vector_typeIfLj2EEffffjfiS5_IjLj3EEiiiiiiiiiiiliiliiiiil,"axG",@progbits,_ZL15flash_attn_tileILi128ELi128ELi1ELi2ELb0EEvPKcS1_S1_S1_S1_PKiPfP15HIP_vector_typeIfLj2EEffffjfiS5_IjLj3EEiiiiiiiiiiiliiliiiiil,comdat
.Lfunc_end49:
	.size	_ZL15flash_attn_tileILi128ELi128ELi1ELi2ELb0EEvPKcS1_S1_S1_S1_PKiPfP15HIP_vector_typeIfLj2EEffffjfiS5_IjLj3EEiiiiiiiiiiiliiliiiiil, .Lfunc_end49-_ZL15flash_attn_tileILi128ELi128ELi1ELi2ELb0EEvPKcS1_S1_S1_S1_PKiPfP15HIP_vector_typeIfLj2EEffffjfiS5_IjLj3EEiiiiiiiiiiiliiliiiiil
                                        ; -- End function
	.set _ZL15flash_attn_tileILi128ELi128ELi1ELi2ELb0EEvPKcS1_S1_S1_S1_PKiPfP15HIP_vector_typeIfLj2EEffffjfiS5_IjLj3EEiiiiiiiiiiiliiliiiiil.num_vgpr, 126
	.set _ZL15flash_attn_tileILi128ELi128ELi1ELi2ELb0EEvPKcS1_S1_S1_S1_PKiPfP15HIP_vector_typeIfLj2EEffffjfiS5_IjLj3EEiiiiiiiiiiiliiliiiiil.num_agpr, 0
	.set _ZL15flash_attn_tileILi128ELi128ELi1ELi2ELb0EEvPKcS1_S1_S1_S1_PKiPfP15HIP_vector_typeIfLj2EEffffjfiS5_IjLj3EEiiiiiiiiiiiliiliiiiil.numbered_sgpr, 44
	.set _ZL15flash_attn_tileILi128ELi128ELi1ELi2ELb0EEvPKcS1_S1_S1_S1_PKiPfP15HIP_vector_typeIfLj2EEffffjfiS5_IjLj3EEiiiiiiiiiiiliiliiiiil.num_named_barrier, 0
	.set _ZL15flash_attn_tileILi128ELi128ELi1ELi2ELb0EEvPKcS1_S1_S1_S1_PKiPfP15HIP_vector_typeIfLj2EEffffjfiS5_IjLj3EEiiiiiiiiiiiliiliiiiil.private_seg_size, 0
	.set _ZL15flash_attn_tileILi128ELi128ELi1ELi2ELb0EEvPKcS1_S1_S1_S1_PKiPfP15HIP_vector_typeIfLj2EEffffjfiS5_IjLj3EEiiiiiiiiiiiliiliiiiil.uses_vcc, 1
	.set _ZL15flash_attn_tileILi128ELi128ELi1ELi2ELb0EEvPKcS1_S1_S1_S1_PKiPfP15HIP_vector_typeIfLj2EEffffjfiS5_IjLj3EEiiiiiiiiiiiliiliiiiil.uses_flat_scratch, 0
	.set _ZL15flash_attn_tileILi128ELi128ELi1ELi2ELb0EEvPKcS1_S1_S1_S1_PKiPfP15HIP_vector_typeIfLj2EEffffjfiS5_IjLj3EEiiiiiiiiiiiliiliiiiil.has_dyn_sized_stack, 0
	.set _ZL15flash_attn_tileILi128ELi128ELi1ELi2ELb0EEvPKcS1_S1_S1_S1_PKiPfP15HIP_vector_typeIfLj2EEffffjfiS5_IjLj3EEiiiiiiiiiiiliiliiiiil.has_recursion, 0
	.set _ZL15flash_attn_tileILi128ELi128ELi1ELi2ELb0EEvPKcS1_S1_S1_S1_PKiPfP15HIP_vector_typeIfLj2EEffffjfiS5_IjLj3EEiiiiiiiiiiiliiliiiiil.has_indirect_call, 0
	.section	.AMDGPU.csdata,"",@progbits
; Kernel info:
; codeLenInByte = 6596
; TotalNumSgprs: 50
; NumVgprs: 126
; NumAgprs: 0
; TotalNumVgprs: 126
; ScratchSize: 0
; MemoryBound: 0
; FloatMode: 240
; IeeeMode: 1
; LDSByteSize: 19488 bytes/workgroup (compile time only)
; SGPRBlocks: 6
; VGPRBlocks: 15
; NumSGPRsForWavesPerEU: 50
; NumVGPRsForWavesPerEU: 126
; AccumOffset: 128
; Occupancy: 4
; WaveLimiterHint : 1
; COMPUTE_PGM_RSRC2:SCRATCH_EN: 0
; COMPUTE_PGM_RSRC2:USER_SGPR: 2
; COMPUTE_PGM_RSRC2:TRAP_HANDLER: 0
; COMPUTE_PGM_RSRC2:TGID_X_EN: 1
; COMPUTE_PGM_RSRC2:TGID_Y_EN: 1
; COMPUTE_PGM_RSRC2:TGID_Z_EN: 1
; COMPUTE_PGM_RSRC2:TIDIG_COMP_CNT: 1
; COMPUTE_PGM_RSRC3_GFX90A:ACCUM_OFFSET: 31
; COMPUTE_PGM_RSRC3_GFX90A:TG_SPLIT: 0
	.section	.text._ZL33flash_attn_stream_k_fixup_uniformILi128ELi1ELi2EEvPfPK15HIP_vector_typeIfLj2EEiiiiiiS1_IjLj3EES5_S5_,"axG",@progbits,_ZL33flash_attn_stream_k_fixup_uniformILi128ELi1ELi2EEvPfPK15HIP_vector_typeIfLj2EEiiiiiiS1_IjLj3EES5_S5_,comdat
	.globl	_ZL33flash_attn_stream_k_fixup_uniformILi128ELi1ELi2EEvPfPK15HIP_vector_typeIfLj2EEiiiiiiS1_IjLj3EES5_S5_ ; -- Begin function _ZL33flash_attn_stream_k_fixup_uniformILi128ELi1ELi2EEvPfPK15HIP_vector_typeIfLj2EEiiiiiiS1_IjLj3EES5_S5_
	.p2align	8
	.type	_ZL33flash_attn_stream_k_fixup_uniformILi128ELi1ELi2EEvPfPK15HIP_vector_typeIfLj2EEiiiiiiS1_IjLj3EES5_S5_,@function
_ZL33flash_attn_stream_k_fixup_uniformILi128ELi1ELi2EEvPfPK15HIP_vector_typeIfLj2EEiiiiiiS1_IjLj3EES5_S5_: ; @_ZL33flash_attn_stream_k_fixup_uniformILi128ELi1ELi2EEvPfPK15HIP_vector_typeIfLj2EEiiiiiiS1_IjLj3EES5_S5_
; %bb.0:
	s_load_dwordx8 s[8:15], s[0:1], 0x1c
	s_load_dwordx2 s[6:7], s[0:1], 0x10
	s_load_dwordx4 s[16:19], s[0:1], 0x3c
	s_waitcnt lgkmcnt(0)
	s_mul_hi_u32 s5, s11, s2
	s_add_i32 s5, s2, s5
	s_lshr_b32 s5, s5, s12
	s_mul_i32 s11, s5, s13
	s_sub_i32 s12, s2, s11
	s_mul_hi_u32 s11, s12, s14
	s_add_i32 s11, s12, s11
	s_lshr_b32 s11, s11, s15
	s_mul_i32 s13, s11, s16
	s_sub_i32 s12, s12, s13
	;; [unrolled: 5-line block ×3, first 2 shown]
	s_lshl_b32 s16, s13, 1
	s_add_i32 s17, s17, s3
	s_cmp_lt_i32 s17, s6
	s_cselect_b64 s[12:13], -1, 0
	s_add_i32 s16, s16, s4
	s_cmp_lt_i32 s16, s9
	s_cselect_b64 s[14:15], -1, 0
	s_and_b64 s[12:13], s[12:13], s[14:15]
	s_andn2_b64 vcc, exec, s[12:13]
	s_cbranch_vccnz .LBB50_6
; %bb.1:
	s_load_dwordx4 s[12:15], s[0:1], 0x0
	s_mul_i32 s5, s5, s6
	s_mul_i32 s11, s11, s9
	s_add_i32 s0, s17, s5
	s_mul_i32 s0, s0, s7
	s_add_i32 s1, s16, s11
	s_add_i32 s1, s1, s0
	v_lshl_or_b32 v4, s1, 7, v0
	s_waitcnt lgkmcnt(0)
	v_mov_b32_e32 v2, s12
	v_mov_b32_e32 v3, s13
	v_ashrrev_i32_e32 v5, 31, v4
	v_lshl_add_u64 v[2:3], v[4:5], 2, v[2:3]
	global_load_dword v5, v[2:3], off
	s_mul_i32 s9, s10, s2
	s_add_i32 s5, s9, s10
	s_add_i32 s0, s3, s5
	s_lshl_b32 s0, s0, 1
	s_add_i32 s0, s0, s4
	s_add_i32 s0, s0, -2
	s_ashr_i32 s1, s0, 31
	s_lshl_b64 s[0:1], s[0:1], 3
	s_add_u32 s0, s14, s0
	s_addc_u32 s1, s15, s1
	s_load_dword s12, s[0:1], 0x4
	s_add_i32 s6, s5, -2
	s_cmp_lt_i32 s6, s9
	s_cbranch_scc1 .LBB50_4
; %bb.2:
	s_lshl_b32 s6, s8, 3
	s_ashr_i32 s7, s6, 31
	s_lshl_b64 s[6:7], s[6:7], 2
	s_add_u32 s6, s14, s6
	s_addc_u32 s7, s15, s7
	s_load_dword s0, s[0:1], 0x0
	s_add_i32 s2, s2, 1
	s_lshl_b32 s1, s4, 7
	s_add_i32 s8, s3, s8
	s_mul_i32 s2, s10, s2
	s_lshl_b32 s3, s3, 8
	s_add_i32 s8, s8, s5
	s_lshl_b32 s2, s2, 8
	s_add_i32 s1, s1, s3
	s_add_i32 s11, s5, -1
	s_lshl_b32 s5, s8, 1
	s_add_i32 s1, s1, s2
	s_add_i32 s4, s4, s5
	v_or_b32_e32 v0, s1, v0
	s_add_i32 s4, s4, -4
	v_add_u32_e32 v0, 0xfffffe00, v0
	s_waitcnt lgkmcnt(0)
	v_mov_b32_e32 v7, s0
	v_mov_b32_e32 v4, s12
	s_mov_b32 s2, 0x3fb8aa3b
	s_mov_b32 s3, 0xc2ce8ed0
	;; [unrolled: 1-line block ×3, first 2 shown]
	v_mov_b32_e32 v6, 0x7f800000
	s_mov_b32 s10, 0xc1a00000
.LBB50_3:                               ; =>This Inner Loop Header: Depth=1
	v_ashrrev_i32_e32 v1, 31, v0
	v_lshl_add_u64 v[8:9], v[0:1], 2, s[6:7]
	global_load_dword v9, v[8:9], off
	s_ashr_i32 s5, s4, 31
	s_lshl_b64 s[0:1], s[4:5], 3
	s_add_u32 s0, s14, s0
	s_addc_u32 s1, s15, s1
	s_load_dwordx2 s[0:1], s[0:1], 0x0
	v_max_f32_e32 v1, v7, v7
	s_add_i32 s11, s11, -1
	s_add_i32 s4, s4, -2
	v_add_u32_e32 v0, 0xffffff00, v0
	s_waitcnt lgkmcnt(0)
	v_max_f32_e64 v10, s0, s0
	v_max_f32_e32 v1, v1, v10
	v_sub_f32_e32 v11, s0, v1
	v_sub_f32_e32 v10, v7, v1
	v_mul_f32_e32 v12, 0x3fb8aa3b, v11
	v_mov_b32_e32 v7, v1
	v_mul_f32_e32 v1, 0x3fb8aa3b, v10
	v_fma_f32 v15, v11, s2, -v12
	v_rndne_f32_e32 v16, v12
	v_fma_f32 v13, v10, s2, -v1
	v_rndne_f32_e32 v14, v1
	v_fmac_f32_e32 v15, 0x32a5705f, v11
	v_sub_f32_e32 v12, v12, v16
	v_fmac_f32_e32 v13, 0x32a5705f, v10
	v_sub_f32_e32 v1, v1, v14
	v_add_f32_e32 v12, v12, v15
	v_cvt_i32_f32_e32 v16, v16
	v_add_f32_e32 v1, v1, v13
	v_exp_f32_e32 v12, v12
	v_cvt_i32_f32_e32 v14, v14
	v_exp_f32_e32 v1, v1
	v_cmp_ngt_f32_e32 vcc, s3, v11
	v_ldexp_f32 v12, v12, v16
	v_mov_b32_e32 v8, s1
	v_ldexp_f32 v1, v1, v14
	v_cmp_ngt_f32_e64 s[0:1], s3, v10
	v_cndmask_b32_e32 v12, 0, v12, vcc
	v_cmp_nlt_f32_e32 vcc, s8, v11
	v_cndmask_b32_e64 v1, 0, v1, s[0:1]
	v_cmp_nlt_f32_e64 s[0:1], s8, v10
	v_cndmask_b32_e32 v12, v6, v12, vcc
	v_cmp_le_f32_e32 vcc, s10, v11
	v_cndmask_b32_e64 v1, v6, v1, s[0:1]
	v_cmp_le_f32_e64 s[0:1], s10, v10
	v_cndmask_b32_e32 v12, 0, v12, vcc
	s_cmp_le_i32 s11, s9
	v_cndmask_b32_e64 v10, 0, v1, s[0:1]
	s_waitcnt vmcnt(0)
	v_pk_mul_f32 v[8:9], v[8:9], v[12:13] op_sel_hi:[1,0]
	s_nop 0
	v_pk_fma_f32 v[4:5], v[4:5], v[10:11], v[8:9] op_sel_hi:[1,0,1]
	s_cbranch_scc0 .LBB50_3
	s_branch .LBB50_5
.LBB50_4:
	s_waitcnt lgkmcnt(0)
	v_mov_b32_e32 v4, s12
.LBB50_5:
	s_waitcnt vmcnt(0)
	v_div_scale_f32 v0, s[0:1], v4, v4, v5
	v_rcp_f32_e32 v1, v0
	v_div_scale_f32 v6, vcc, v5, v4, v5
	v_fma_f32 v7, -v0, v1, 1.0
	v_fmac_f32_e32 v1, v7, v1
	v_mul_f32_e32 v7, v6, v1
	v_fma_f32 v8, -v0, v7, v6
	v_fmac_f32_e32 v7, v8, v1
	v_fma_f32 v0, -v0, v7, v6
	v_div_fmas_f32 v0, v0, v1, v7
	v_div_fixup_f32 v0, v0, v4, v5
	global_store_dword v[2:3], v0, off
.LBB50_6:
	s_endpgm
	.section	.rodata,"a",@progbits
	.p2align	6, 0x0
	.amdhsa_kernel _ZL33flash_attn_stream_k_fixup_uniformILi128ELi1ELi2EEvPfPK15HIP_vector_typeIfLj2EEiiiiiiS1_IjLj3EES5_S5_
		.amdhsa_group_segment_fixed_size 0
		.amdhsa_private_segment_fixed_size 0
		.amdhsa_kernarg_size 76
		.amdhsa_user_sgpr_count 2
		.amdhsa_user_sgpr_dispatch_ptr 0
		.amdhsa_user_sgpr_queue_ptr 0
		.amdhsa_user_sgpr_kernarg_segment_ptr 1
		.amdhsa_user_sgpr_dispatch_id 0
		.amdhsa_user_sgpr_kernarg_preload_length 0
		.amdhsa_user_sgpr_kernarg_preload_offset 0
		.amdhsa_user_sgpr_private_segment_size 0
		.amdhsa_uses_dynamic_stack 0
		.amdhsa_enable_private_segment 0
		.amdhsa_system_sgpr_workgroup_id_x 1
		.amdhsa_system_sgpr_workgroup_id_y 1
		.amdhsa_system_sgpr_workgroup_id_z 1
		.amdhsa_system_sgpr_workgroup_info 0
		.amdhsa_system_vgpr_workitem_id 0
		.amdhsa_next_free_vgpr 17
		.amdhsa_next_free_sgpr 20
		.amdhsa_accum_offset 20
		.amdhsa_reserve_vcc 1
		.amdhsa_float_round_mode_32 0
		.amdhsa_float_round_mode_16_64 0
		.amdhsa_float_denorm_mode_32 3
		.amdhsa_float_denorm_mode_16_64 3
		.amdhsa_dx10_clamp 1
		.amdhsa_ieee_mode 1
		.amdhsa_fp16_overflow 0
		.amdhsa_tg_split 0
		.amdhsa_exception_fp_ieee_invalid_op 0
		.amdhsa_exception_fp_denorm_src 0
		.amdhsa_exception_fp_ieee_div_zero 0
		.amdhsa_exception_fp_ieee_overflow 0
		.amdhsa_exception_fp_ieee_underflow 0
		.amdhsa_exception_fp_ieee_inexact 0
		.amdhsa_exception_int_div_zero 0
	.end_amdhsa_kernel
	.section	.text._ZL33flash_attn_stream_k_fixup_uniformILi128ELi1ELi2EEvPfPK15HIP_vector_typeIfLj2EEiiiiiiS1_IjLj3EES5_S5_,"axG",@progbits,_ZL33flash_attn_stream_k_fixup_uniformILi128ELi1ELi2EEvPfPK15HIP_vector_typeIfLj2EEiiiiiiS1_IjLj3EES5_S5_,comdat
.Lfunc_end50:
	.size	_ZL33flash_attn_stream_k_fixup_uniformILi128ELi1ELi2EEvPfPK15HIP_vector_typeIfLj2EEiiiiiiS1_IjLj3EES5_S5_, .Lfunc_end50-_ZL33flash_attn_stream_k_fixup_uniformILi128ELi1ELi2EEvPfPK15HIP_vector_typeIfLj2EEiiiiiiS1_IjLj3EES5_S5_
                                        ; -- End function
	.set _ZL33flash_attn_stream_k_fixup_uniformILi128ELi1ELi2EEvPfPK15HIP_vector_typeIfLj2EEiiiiiiS1_IjLj3EES5_S5_.num_vgpr, 17
	.set _ZL33flash_attn_stream_k_fixup_uniformILi128ELi1ELi2EEvPfPK15HIP_vector_typeIfLj2EEiiiiiiS1_IjLj3EES5_S5_.num_agpr, 0
	.set _ZL33flash_attn_stream_k_fixup_uniformILi128ELi1ELi2EEvPfPK15HIP_vector_typeIfLj2EEiiiiiiS1_IjLj3EES5_S5_.numbered_sgpr, 20
	.set _ZL33flash_attn_stream_k_fixup_uniformILi128ELi1ELi2EEvPfPK15HIP_vector_typeIfLj2EEiiiiiiS1_IjLj3EES5_S5_.num_named_barrier, 0
	.set _ZL33flash_attn_stream_k_fixup_uniformILi128ELi1ELi2EEvPfPK15HIP_vector_typeIfLj2EEiiiiiiS1_IjLj3EES5_S5_.private_seg_size, 0
	.set _ZL33flash_attn_stream_k_fixup_uniformILi128ELi1ELi2EEvPfPK15HIP_vector_typeIfLj2EEiiiiiiS1_IjLj3EES5_S5_.uses_vcc, 1
	.set _ZL33flash_attn_stream_k_fixup_uniformILi128ELi1ELi2EEvPfPK15HIP_vector_typeIfLj2EEiiiiiiS1_IjLj3EES5_S5_.uses_flat_scratch, 0
	.set _ZL33flash_attn_stream_k_fixup_uniformILi128ELi1ELi2EEvPfPK15HIP_vector_typeIfLj2EEiiiiiiS1_IjLj3EES5_S5_.has_dyn_sized_stack, 0
	.set _ZL33flash_attn_stream_k_fixup_uniformILi128ELi1ELi2EEvPfPK15HIP_vector_typeIfLj2EEiiiiiiS1_IjLj3EES5_S5_.has_recursion, 0
	.set _ZL33flash_attn_stream_k_fixup_uniformILi128ELi1ELi2EEvPfPK15HIP_vector_typeIfLj2EEiiiiiiS1_IjLj3EES5_S5_.has_indirect_call, 0
	.section	.AMDGPU.csdata,"",@progbits
; Kernel info:
; codeLenInByte = 808
; TotalNumSgprs: 26
; NumVgprs: 17
; NumAgprs: 0
; TotalNumVgprs: 17
; ScratchSize: 0
; MemoryBound: 0
; FloatMode: 240
; IeeeMode: 1
; LDSByteSize: 0 bytes/workgroup (compile time only)
; SGPRBlocks: 3
; VGPRBlocks: 2
; NumSGPRsForWavesPerEU: 26
; NumVGPRsForWavesPerEU: 17
; AccumOffset: 20
; Occupancy: 8
; WaveLimiterHint : 0
; COMPUTE_PGM_RSRC2:SCRATCH_EN: 0
; COMPUTE_PGM_RSRC2:USER_SGPR: 2
; COMPUTE_PGM_RSRC2:TRAP_HANDLER: 0
; COMPUTE_PGM_RSRC2:TGID_X_EN: 1
; COMPUTE_PGM_RSRC2:TGID_Y_EN: 1
; COMPUTE_PGM_RSRC2:TGID_Z_EN: 1
; COMPUTE_PGM_RSRC2:TIDIG_COMP_CNT: 0
; COMPUTE_PGM_RSRC3_GFX90A:ACCUM_OFFSET: 4
; COMPUTE_PGM_RSRC3_GFX90A:TG_SPLIT: 0
	.section	.text._ZL33flash_attn_stream_k_fixup_generalILi128ELi1ELi2EEvPfPK15HIP_vector_typeIfLj2EEiiiiS1_IjLj3EES5_S5_S5_,"axG",@progbits,_ZL33flash_attn_stream_k_fixup_generalILi128ELi1ELi2EEvPfPK15HIP_vector_typeIfLj2EEiiiiS1_IjLj3EES5_S5_S5_,comdat
	.globl	_ZL33flash_attn_stream_k_fixup_generalILi128ELi1ELi2EEvPfPK15HIP_vector_typeIfLj2EEiiiiS1_IjLj3EES5_S5_S5_ ; -- Begin function _ZL33flash_attn_stream_k_fixup_generalILi128ELi1ELi2EEvPfPK15HIP_vector_typeIfLj2EEiiiiS1_IjLj3EES5_S5_S5_
	.p2align	8
	.type	_ZL33flash_attn_stream_k_fixup_generalILi128ELi1ELi2EEvPfPK15HIP_vector_typeIfLj2EEiiiiS1_IjLj3EES5_S5_S5_,@function
_ZL33flash_attn_stream_k_fixup_generalILi128ELi1ELi2EEvPfPK15HIP_vector_typeIfLj2EEiiiiS1_IjLj3EES5_S5_S5_: ; @_ZL33flash_attn_stream_k_fixup_generalILi128ELi1ELi2EEvPfPK15HIP_vector_typeIfLj2EEiiiiS1_IjLj3EES5_S5_S5_
; %bb.0:
	s_load_dwordx4 s[8:11], s[0:1], 0x10
	s_load_dword s5, s[0:1], 0x50
	s_mov_b32 s12, 0
	s_waitcnt lgkmcnt(0)
	s_mul_hi_i32 s13, s11, s2
	s_cmp_lg_u64 s[12:13], 0
	s_mul_i32 s18, s11, s2
	s_cbranch_scc0 .LBB51_20
; %bb.1:
	s_add_u32 s6, s5, 0
	s_addc_u32 s7, 0, 0
	s_xor_b64 s[6:7], s[6:7], 0
	v_cvt_f32_u32_e32 v1, s6
	v_cvt_f32_u32_e32 v2, s7
	s_sub_u32 s12, 0, s6
	s_subb_u32 s19, 0, s7
	v_fmamk_f32 v1, v2, 0x4f800000, v1
	v_rcp_f32_e32 v1, v1
	s_nop 0
	v_mul_f32_e32 v1, 0x5f7ffffc, v1
	v_mul_f32_e32 v2, 0x2f800000, v1
	v_trunc_f32_e32 v2, v2
	v_fmamk_f32 v1, v2, 0xcf800000, v1
	v_cvt_u32_f32_e32 v2, v2
	v_cvt_u32_f32_e32 v1, v1
	v_readfirstlane_b32 s20, v2
	v_readfirstlane_b32 s14, v1
	s_mul_i32 s15, s12, s20
	s_mul_hi_u32 s22, s12, s14
	s_mul_i32 s21, s19, s14
	s_add_i32 s15, s22, s15
	s_add_i32 s15, s15, s21
	s_mul_i32 s23, s12, s14
	s_mul_i32 s22, s14, s15
	s_mul_hi_u32 s24, s14, s23
	s_mul_hi_u32 s21, s14, s15
	s_add_u32 s22, s24, s22
	s_addc_u32 s21, 0, s21
	s_mul_hi_u32 s25, s20, s23
	s_mul_i32 s23, s20, s23
	s_add_u32 s22, s22, s23
	s_mul_hi_u32 s24, s20, s15
	s_addc_u32 s21, s21, s25
	s_addc_u32 s22, s24, 0
	s_mul_i32 s15, s20, s15
	s_add_u32 s15, s21, s15
	s_addc_u32 s21, 0, s22
	s_add_u32 s22, s14, s15
	s_cselect_b64 s[14:15], -1, 0
	s_cmp_lg_u64 s[14:15], 0
	s_addc_u32 s20, s20, s21
	s_mul_i32 s14, s12, s20
	s_mul_hi_u32 s15, s12, s22
	s_add_i32 s14, s15, s14
	s_mul_i32 s19, s19, s22
	s_add_i32 s14, s14, s19
	s_mul_i32 s12, s12, s22
	s_mul_hi_u32 s19, s20, s12
	s_mul_i32 s21, s20, s12
	s_mul_i32 s24, s22, s14
	s_mul_hi_u32 s12, s22, s12
	s_mul_hi_u32 s23, s22, s14
	s_add_u32 s12, s12, s24
	s_addc_u32 s23, 0, s23
	s_add_u32 s12, s12, s21
	s_mul_hi_u32 s15, s20, s14
	s_addc_u32 s12, s23, s19
	s_addc_u32 s15, s15, 0
	s_mul_i32 s14, s20, s14
	s_add_u32 s12, s12, s14
	s_addc_u32 s19, 0, s15
	s_add_u32 s21, s22, s12
	s_cselect_b64 s[14:15], -1, 0
	s_cmp_lg_u64 s[14:15], 0
	s_addc_u32 s19, s20, s19
	s_ashr_i32 s14, s13, 31
	s_add_u32 s12, s18, s14
	s_mov_b32 s15, s14
	s_addc_u32 s13, s13, s14
	s_xor_b64 s[12:13], s[12:13], s[14:15]
	s_mul_i32 s22, s12, s19
	s_mul_hi_u32 s23, s12, s21
	s_mul_hi_u32 s20, s12, s19
	s_add_u32 s22, s23, s22
	s_addc_u32 s20, 0, s20
	s_mul_hi_u32 s24, s13, s21
	s_mul_i32 s21, s13, s21
	s_add_u32 s21, s22, s21
	s_mul_hi_u32 s23, s13, s19
	s_addc_u32 s20, s20, s24
	s_addc_u32 s21, s23, 0
	s_mul_i32 s19, s13, s19
	s_add_u32 s19, s20, s19
	s_addc_u32 s24, 0, s21
	s_mul_i32 s20, s6, s24
	s_mul_hi_u32 s21, s6, s19
	s_add_i32 s20, s21, s20
	s_mul_i32 s21, s7, s19
	s_add_i32 s25, s20, s21
	s_sub_i32 s22, s13, s25
	s_mul_i32 s20, s6, s19
	s_sub_u32 s12, s12, s20
	s_cselect_b64 s[20:21], -1, 0
	s_cmp_lg_u64 s[20:21], 0
	s_subb_u32 s26, s22, s7
	s_sub_u32 s27, s12, s6
	s_cselect_b64 s[22:23], -1, 0
	s_cmp_lg_u64 s[22:23], 0
	s_subb_u32 s22, s26, 0
	s_cmp_ge_u32 s22, s7
	s_cselect_b32 s23, -1, 0
	s_cmp_ge_u32 s27, s6
	s_cselect_b32 s26, -1, 0
	s_cmp_eq_u32 s22, s7
	s_cselect_b32 s22, s26, s23
	s_add_u32 s23, s19, 1
	s_addc_u32 s26, s24, 0
	s_add_u32 s27, s19, 2
	s_addc_u32 s28, s24, 0
	s_cmp_lg_u32 s22, 0
	s_cselect_b32 s22, s27, s23
	s_cselect_b32 s23, s28, s26
	s_cmp_lg_u64 s[20:21], 0
	s_subb_u32 s13, s13, s25
	s_cmp_ge_u32 s13, s7
	s_cselect_b32 s20, -1, 0
	s_cmp_ge_u32 s12, s6
	s_cselect_b32 s6, -1, 0
	s_cmp_eq_u32 s13, s7
	s_cselect_b32 s6, s6, s20
	s_cmp_lg_u32 s6, 0
	s_cselect_b32 s7, s23, s24
	s_cselect_b32 s6, s22, s19
	s_xor_b64 s[12:13], s[14:15], 0
	s_xor_b64 s[6:7], s[6:7], s[12:13]
	s_sub_u32 s6, s6, s12
	s_load_dwordx4 s[12:15], s[0:1], 0x44
	s_cbranch_execnz .LBB51_3
.LBB51_2:
	v_cvt_f32_u32_e32 v1, s5
	s_sub_i32 s6, 0, s5
	v_rcp_iflag_f32_e32 v1, v1
	s_nop 0
	v_mul_f32_e32 v1, 0x4f7ffffe, v1
	v_cvt_u32_f32_e32 v1, v1
	s_nop 0
	v_readfirstlane_b32 s7, v1
	s_mul_i32 s6, s6, s7
	s_mul_hi_u32 s6, s7, s6
	s_add_i32 s7, s7, s6
	s_mul_hi_u32 s6, s18, s7
	s_waitcnt lgkmcnt(0)
	s_mul_i32 s15, s6, s5
	s_sub_i32 s15, s18, s15
	s_add_i32 s7, s6, 1
	s_sub_i32 s16, s15, s5
	s_cmp_ge_u32 s15, s5
	s_cselect_b32 s6, s7, s6
	s_cselect_b32 s15, s16, s15
	s_add_i32 s7, s6, 1
	s_cmp_ge_u32 s15, s5
	s_cselect_b32 s6, s7, s6
.LBB51_3:
	s_add_i32 s7, s2, 1
	s_mul_hi_i32 s21, s11, s7
	s_mov_b32 s20, 0
	s_cmp_lg_u64 s[20:21], 0
	s_mul_i32 s7, s11, s7
	s_cbranch_scc0 .LBB51_21
; %bb.4:
	s_add_u32 s16, s5, 0
	s_addc_u32 s17, 0, 0
	s_xor_b64 s[18:19], s[16:17], 0
	v_cvt_f32_u32_e32 v1, s18
	v_cvt_f32_u32_e32 v2, s19
	s_waitcnt lgkmcnt(0)
	s_sub_u32 s15, 0, s18
	s_subb_u32 s20, 0, s19
	v_fmamk_f32 v1, v2, 0x4f800000, v1
	v_rcp_f32_e32 v1, v1
	s_nop 0
	v_mul_f32_e32 v1, 0x5f7ffffc, v1
	v_mul_f32_e32 v2, 0x2f800000, v1
	v_trunc_f32_e32 v2, v2
	v_fmamk_f32 v1, v2, 0xcf800000, v1
	v_cvt_u32_f32_e32 v2, v2
	v_cvt_u32_f32_e32 v1, v1
	v_readfirstlane_b32 s24, v2
	v_readfirstlane_b32 s22, v1
	s_mul_i32 s23, s15, s24
	s_mul_hi_u32 s26, s15, s22
	s_mul_i32 s25, s20, s22
	s_add_i32 s23, s26, s23
	s_add_i32 s23, s23, s25
	s_mul_i32 s27, s15, s22
	s_mul_i32 s26, s22, s23
	s_mul_hi_u32 s28, s22, s27
	s_mul_hi_u32 s25, s22, s23
	s_add_u32 s26, s28, s26
	s_addc_u32 s25, 0, s25
	s_mul_hi_u32 s29, s24, s27
	s_mul_i32 s27, s24, s27
	s_add_u32 s26, s26, s27
	s_mul_hi_u32 s28, s24, s23
	s_addc_u32 s25, s25, s29
	s_addc_u32 s26, s28, 0
	s_mul_i32 s23, s24, s23
	s_add_u32 s23, s25, s23
	s_addc_u32 s25, 0, s26
	s_add_u32 s26, s22, s23
	s_cselect_b64 s[22:23], -1, 0
	s_cmp_lg_u64 s[22:23], 0
	s_addc_u32 s24, s24, s25
	s_mul_i32 s22, s15, s24
	s_mul_hi_u32 s23, s15, s26
	s_add_i32 s22, s23, s22
	s_mul_i32 s20, s20, s26
	s_add_i32 s22, s22, s20
	s_mul_i32 s15, s15, s26
	s_mul_hi_u32 s23, s24, s15
	s_mul_i32 s25, s24, s15
	s_mul_i32 s28, s26, s22
	s_mul_hi_u32 s15, s26, s15
	s_mul_hi_u32 s27, s26, s22
	s_add_u32 s15, s15, s28
	s_addc_u32 s27, 0, s27
	s_add_u32 s15, s15, s25
	s_mul_hi_u32 s20, s24, s22
	s_addc_u32 s15, s27, s23
	s_addc_u32 s20, s20, 0
	s_mul_i32 s22, s24, s22
	s_add_u32 s15, s15, s22
	s_addc_u32 s20, 0, s20
	s_add_u32 s15, s26, s15
	s_cselect_b64 s[22:23], -1, 0
	s_cmp_lg_u64 s[22:23], 0
	s_addc_u32 s24, s24, s20
	s_ashr_i32 s22, s21, 31
	s_add_u32 s20, s7, s22
	s_mov_b32 s23, s22
	s_addc_u32 s21, s21, s22
	s_xor_b64 s[20:21], s[20:21], s[22:23]
	s_mul_i32 s26, s20, s24
	s_mul_hi_u32 s27, s20, s15
	s_mul_hi_u32 s25, s20, s24
	s_add_u32 s26, s27, s26
	s_addc_u32 s25, 0, s25
	s_mul_hi_u32 s28, s21, s15
	s_mul_i32 s15, s21, s15
	s_add_u32 s15, s26, s15
	s_mul_hi_u32 s27, s21, s24
	s_addc_u32 s15, s25, s28
	s_addc_u32 s25, s27, 0
	s_mul_i32 s24, s21, s24
	s_add_u32 s15, s15, s24
	s_addc_u32 s28, 0, s25
	s_mul_i32 s24, s18, s28
	s_mul_hi_u32 s25, s18, s15
	s_add_i32 s24, s25, s24
	s_mul_i32 s25, s19, s15
	s_add_i32 s29, s24, s25
	s_sub_i32 s26, s21, s29
	s_mul_i32 s24, s18, s15
	s_sub_u32 s20, s20, s24
	s_cselect_b64 s[24:25], -1, 0
	s_cmp_lg_u64 s[24:25], 0
	s_subb_u32 s30, s26, s19
	s_sub_u32 s31, s20, s18
	s_cselect_b64 s[26:27], -1, 0
	s_cmp_lg_u64 s[26:27], 0
	s_subb_u32 s26, s30, 0
	s_cmp_ge_u32 s26, s19
	s_cselect_b32 s27, -1, 0
	s_cmp_ge_u32 s31, s18
	s_cselect_b32 s30, -1, 0
	s_cmp_eq_u32 s26, s19
	s_cselect_b32 s26, s30, s27
	s_add_u32 s27, s15, 1
	s_addc_u32 s30, s28, 0
	s_add_u32 s31, s15, 2
	s_addc_u32 s33, s28, 0
	s_cmp_lg_u32 s26, 0
	s_cselect_b32 s26, s31, s27
	s_cselect_b32 s27, s33, s30
	s_cmp_lg_u64 s[24:25], 0
	s_subb_u32 s21, s21, s29
	s_cmp_ge_u32 s21, s19
	s_cselect_b32 s24, -1, 0
	s_cmp_ge_u32 s20, s18
	s_cselect_b32 s18, -1, 0
	s_cmp_eq_u32 s21, s19
	s_cselect_b32 s18, s18, s24
	s_cmp_lg_u32 s18, 0
	s_cselect_b32 s19, s27, s28
	s_cselect_b32 s18, s26, s15
	s_xor_b64 s[20:21], s[22:23], 0
	s_xor_b64 s[18:19], s[18:19], s[20:21]
	s_sub_u32 s18, s18, s20
	s_cbranch_execnz .LBB51_6
.LBB51_5:
	v_cvt_f32_u32_e32 v1, s5
	s_waitcnt lgkmcnt(0)
	s_sub_i32 s15, 0, s5
	v_rcp_iflag_f32_e32 v1, v1
	s_nop 0
	v_mul_f32_e32 v1, 0x4f7ffffe, v1
	v_cvt_u32_f32_e32 v1, v1
	s_nop 0
	v_readfirstlane_b32 s16, v1
	s_mul_i32 s15, s15, s16
	s_mul_hi_u32 s15, s16, s15
	s_add_i32 s16, s16, s15
	s_mul_hi_u32 s15, s7, s16
	s_mul_i32 s17, s15, s5
	s_sub_i32 s7, s7, s17
	s_add_i32 s16, s15, 1
	s_sub_i32 s17, s7, s5
	s_cmp_ge_u32 s7, s5
	s_cselect_b32 s15, s16, s15
	s_cselect_b32 s7, s17, s7
	s_add_i32 s16, s15, 1
	s_cmp_ge_u32 s7, s5
	s_cselect_b32 s18, s16, s15
.LBB51_6:
	s_cmp_eq_u32 s6, s18
	s_waitcnt lgkmcnt(0)
	s_mul_hi_u32 s7, s6, s12
	s_cselect_b64 s[16:17], -1, 0
	s_add_i32 s7, s7, s6
	s_lshr_b32 s7, s7, s13
	s_mul_i32 s15, s7, s14
	s_cmp_eq_u32 s15, s6
	s_mul_hi_u32 s15, s18, s12
	s_cselect_b64 s[20:21], -1, 0
	s_add_i32 s15, s15, s18
	s_lshr_b32 s15, s15, s13
	s_cmp_eq_u32 s7, s15
	s_mul_i32 s15, s15, s14
	s_cselect_b64 s[22:23], -1, 0
	s_cmp_lg_u32 s15, s18
	s_cselect_b64 s[18:19], -1, 0
	s_and_b64 s[18:19], s[22:23], s[18:19]
	s_or_b64 s[16:17], s[16:17], s[20:21]
	s_or_b64 s[16:17], s[16:17], s[18:19]
	s_and_b64 vcc, exec, s[16:17]
	s_cbranch_vccnz .LBB51_23
; %bb.7:
	s_load_dwordx8 s[16:23], s[0:1], 0x20
	s_load_dword s24, s[0:1], 0x40
	s_waitcnt lgkmcnt(0)
	s_mul_hi_u32 s15, s6, s16
	s_add_i32 s15, s15, s6
	s_lshr_b32 s15, s15, s17
	s_mul_i32 s16, s15, s18
	s_sub_i32 s16, s6, s16
	s_mul_hi_u32 s17, s16, s19
	s_add_i32 s17, s16, s17
	s_lshr_b32 s20, s17, s20
	s_mul_i32 s17, s20, s21
	s_sub_i32 s16, s16, s17
	s_mul_hi_u32 s17, s16, s22
	s_add_i32 s17, s16, s17
	s_lshr_b32 s17, s17, s23
	s_mul_i32 s18, s17, s24
	s_sub_i32 s16, s16, s18
	s_lshl_b32 s22, s17, 1
	s_mul_hi_u32 s17, s16, s12
	s_add_i32 s16, s16, s17
	s_lshr_b32 s21, s16, s13
	s_add_i32 s21, s21, s3
	s_cmp_lt_i32 s21, s8
	s_cselect_b64 s[16:17], -1, 0
	s_add_i32 s22, s22, s4
	s_cmp_lt_i32 s22, s10
	s_cselect_b64 s[18:19], -1, 0
	s_and_b64 s[16:17], s[16:17], s[18:19]
	s_andn2_b64 vcc, exec, s[16:17]
	s_cbranch_vccnz .LBB51_23
; %bb.8:
	s_load_dwordx4 s[16:19], s[0:1], 0x0
	s_mov_b32 s0, 0
	s_lshl_b32 s24, s5, 3
	s_mov_b32 s25, s0
	s_mul_i32 s15, s15, s8
	s_waitcnt lgkmcnt(0)
	v_mov_b32_e32 v2, s16
	v_mov_b32_e32 v3, s17
	s_lshl_b64 s[16:17], s[24:25], 2
	s_add_u32 s16, s18, s16
	s_addc_u32 s17, s19, s17
	s_mul_i32 s20, s20, s10
	s_add_i32 s1, s21, s15
	s_mul_i32 s1, s1, s9
	s_add_i32 s8, s22, s20
	s_add_i32 s8, s8, s1
	v_lshl_or_b32 v4, s8, 7, v0
	v_ashrrev_i32_e32 v5, 31, v4
	v_lshl_add_u64 v[2:3], v[4:5], 2, v[2:3]
	global_load_dword v1, v[2:3], off
	s_add_i32 s1, s3, s2
	v_cvt_f32_u32_e32 v4, s5
	s_lshl_b32 s1, s1, 1
	s_add_i32 s8, s1, s4
	s_ashr_i32 s9, s8, 31
	s_lshl_b64 s[8:9], s[8:9], 3
	v_rcp_iflag_f32_e32 v4, v4
	s_add_u32 s8, s18, s8
	s_addc_u32 s9, s19, s9
	s_load_dwordx2 s[8:9], s[8:9], 0x0
	v_mul_f32_e32 v4, 0x4f7ffffe, v4
	v_cvt_u32_f32_e32 v7, v4
	s_add_i32 s25, s2, -1
	v_lshl_or_b32 v6, s4, 7, v0
	s_waitcnt lgkmcnt(0)
	v_mov_b32_e32 v0, s9
	v_mov_b32_e32 v9, s8
	s_mov_b32 s2, 0x3fb8aa3b
	s_mov_b32 s10, 0xc2ce8ed0
	s_mov_b32 s15, 0x42b17218
	s_mov_b32 s24, 0xc1a00000
	v_mov_b32_e32 v8, 0x7f800000
	s_mul_hi_i32 s1, s25, s11
	s_cmp_lg_u64 s[0:1], 0
	s_mul_i32 s22, s25, s11
	s_cbranch_scc0 .LBB51_19
.LBB51_9:
	s_add_u32 s8, s5, 0
	s_addc_u32 s9, 0, 0
	s_xor_b64 s[8:9], s[8:9], 0
	v_cvt_f32_u32_e32 v4, s8
	v_cvt_f32_u32_e32 v5, s9
	s_sub_u32 s23, 0, s8
	s_subb_u32 s26, 0, s9
	v_fmac_f32_e32 v4, 0x4f800000, v5
	v_rcp_f32_e32 v4, v4
	s_nop 0
	v_mul_f32_e32 v4, 0x5f7ffffc, v4
	v_mul_f32_e32 v5, 0x2f800000, v4
	v_trunc_f32_e32 v5, v5
	v_fmac_f32_e32 v4, 0xcf800000, v5
	v_cvt_u32_f32_e32 v5, v5
	v_cvt_u32_f32_e32 v4, v4
	v_readfirstlane_b32 s27, v5
	v_readfirstlane_b32 s20, v4
	s_mul_i32 s21, s23, s27
	s_mul_hi_u32 s29, s23, s20
	s_mul_i32 s28, s26, s20
	s_add_i32 s21, s29, s21
	s_mul_i32 s30, s23, s20
	s_add_i32 s21, s21, s28
	s_mul_i32 s29, s20, s21
	s_mul_hi_u32 s31, s20, s30
	s_mul_hi_u32 s28, s20, s21
	s_add_u32 s29, s31, s29
	s_addc_u32 s28, 0, s28
	s_mul_hi_u32 s33, s27, s30
	s_mul_i32 s30, s27, s30
	s_add_u32 s29, s29, s30
	s_mul_hi_u32 s31, s27, s21
	s_addc_u32 s28, s28, s33
	s_addc_u32 s29, s31, 0
	s_mul_i32 s21, s27, s21
	s_add_u32 s21, s28, s21
	s_addc_u32 s28, 0, s29
	s_add_u32 s29, s20, s21
	s_cselect_b64 s[20:21], -1, 0
	s_cmp_lg_u64 s[20:21], 0
	s_addc_u32 s27, s27, s28
	s_mul_i32 s20, s23, s27
	s_mul_hi_u32 s21, s23, s29
	s_add_i32 s20, s21, s20
	s_mul_i32 s26, s26, s29
	s_add_i32 s20, s20, s26
	s_mul_i32 s23, s23, s29
	s_mul_hi_u32 s26, s27, s23
	s_mul_i32 s28, s27, s23
	s_mul_i32 s31, s29, s20
	s_mul_hi_u32 s23, s29, s23
	s_mul_hi_u32 s30, s29, s20
	s_add_u32 s23, s23, s31
	s_addc_u32 s30, 0, s30
	s_add_u32 s23, s23, s28
	s_mul_hi_u32 s21, s27, s20
	s_addc_u32 s23, s30, s26
	s_addc_u32 s21, s21, 0
	s_mul_i32 s20, s27, s20
	s_add_u32 s20, s23, s20
	s_addc_u32 s23, 0, s21
	s_add_u32 s28, s29, s20
	s_cselect_b64 s[20:21], -1, 0
	s_cmp_lg_u64 s[20:21], 0
	s_addc_u32 s23, s27, s23
	s_ashr_i32 s20, s1, 31
	s_add_u32 s26, s22, s20
	s_mov_b32 s21, s20
	s_addc_u32 s27, s1, s20
	s_xor_b64 s[26:27], s[26:27], s[20:21]
	s_mul_i32 s29, s26, s23
	s_mul_hi_u32 s30, s26, s28
	s_mul_hi_u32 s1, s26, s23
	s_add_u32 s29, s30, s29
	s_addc_u32 s1, 0, s1
	s_mul_hi_u32 s31, s27, s28
	s_mul_i32 s28, s27, s28
	s_add_u32 s28, s29, s28
	s_mul_hi_u32 s30, s27, s23
	s_addc_u32 s1, s1, s31
	s_addc_u32 s28, s30, 0
	s_mul_i32 s23, s27, s23
	s_add_u32 s1, s1, s23
	s_addc_u32 s23, 0, s28
	s_mul_i32 s28, s8, s23
	s_mul_hi_u32 s29, s8, s1
	s_add_i32 s28, s29, s28
	s_mul_i32 s29, s9, s1
	s_add_i32 s33, s28, s29
	s_sub_i32 s30, s27, s33
	s_mul_i32 s28, s8, s1
	s_sub_u32 s26, s26, s28
	s_cselect_b64 s[28:29], -1, 0
	s_cmp_lg_u64 s[28:29], 0
	s_subb_u32 s34, s30, s9
	s_sub_u32 s35, s26, s8
	s_cselect_b64 s[30:31], -1, 0
	s_cmp_lg_u64 s[30:31], 0
	s_subb_u32 s30, s34, 0
	s_cmp_ge_u32 s30, s9
	s_cselect_b32 s31, -1, 0
	s_cmp_ge_u32 s35, s8
	s_cselect_b32 s34, -1, 0
	s_cmp_eq_u32 s30, s9
	s_cselect_b32 s30, s34, s31
	s_add_u32 s31, s1, 1
	s_addc_u32 s34, s23, 0
	s_add_u32 s35, s1, 2
	s_addc_u32 s36, s23, 0
	s_cmp_lg_u32 s30, 0
	s_cselect_b32 s30, s35, s31
	s_cselect_b32 s31, s36, s34
	s_cmp_lg_u64 s[28:29], 0
	s_subb_u32 s27, s27, s33
	s_cmp_ge_u32 s27, s9
	s_cselect_b32 s28, -1, 0
	s_cmp_ge_u32 s26, s8
	s_cselect_b32 s8, -1, 0
	s_cmp_eq_u32 s27, s9
	s_cselect_b32 s8, s8, s28
	s_cmp_lg_u32 s8, 0
	s_cselect_b32 s9, s31, s23
	s_cselect_b32 s8, s30, s1
	s_xor_b64 s[20:21], s[20:21], 0
	s_xor_b64 s[8:9], s[8:9], s[20:21]
	s_sub_u32 s20, s8, s20
	s_cbranch_execnz .LBB51_11
.LBB51_10:
	s_sub_i32 s1, 0, s5
	v_readfirstlane_b32 s8, v7
	s_mul_i32 s1, s1, s8
	s_mul_hi_u32 s1, s8, s1
	s_add_i32 s8, s8, s1
	s_mul_hi_u32 s1, s22, s8
	s_mul_i32 s9, s1, s5
	s_sub_i32 s9, s22, s9
	s_add_i32 s8, s1, 1
	s_sub_i32 s20, s9, s5
	s_cmp_ge_u32 s9, s5
	s_cselect_b32 s1, s8, s1
	s_cselect_b32 s9, s20, s9
	s_add_i32 s8, s1, 1
	s_cmp_ge_u32 s9, s5
	s_cselect_b32 s20, s8, s1
.LBB51_11:
	s_cmp_lg_u32 s6, s20
	s_cbranch_scc0 .LBB51_15
; %bb.12:
	s_add_i32 s21, s25, s3
	s_add_i32 s1, s21, s5
	s_lshl_b32 s1, s1, 1
	s_add_i32 s8, s1, s4
	s_mov_b32 s9, s0
	s_lshl_b64 s[8:9], s[8:9], 3
	s_add_u32 s22, s18, s8
	s_mul_hi_u32 s1, s20, s12
	s_addc_u32 s23, s19, s9
	s_add_i32 s1, s1, s20
	s_lshr_b32 s1, s1, s13
	s_mul_i32 s8, s1, s14
	s_cmp_eq_u32 s8, s20
	s_cselect_b64 s[8:9], -1, 0
	s_cmp_lt_u32 s1, s7
	s_cselect_b64 s[26:27], -1, 0
	s_or_b64 s[26:27], s[26:27], s[8:9]
	s_mov_b64 s[8:9], -1
	s_and_b64 vcc, exec, s[26:27]
	s_mov_b32 s1, s25
	s_mov_b32 s26, s6
	s_cbranch_vccnz .LBB51_14
; %bb.13:
	s_add_i32 s1, s25, -1
	s_mov_b64 s[8:9], 0
	s_mov_b32 s26, s20
.LBB51_14:
	v_lshl_add_u32 v4, s21, 8, v6
	v_ashrrev_i32_e32 v5, 31, v4
	v_lshl_add_u64 v[4:5], v[4:5], 2, s[16:17]
	global_load_dword v5, v[4:5], off
	s_load_dwordx2 s[20:21], s[22:23], 0x0
	v_max_f32_e32 v4, v9, v9
	s_waitcnt lgkmcnt(0)
	v_max_f32_e64 v10, s20, s20
	v_max_f32_e32 v10, v4, v10
	v_sub_f32_e32 v11, v9, v10
	v_sub_f32_e32 v13, s20, v10
	v_mul_f32_e32 v4, 0x3fb8aa3b, v11
	v_mul_f32_e32 v12, 0x3fb8aa3b, v13
	v_fma_f32 v14, v11, s2, -v4
	v_rndne_f32_e32 v15, v4
	v_fma_f32 v16, v13, s2, -v12
	v_rndne_f32_e32 v17, v12
	v_fmac_f32_e32 v14, 0x32a5705f, v11
	v_sub_f32_e32 v4, v4, v15
	v_fmac_f32_e32 v16, 0x32a5705f, v13
	v_sub_f32_e32 v12, v12, v17
	v_add_f32_e32 v4, v4, v14
	v_cvt_i32_f32_e32 v15, v15
	v_add_f32_e32 v12, v12, v16
	v_exp_f32_e32 v14, v4
	v_cvt_i32_f32_e32 v17, v17
	v_exp_f32_e32 v12, v12
	v_cmp_ngt_f32_e32 vcc, s10, v11
	v_ldexp_f32 v14, v14, v15
	v_mov_b32_e32 v4, s21
	v_ldexp_f32 v12, v12, v17
	v_cndmask_b32_e32 v14, 0, v14, vcc
	v_cmp_ngt_f32_e32 vcc, s10, v13
	s_nop 1
	v_cndmask_b32_e32 v12, 0, v12, vcc
	v_cmp_nlt_f32_e32 vcc, s15, v11
	s_nop 1
	v_cndmask_b32_e32 v14, v8, v14, vcc
	v_cmp_nlt_f32_e32 vcc, s15, v13
	s_nop 1
	v_cndmask_b32_e32 v15, v8, v12, vcc
	v_cmp_le_f32_e32 vcc, s24, v11
	s_nop 1
	v_cndmask_b32_e32 v12, 0, v14, vcc
	v_cmp_le_f32_e32 vcc, s24, v13
	s_nop 1
	v_cndmask_b32_e32 v14, 0, v15, vcc
	s_waitcnt vmcnt(0)
	v_pk_mul_f32 v[4:5], v[4:5], v[14:15] op_sel_hi:[1,0]
	s_nop 0
	v_pk_fma_f32 v[4:5], v[0:1], v[12:13], v[4:5] op_sel_hi:[1,0,1]
	s_cbranch_execz .LBB51_16
	s_branch .LBB51_17
.LBB51_15:
                                        ; implicit-def: $vgpr4_vgpr5
                                        ; implicit-def: $sgpr8_sgpr9
                                        ; implicit-def: $vgpr10
                                        ; implicit-def: $sgpr1
                                        ; implicit-def: $sgpr26
.LBB51_16:
	s_add_i32 s1, s25, -1
	s_mov_b64 s[8:9], 0
	s_mov_b32 s26, s6
	v_mov_b32_e32 v10, v9
	s_waitcnt vmcnt(0)
	v_mov_b64_e32 v[4:5], v[0:1]
.LBB51_17:
	s_andn2_b64 vcc, exec, s[8:9]
	s_cbranch_vccz .LBB51_22
; %bb.18:
	s_mov_b32 s6, s26
	s_mov_b32 s25, s1
	v_mov_b32_e32 v9, v10
	s_waitcnt vmcnt(0)
	v_mov_b64_e32 v[0:1], v[4:5]
	s_mul_hi_i32 s1, s25, s11
	s_cmp_lg_u64 s[0:1], 0
	s_mul_i32 s22, s25, s11
	s_cbranch_scc1 .LBB51_9
.LBB51_19:
                                        ; implicit-def: $sgpr20_sgpr21
	s_branch .LBB51_10
.LBB51_20:
                                        ; implicit-def: $sgpr6_sgpr7
	s_load_dwordx4 s[12:15], s[0:1], 0x44
	s_branch .LBB51_2
.LBB51_21:
                                        ; implicit-def: $sgpr18_sgpr19
	s_branch .LBB51_5
.LBB51_22:
	v_div_scale_f32 v0, s[0:1], v4, v4, v5
	s_waitcnt vmcnt(0)
	v_rcp_f32_e32 v1, v0
	v_div_scale_f32 v6, vcc, v5, v4, v5
	v_fma_f32 v7, -v0, v1, 1.0
	v_fmac_f32_e32 v1, v7, v1
	v_mul_f32_e32 v7, v6, v1
	v_fma_f32 v8, -v0, v7, v6
	v_fmac_f32_e32 v7, v8, v1
	v_fma_f32 v0, -v0, v7, v6
	v_div_fmas_f32 v0, v0, v1, v7
	v_div_fixup_f32 v0, v0, v4, v5
	global_store_dword v[2:3], v0, off
.LBB51_23:
	s_endpgm
	.section	.rodata,"a",@progbits
	.p2align	6, 0x0
	.amdhsa_kernel _ZL33flash_attn_stream_k_fixup_generalILi128ELi1ELi2EEvPfPK15HIP_vector_typeIfLj2EEiiiiS1_IjLj3EES5_S5_S5_
		.amdhsa_group_segment_fixed_size 0
		.amdhsa_private_segment_fixed_size 0
		.amdhsa_kernarg_size 336
		.amdhsa_user_sgpr_count 2
		.amdhsa_user_sgpr_dispatch_ptr 0
		.amdhsa_user_sgpr_queue_ptr 0
		.amdhsa_user_sgpr_kernarg_segment_ptr 1
		.amdhsa_user_sgpr_dispatch_id 0
		.amdhsa_user_sgpr_kernarg_preload_length 0
		.amdhsa_user_sgpr_kernarg_preload_offset 0
		.amdhsa_user_sgpr_private_segment_size 0
		.amdhsa_uses_dynamic_stack 0
		.amdhsa_enable_private_segment 0
		.amdhsa_system_sgpr_workgroup_id_x 1
		.amdhsa_system_sgpr_workgroup_id_y 1
		.amdhsa_system_sgpr_workgroup_id_z 1
		.amdhsa_system_sgpr_workgroup_info 0
		.amdhsa_system_vgpr_workitem_id 0
		.amdhsa_next_free_vgpr 18
		.amdhsa_next_free_sgpr 37
		.amdhsa_accum_offset 20
		.amdhsa_reserve_vcc 1
		.amdhsa_float_round_mode_32 0
		.amdhsa_float_round_mode_16_64 0
		.amdhsa_float_denorm_mode_32 3
		.amdhsa_float_denorm_mode_16_64 3
		.amdhsa_dx10_clamp 1
		.amdhsa_ieee_mode 1
		.amdhsa_fp16_overflow 0
		.amdhsa_tg_split 0
		.amdhsa_exception_fp_ieee_invalid_op 0
		.amdhsa_exception_fp_denorm_src 0
		.amdhsa_exception_fp_ieee_div_zero 0
		.amdhsa_exception_fp_ieee_overflow 0
		.amdhsa_exception_fp_ieee_underflow 0
		.amdhsa_exception_fp_ieee_inexact 0
		.amdhsa_exception_int_div_zero 0
	.end_amdhsa_kernel
	.section	.text._ZL33flash_attn_stream_k_fixup_generalILi128ELi1ELi2EEvPfPK15HIP_vector_typeIfLj2EEiiiiS1_IjLj3EES5_S5_S5_,"axG",@progbits,_ZL33flash_attn_stream_k_fixup_generalILi128ELi1ELi2EEvPfPK15HIP_vector_typeIfLj2EEiiiiS1_IjLj3EES5_S5_S5_,comdat
.Lfunc_end51:
	.size	_ZL33flash_attn_stream_k_fixup_generalILi128ELi1ELi2EEvPfPK15HIP_vector_typeIfLj2EEiiiiS1_IjLj3EES5_S5_S5_, .Lfunc_end51-_ZL33flash_attn_stream_k_fixup_generalILi128ELi1ELi2EEvPfPK15HIP_vector_typeIfLj2EEiiiiS1_IjLj3EES5_S5_S5_
                                        ; -- End function
	.set _ZL33flash_attn_stream_k_fixup_generalILi128ELi1ELi2EEvPfPK15HIP_vector_typeIfLj2EEiiiiS1_IjLj3EES5_S5_S5_.num_vgpr, 18
	.set _ZL33flash_attn_stream_k_fixup_generalILi128ELi1ELi2EEvPfPK15HIP_vector_typeIfLj2EEiiiiS1_IjLj3EES5_S5_S5_.num_agpr, 0
	.set _ZL33flash_attn_stream_k_fixup_generalILi128ELi1ELi2EEvPfPK15HIP_vector_typeIfLj2EEiiiiS1_IjLj3EES5_S5_S5_.numbered_sgpr, 37
	.set _ZL33flash_attn_stream_k_fixup_generalILi128ELi1ELi2EEvPfPK15HIP_vector_typeIfLj2EEiiiiS1_IjLj3EES5_S5_S5_.num_named_barrier, 0
	.set _ZL33flash_attn_stream_k_fixup_generalILi128ELi1ELi2EEvPfPK15HIP_vector_typeIfLj2EEiiiiS1_IjLj3EES5_S5_S5_.private_seg_size, 0
	.set _ZL33flash_attn_stream_k_fixup_generalILi128ELi1ELi2EEvPfPK15HIP_vector_typeIfLj2EEiiiiS1_IjLj3EES5_S5_S5_.uses_vcc, 1
	.set _ZL33flash_attn_stream_k_fixup_generalILi128ELi1ELi2EEvPfPK15HIP_vector_typeIfLj2EEiiiiS1_IjLj3EES5_S5_S5_.uses_flat_scratch, 0
	.set _ZL33flash_attn_stream_k_fixup_generalILi128ELi1ELi2EEvPfPK15HIP_vector_typeIfLj2EEiiiiS1_IjLj3EES5_S5_S5_.has_dyn_sized_stack, 0
	.set _ZL33flash_attn_stream_k_fixup_generalILi128ELi1ELi2EEvPfPK15HIP_vector_typeIfLj2EEiiiiS1_IjLj3EES5_S5_S5_.has_recursion, 0
	.set _ZL33flash_attn_stream_k_fixup_generalILi128ELi1ELi2EEvPfPK15HIP_vector_typeIfLj2EEiiiiS1_IjLj3EES5_S5_S5_.has_indirect_call, 0
	.section	.AMDGPU.csdata,"",@progbits
; Kernel info:
; codeLenInByte = 2924
; TotalNumSgprs: 43
; NumVgprs: 18
; NumAgprs: 0
; TotalNumVgprs: 18
; ScratchSize: 0
; MemoryBound: 0
; FloatMode: 240
; IeeeMode: 1
; LDSByteSize: 0 bytes/workgroup (compile time only)
; SGPRBlocks: 5
; VGPRBlocks: 2
; NumSGPRsForWavesPerEU: 43
; NumVGPRsForWavesPerEU: 18
; AccumOffset: 20
; Occupancy: 8
; WaveLimiterHint : 0
; COMPUTE_PGM_RSRC2:SCRATCH_EN: 0
; COMPUTE_PGM_RSRC2:USER_SGPR: 2
; COMPUTE_PGM_RSRC2:TRAP_HANDLER: 0
; COMPUTE_PGM_RSRC2:TGID_X_EN: 1
; COMPUTE_PGM_RSRC2:TGID_Y_EN: 1
; COMPUTE_PGM_RSRC2:TGID_Z_EN: 1
; COMPUTE_PGM_RSRC2:TIDIG_COMP_CNT: 0
; COMPUTE_PGM_RSRC3_GFX90A:ACCUM_OFFSET: 4
; COMPUTE_PGM_RSRC3_GFX90A:TG_SPLIT: 0
	.section	.text._ZL15flash_attn_tileILi128ELi128ELi64ELi1ELb0EEvPKcS1_S1_S1_S1_PKiPfP15HIP_vector_typeIfLj2EEffffjfiS5_IjLj3EEiiiiiiiiiiiliiliiiiil,"axG",@progbits,_ZL15flash_attn_tileILi128ELi128ELi64ELi1ELb0EEvPKcS1_S1_S1_S1_PKiPfP15HIP_vector_typeIfLj2EEffffjfiS5_IjLj3EEiiiiiiiiiiiliiliiiiil,comdat
	.globl	_ZL15flash_attn_tileILi128ELi128ELi64ELi1ELb0EEvPKcS1_S1_S1_S1_PKiPfP15HIP_vector_typeIfLj2EEffffjfiS5_IjLj3EEiiiiiiiiiiiliiliiiiil ; -- Begin function _ZL15flash_attn_tileILi128ELi128ELi64ELi1ELb0EEvPKcS1_S1_S1_S1_PKiPfP15HIP_vector_typeIfLj2EEffffjfiS5_IjLj3EEiiiiiiiiiiiliiliiiiil
	.p2align	8
	.type	_ZL15flash_attn_tileILi128ELi128ELi64ELi1ELb0EEvPKcS1_S1_S1_S1_PKiPfP15HIP_vector_typeIfLj2EEffffjfiS5_IjLj3EEiiiiiiiiiiiliiliiiiil,@function
_ZL15flash_attn_tileILi128ELi128ELi64ELi1ELb0EEvPKcS1_S1_S1_S1_PKiPfP15HIP_vector_typeIfLj2EEffffjfiS5_IjLj3EEiiiiiiiiiiiliiliiiiil: ; @_ZL15flash_attn_tileILi128ELi128ELi64ELi1ELb0EEvPKcS1_S1_S1_S1_PKiPfP15HIP_vector_typeIfLj2EEffffjfiS5_IjLj3EEiiiiiiiiiiiliiliiiiil
; %bb.0:
	s_load_dwordx4 s[24:27], s[0:1], 0x5c
	s_load_dwordx2 s[36:37], s[0:1], 0x80
	s_load_dwordx2 s[38:39], s[0:1], 0xb8
	s_waitcnt lgkmcnt(0)
	v_cvt_f32_u32_e32 v1, s27
	s_sub_i32 s5, 0, s27
	v_rcp_iflag_f32_e32 v1, v1
	s_nop 0
	v_mul_f32_e32 v1, 0x4f7ffffe, v1
	v_cvt_u32_f32_e32 v1, v1
	s_nop 0
	v_readfirstlane_b32 s6, v1
	s_mul_i32 s5, s5, s6
	s_mul_hi_u32 s5, s6, s5
	s_add_i32 s6, s6, s5
	s_mul_hi_u32 s5, s4, s6
	s_mul_i32 s6, s5, s27
	s_sub_i32 s6, s4, s6
	s_add_i32 s7, s5, 1
	s_sub_i32 s8, s6, s27
	s_cmp_ge_u32 s6, s27
	s_cselect_b32 s5, s7, s5
	s_cselect_b32 s6, s8, s6
	s_add_i32 s7, s5, 1
	s_cmp_ge_u32 s6, s27
	s_cselect_b32 s33, s7, s5
	s_abs_i32 s5, s37
	v_cvt_f32_u32_e32 v1, s5
	s_mul_i32 s8, s33, s27
	s_sub_i32 s9, 0, s5
	s_sub_i32 s34, s4, s8
	v_rcp_iflag_f32_e32 v1, v1
	s_abs_i32 s7, s27
	s_xor_b32 s6, s27, s37
	s_ashr_i32 s6, s6, 31
	v_mul_f32_e32 v1, 0x4f7ffffe, v1
	v_cvt_u32_f32_e32 v1, v1
	s_nop 0
	v_readfirstlane_b32 s4, v1
	s_mul_i32 s9, s9, s4
	s_mul_hi_u32 s8, s4, s9
	s_add_i32 s4, s4, s8
	s_mul_hi_u32 s4, s7, s4
	s_mul_i32 s8, s4, s5
	s_sub_i32 s7, s7, s8
	s_add_i32 s9, s4, 1
	s_sub_i32 s8, s7, s5
	s_cmp_ge_u32 s7, s5
	s_cselect_b32 s4, s9, s4
	s_cselect_b32 s7, s8, s7
	s_add_i32 s8, s4, 1
	s_cmp_ge_u32 s7, s5
	s_cselect_b32 s4, s8, s4
	s_xor_b32 s4, s4, s6
	s_sub_i32 s41, s4, s6
	s_abs_i32 s37, s41
	v_cvt_f32_u32_e32 v1, s37
	s_load_dwordx16 s[8:23], s[0:1], 0x0
	s_sub_i32 s4, 0, s37
	s_abs_i32 s40, s34
	v_rcp_iflag_f32_e32 v1, v1
	s_nop 0
	v_mul_f32_e32 v1, 0x4f7ffffe, v1
	v_cvt_u32_f32_e32 v1, v1
	s_nop 0
	v_readfirstlane_b32 s5, v1
	s_mul_i32 s4, s4, s5
	s_mul_hi_u32 s4, s5, s4
	s_add_i32 s4, s5, s4
	s_waitcnt lgkmcnt(0)
	s_cmp_eq_u64 s[14:15], 0
	s_cbranch_scc1 .LBB52_2
; %bb.1:
	s_abs_i32 s5, s38
	v_cvt_f32_u32_e32 v1, s5
	s_sub_i32 s30, 0, s5
	s_abs_i32 s29, s33
	s_load_dwordx2 s[6:7], s[0:1], 0xc8
	v_rcp_iflag_f32_e32 v1, v1
	s_ashr_i32 s28, s33, 31
	v_mul_f32_e32 v1, 0x4f7ffffe, v1
	v_cvt_u32_f32_e32 v1, v1
	v_mul_lo_u32 v2, s30, v1
	v_mul_hi_u32 v2, v1, v2
	v_add_u32_e32 v1, v1, v2
	v_mul_hi_u32 v1, s29, v1
	v_mul_lo_u32 v1, v1, s5
	v_sub_u32_e32 v1, s29, v1
	v_subrev_u32_e32 v2, s5, v1
	v_cmp_le_u32_e32 vcc, s5, v1
	s_nop 1
	v_cndmask_b32_e32 v1, v1, v2, vcc
	v_subrev_u32_e32 v2, s5, v1
	v_cmp_le_u32_e32 vcc, s5, v1
	s_nop 1
	v_cndmask_b32_e32 v1, v1, v2, vcc
	v_xor_b32_e32 v1, s28, v1
	v_subrev_u32_e32 v1, s28, v1
	v_ashrrev_i32_e32 v2, 31, v1
	s_waitcnt lgkmcnt(0)
	v_mul_hi_u32 v3, s6, v1
	v_mul_lo_u32 v2, s6, v2
	v_mul_lo_u32 v4, s7, v1
	v_add_u32_e32 v2, v3, v2
	v_add_u32_e32 v3, v2, v4
	v_mul_lo_u32 v2, s6, v1
	v_lshl_add_u64 v[42:43], s[14:15], 0, v[2:3]
	s_branch .LBB52_3
.LBB52_2:
	v_mov_b64_e32 v[42:43], 0
.LBB52_3:
	s_load_dwordx4 s[28:31], s[0:1], 0x40
	s_mul_hi_u32 s15, s40, s4
	s_load_dword s4, s[0:1], 0x50
	v_mov_b32_e32 v69, 1.0
	s_waitcnt lgkmcnt(0)
	v_cmp_le_f32_e64 s[6:7], s29, 0
	s_and_b64 vcc, exec, s[6:7]
	s_cbranch_vccnz .LBB52_5
; %bb.4:
	v_mov_b32_e32 v1, s4
	v_sub_co_u32_e32 v1, vcc, s34, v1
	v_mov_b32_e32 v2, s31
	v_mov_b32_e32 v3, s30
	s_add_i32 s4, s34, 1
	v_lshlrev_b32_e32 v1, 1, v1
	v_cndmask_b32_e32 v2, v2, v3, vcc
	v_or_b32_e32 v1, 1, v1
	v_mov_b32_e32 v3, s4
	v_cndmask_b32_e32 v1, v1, v3, vcc
	v_cvt_f32_i32_e32 v1, v1
	v_cmp_neq_f32_e32 vcc, 1.0, v2
	s_mov_b32 s4, 0x3f2aaaab
	s_movk_i32 s6, 0x204
	v_cndmask_b32_e32 v1, 1.0, v1, vcc
	v_cmp_neq_f32_e32 vcc, 0, v1
	s_mov_b32 s5, 0x42b17218
	s_mov_b32 s7, 0x3fb8aa3b
	v_cndmask_b32_e32 v18, 1.0, v2, vcc
	v_frexp_mant_f32_e64 v2, |v18|
	v_cmp_gt_f32_e32 vcc, s4, v2
	s_mov_b32 s4, 0x3f317218
	s_brev_b32 s14, -2
	v_cndmask_b32_e64 v3, 1.0, 2.0, vcc
	v_mul_f32_e32 v2, v2, v3
	v_add_f32_e32 v5, 1.0, v2
	v_rcp_f32_e32 v10, v5
	v_add_f32_e32 v3, -1.0, v5
	v_sub_f32_e32 v7, v2, v3
	v_add_f32_e32 v3, -1.0, v2
	v_mul_f32_e32 v11, v3, v10
	v_mul_f32_e32 v4, v5, v11
	v_fma_f32 v6, v11, v5, -v4
	v_fmac_f32_e32 v6, v11, v7
	v_add_f32_e32 v2, v4, v6
	v_sub_f32_e32 v5, v3, v2
	v_pk_add_f32 v[8:9], v[2:3], v[4:5] neg_lo:[0,1] neg_hi:[0,1]
	v_mov_b32_e32 v7, v2
	v_pk_add_f32 v[2:3], v[8:9], v[6:7] neg_lo:[0,1] neg_hi:[0,1]
	v_mov_b32_e32 v6, 0x3e91f4c4
	v_add_f32_e32 v2, v2, v3
	v_add_f32_e32 v2, v5, v2
	v_mul_f32_e32 v3, v10, v2
	v_add_f32_e32 v2, v11, v3
	v_sub_f32_e32 v4, v2, v11
	v_sub_f32_e32 v12, v3, v4
	v_mul_f32_e32 v3, v2, v2
	v_fma_f32 v5, v2, v2, -v3
	v_add_f32_e32 v4, v12, v12
	v_fmac_f32_e32 v5, v2, v4
	v_add_f32_e32 v4, v3, v5
	v_fmac_f32_e32 v6, 0x3e76c4e1, v4
	v_fmaak_f32 v6, v4, v6, 0x3ecccdef
	v_sub_f32_e32 v3, v4, v3
	v_sub_f32_e32 v13, v5, v3
	v_mul_f32_e32 v3, v4, v6
	v_fma_f32 v5, v4, v6, -v3
	v_fmac_f32_e32 v5, v13, v6
	v_add_f32_e32 v6, v3, v5
	v_add_f32_e32 v7, 0x3f2aaaaa, v6
	v_sub_f32_e32 v3, v6, v3
	v_sub_f32_e32 v3, v5, v3
	v_add_f32_e32 v5, 0xbf2aaaaa, v7
	v_add_f32_e32 v3, 0x31739010, v3
	v_sub_f32_e32 v5, v6, v5
	v_pk_mul_f32 v[8:9], v[2:3], v[4:5]
	v_pk_add_f32 v[10:11], v[2:3], v[4:5]
	v_fma_f32 v6, v4, v2, -v8
	v_fmac_f32_e32 v6, v4, v12
	v_mov_b32_e32 v9, v11
	v_fmac_f32_e32 v6, v13, v2
	v_pk_add_f32 v[4:5], v[8:9], v[6:7]
	v_ldexp_f32 v14, v12, 1
	v_sub_f32_e32 v3, v4, v8
	v_sub_f32_e32 v3, v6, v3
	;; [unrolled: 1-line block ×3, first 2 shown]
	v_add_f32_e32 v9, v11, v6
	v_pk_mul_f32 v[6:7], v[4:5], v[4:5] op_sel:[0,1] op_sel_hi:[1,0]
	v_cvt_f64_f32_e64 v[10:11], |v18|
	v_frexp_exp_i32_f64_e32 v7, v[10:11]
	v_subbrev_co_u32_e32 v7, vcc, 0, v7, vcc
	v_cvt_f32_i32_e32 v7, v7
	v_fma_f32 v8, v4, v5, -v6
	v_fmac_f32_e32 v8, v4, v9
	v_fmac_f32_e32 v8, v3, v5
	v_mul_f32_e32 v4, 0x3f317218, v7
	v_fma_f32 v3, v7, s4, -v4
	v_fmamk_f32 v10, v7, 0xb102e308, v3
	v_ldexp_f32 v11, v2, 1
	v_add_f32_e32 v5, v6, v8
	v_pk_add_f32 v[2:3], v[4:5], v[10:11]
	v_mov_b32_e32 v12, v5
	v_mov_b32_e32 v13, v3
	;; [unrolled: 1-line block ×3, first 2 shown]
	v_pk_add_f32 v[6:7], v[12:13], v[6:7] neg_lo:[0,1] neg_hi:[0,1]
	v_mov_b32_e32 v9, v5
	v_pk_add_f32 v[6:7], v[8:9], v[6:7] neg_lo:[0,1] neg_hi:[0,1]
	v_mov_b32_e32 v11, v2
	v_add_f32_e32 v5, v14, v6
	v_add_f32_e32 v5, v5, v7
	v_pk_add_f32 v[6:7], v[2:3], v[4:5] neg_lo:[0,1] neg_hi:[0,1]
	v_pk_add_f32 v[8:9], v[2:3], v[4:5]
	v_mov_b32_e32 v16, v3
	v_mov_b32_e32 v7, v9
	v_pk_add_f32 v[12:13], v[10:11], v[6:7] neg_lo:[0,1] neg_hi:[0,1]
	v_pk_add_f32 v[6:7], v[10:11], v[6:7]
	v_mov_b32_e32 v4, v5
	v_pk_add_f32 v[10:11], v[6:7], v[2:3] op_sel:[1,0] op_sel_hi:[0,1] neg_lo:[0,1] neg_hi:[0,1]
	v_pk_add_f32 v[14:15], v[8:9], v[10:11] op_sel_hi:[1,0] neg_lo:[0,1] neg_hi:[0,1]
	v_mov_b32_e32 v8, v9
	v_mov_b32_e32 v9, v7
	;; [unrolled: 1-line block ×3, first 2 shown]
	v_pk_add_f32 v[8:9], v[8:9], v[16:17] neg_lo:[0,1] neg_hi:[0,1]
	v_mov_b32_e32 v5, v2
	v_pk_add_f32 v[2:3], v[4:5], v[8:9] neg_lo:[0,1] neg_hi:[0,1]
	v_mov_b32_e32 v14, v12
	v_pk_add_f32 v[4:5], v[14:15], v[2:3]
	v_mov_b32_e32 v13, v7
	v_pk_add_f32 v[8:9], v[4:5], v[4:5] op_sel:[0,1] op_sel_hi:[1,0]
	s_mov_b32 s4, 0x7f800000
	v_pk_add_f32 v[6:7], v[6:7], v[8:9] op_sel:[1,0] op_sel_hi:[0,1]
	v_mov_b32_e32 v5, v6
	v_pk_add_f32 v[10:11], v[4:5], v[12:13] neg_lo:[0,1] neg_hi:[0,1]
	v_mov_b32_e32 v3, v8
	v_sub_f32_e32 v4, v4, v10
	v_pk_add_f32 v[2:3], v[2:3], v[10:11] neg_lo:[0,1] neg_hi:[0,1]
	v_sub_f32_e32 v4, v12, v4
	v_add_f32_e32 v2, v2, v4
	v_add_f32_e32 v2, v2, v3
	v_add_f32_e32 v3, v6, v2
	v_sub_f32_e32 v4, v3, v6
	v_sub_f32_e32 v2, v2, v4
	v_mul_f32_e32 v4, v1, v3
	v_fma_f32 v3, v1, v3, -v4
	v_fmac_f32_e32 v3, v1, v2
	v_add_f32_e32 v2, v4, v3
	v_cmp_class_f32_e64 vcc, v4, s6
	v_sub_f32_e32 v5, v2, v4
	v_sub_f32_e32 v3, v3, v5
	v_cndmask_b32_e32 v2, v2, v4, vcc
	v_mov_b32_e32 v4, 0x37000000
	v_cmp_eq_f32_e32 vcc, s5, v2
	v_cmp_class_f32_e64 s[30:31], v18, s6
	s_nop 0
	v_cndmask_b32_e32 v4, 0, v4, vcc
	v_sub_f32_e32 v5, v2, v4
	v_mul_f32_e32 v6, 0x3fb8aa3b, v5
	v_fma_f32 v7, v5, s7, -v6
	v_rndne_f32_e32 v8, v6
	v_fmamk_f32 v7, v5, 0x32a5705f, v7
	v_sub_f32_e32 v6, v6, v8
	v_add_f32_e32 v6, v6, v7
	v_exp_f32_e32 v6, v6
	v_cvt_i32_f32_e32 v7, v8
	v_cmp_neq_f32_e64 vcc, |v2|, s4
	s_mov_b32 s4, 0xc2ce8ed0
	s_nop 0
	v_cndmask_b32_e32 v2, 0, v3, vcc
	v_ldexp_f32 v3, v6, v7
	v_cmp_ngt_f32_e32 vcc, s4, v5
	v_add_f32_e32 v2, v4, v2
	v_mov_b32_e32 v4, 0x7f800000
	v_cndmask_b32_e32 v3, 0, v3, vcc
	v_cmp_nlt_f32_e32 vcc, s5, v5
	v_mov_b32_e32 v5, 0x7fc00000
	s_nop 0
	v_cndmask_b32_e32 v3, v4, v3, vcc
	v_fma_f32 v2, v3, v2, v3
	v_cmp_class_f32_e64 vcc, v3, s6
	v_cmp_gt_f32_e64 s[6:7], 0, v1
	s_nop 0
	v_cndmask_b32_e32 v2, v2, v3, vcc
	v_trunc_f32_e32 v3, v1
	v_cmp_eq_f32_e32 vcc, v3, v1
	v_mul_f32_e32 v3, 0.5, v1
	v_trunc_f32_e32 v6, v3
	v_cmp_neq_f32_e64 s[4:5], v6, v3
	s_and_b64 s[4:5], vcc, s[4:5]
	s_nop 0
	v_cndmask_b32_e64 v3, 1.0, v18, s[4:5]
	v_bfi_b32 v2, s14, v2, v3
	v_cndmask_b32_e32 v3, v5, v2, vcc
	v_cmp_gt_f32_e32 vcc, 0, v18
	s_nop 1
	v_cndmask_b32_e32 v2, v2, v3, vcc
	v_cmp_eq_f32_e32 vcc, 0, v18
	s_xor_b64 s[6:7], s[6:7], vcc
	v_cndmask_b32_e64 v1, v4, 0, s[6:7]
	v_cndmask_b32_e64 v3, 0, v18, s[4:5]
	v_bfi_b32 v1, s14, v1, v3
	s_or_b64 vcc, vcc, s[30:31]
	v_cndmask_b32_e32 v1, v2, v1, vcc
	v_cmp_o_f32_e32 vcc, v18, v18
	s_nop 1
	v_cndmask_b32_e32 v69, v5, v1, vcc
.LBB52_5:
	s_load_dwordx4 s[44:47], s[0:1], 0x70
	v_bfe_u32 v66, v0, 10, 10
	s_lshl_b32 s14, s2, 6
	v_lshlrev_b32_e32 v61, 3, v66
	s_ashr_i32 s35, s34, 31
	s_waitcnt lgkmcnt(0)
	s_mul_i32 s4, s33, s46
	s_ashr_i32 s6, s41, 31
	s_ashr_i32 s7, s4, 31
	v_add_u32_e32 v63, s14, v61
	s_mul_i32 s5, s34, s45
	s_add_u32 s4, s8, s4
	v_mul_hi_u32 v2, v63, s24
	s_addc_u32 s7, s9, s7
	s_ashr_i32 s9, s5, 31
	v_add_u32_e32 v2, v63, v2
	s_add_u32 s8, s4, s5
	v_lshrrev_b32_e32 v2, s25, v2
	s_addc_u32 s9, s7, s9
	s_ashr_i32 s45, s44, 31
	v_and_b32_e32 v40, 0x3ff, v0
	v_mul_lo_u32 v2, v2, s26
	s_lshr_b64 s[4:5], s[44:45], 2
	v_lshlrev_b32_e32 v22, 4, v40
	v_mov_b32_e32 v23, 0
	v_sub_u32_e32 v2, v63, v2
	v_lshl_add_u64 v[0:1], s[8:9], 0, v[22:23]
	v_mad_u64_u32 v[4:5], s[8:9], s4, v2, 0
	v_mov_b32_e32 v6, v5
	s_lshr_b32 s5, s45, 2
	v_mad_u64_u32 v[6:7], s[8:9], s5, v2, v[6:7]
	v_mov_b32_e32 v5, v6
	v_lshl_add_u64 v[4:5], v[4:5], 2, v[0:1]
	global_load_dwordx4 v[4:7], v[4:5], off
	v_or_b32_e32 v60, 1, v61
	v_or_b32_e32 v58, 2, v61
	v_add_u32_e32 v64, s14, v60
	v_or_b32_e32 v57, 3, v61
	v_add_u32_e32 v62, s14, v58
	v_mul_hi_u32 v8, v64, s24
	v_or_b32_e32 v52, 4, v61
	v_add_u32_e32 v59, s14, v57
	v_mul_hi_u32 v9, v62, s24
	v_add_u32_e32 v8, v64, v8
	v_add_u32_e32 v55, s14, v52
	v_mul_hi_u32 v10, v59, s24
	v_add_u32_e32 v9, v62, v9
	v_lshrrev_b32_e32 v8, s25, v8
	v_mul_hi_u32 v11, v55, s24
	v_add_u32_e32 v10, v59, v10
	v_lshrrev_b32_e32 v9, s25, v9
	v_mul_lo_u32 v8, v8, s26
	v_add_u32_e32 v11, v55, v11
	v_lshrrev_b32_e32 v10, s25, v10
	v_mul_lo_u32 v9, v9, s26
	v_sub_u32_e32 v14, v64, v8
	v_lshrrev_b32_e32 v11, s25, v11
	v_mul_lo_u32 v10, v10, s26
	v_sub_u32_e32 v17, v62, v9
	v_mad_u64_u32 v[8:9], s[8:9], s4, v14, 0
	v_mul_lo_u32 v11, v11, s26
	v_sub_u32_e32 v19, v59, v10
	v_mov_b32_e32 v10, v9
	v_sub_u32_e32 v26, v55, v11
	v_mad_u64_u32 v[10:11], s[8:9], s5, v14, v[10:11]
	v_mov_b32_e32 v9, v10
	v_lshl_add_u64 v[8:9], v[8:9], 2, v[0:1]
	global_load_dwordx4 v[8:11], v[8:9], off
	v_mad_u64_u32 v[12:13], s[8:9], s4, v17, 0
	v_mad_u64_u32 v[14:15], s[8:9], s4, v19, 0
	v_mov_b32_e32 v16, v13
	v_mov_b32_e32 v18, v15
	v_mad_u64_u32 v[16:17], s[8:9], s5, v17, v[16:17]
	v_mad_u64_u32 v[18:19], s[8:9], s5, v19, v[18:19]
	v_mov_b32_e32 v13, v16
	v_mov_b32_e32 v15, v18
	v_lshl_add_u64 v[20:21], v[12:13], 2, v[0:1]
	v_lshl_add_u64 v[24:25], v[14:15], 2, v[0:1]
	global_load_dwordx4 v[12:15], v[20:21], off
	global_load_dwordx4 v[16:19], v[24:25], off
	v_or_b32_e32 v53, 5, v61
	v_add_u32_e32 v54, s14, v53
	v_mul_hi_u32 v24, v54, s24
	v_add_u32_e32 v24, v54, v24
	v_lshrrev_b32_e32 v24, s25, v24
	v_mul_lo_u32 v24, v24, s26
	v_or_b32_e32 v50, 6, v61
	v_sub_u32_e32 v27, v54, v24
	v_add_u32_e32 v51, s14, v50
	v_mad_u64_u32 v[24:25], s[8:9], s4, v27, 0
	v_mul_hi_u32 v28, v51, s24
	v_add_u32_e32 v28, v51, v28
	v_lshrrev_b32_e32 v28, s25, v28
	v_mul_lo_u32 v28, v28, s26
	v_or_b32_e32 v48, 7, v61
	v_sub_u32_e32 v31, v51, v28
	v_add_u32_e32 v49, s14, v48
	v_mad_u64_u32 v[28:29], s[8:9], s4, v31, 0
	v_mul_hi_u32 v32, v49, s24
	v_mov_b32_e32 v30, v29
	v_add_u32_e32 v32, v49, v32
	v_mad_u64_u32 v[30:31], s[8:9], s5, v31, v[30:31]
	v_lshrrev_b32_e32 v32, s25, v32
	v_mov_b32_e32 v29, v30
	v_mul_lo_u32 v32, v32, s26
	s_waitcnt vmcnt(3)
	v_fma_mixlo_f16 v4, s28, v4, 0
	v_fma_mixlo_f16 v5, s28, v5, 0
	v_lshlrev_b32_e32 v5, 16, v5
	v_and_b32_e32 v4, 0xffff, v4
	v_fma_mixlo_f16 v6, s28, v6, 0
	v_fma_mixlo_f16 v7, s28, v7, 0
	v_or_b32_e32 v4, v5, v4
	v_lshlrev_b32_e32 v7, 16, v7
	v_and_b32_e32 v6, 0xffff, v6
	v_or3_b32 v20, 0, 0, v4
	v_mad_u64_u32 v[4:5], s[8:9], s4, v26, 0
	v_or3_b32 v21, v7, v6, 0
	v_mov_b32_e32 v6, v5
	v_mad_u64_u32 v[6:7], s[8:9], s5, v26, v[6:7]
	v_mov_b32_e32 v5, v6
	v_lshl_add_u64 v[4:5], v[4:5], 2, v[0:1]
	global_load_dwordx4 v[4:7], v[4:5], off
	v_mov_b32_e32 v26, v25
	v_mad_u64_u32 v[26:27], s[8:9], s5, v27, v[26:27]
	v_mov_b32_e32 v25, v26
	v_lshl_add_u64 v[24:25], v[24:25], 2, v[0:1]
	global_load_dwordx4 v[24:27], v[24:25], off
	v_lshl_add_u64 v[28:29], v[28:29], 2, v[0:1]
	v_sub_u32_e32 v35, v49, v32
	global_load_dwordx4 v[28:31], v[28:29], off
	v_mad_u64_u32 v[32:33], s[8:9], s4, v35, 0
	v_mov_b32_e32 v34, v33
	v_mad_u64_u32 v[34:35], s[4:5], s5, v35, v[34:35]
	v_mov_b32_e32 v33, v34
	v_lshl_add_u64 v[0:1], v[32:33], 2, v[0:1]
	global_load_dwordx4 v[32:35], v[0:1], off
	v_lshlrev_b32_e32 v65, 3, v40
	v_lshlrev_b32_e32 v38, 11, v66
	s_waitcnt vmcnt(6)
	v_fma_mixlo_f16 v0, s28, v8, 0
	v_fma_mixlo_f16 v1, s28, v9, 0
	v_add_u32_e32 v3, v65, v38
	v_lshlrev_b32_e32 v1, 16, v1
	v_and_b32_e32 v0, 0xffff, v0
	ds_write_b64 v3, v[20:21]
	v_or_b32_e32 v0, v1, v0
	v_fma_mixlo_f16 v1, s28, v10, 0
	v_fma_mixlo_f16 v3, s28, v11, 0
	v_lshlrev_b32_e32 v3, 16, v3
	v_and_b32_e32 v1, 0xffff, v1
	v_lshl_add_u32 v8, v60, 8, v65
	v_or3_b32 v1, v3, v1, 0
	v_or3_b32 v0, 0, 0, v0
	ds_write_b64 v8, v[0:1]
	s_waitcnt vmcnt(5)
	v_fma_mixlo_f16 v0, s28, v12, 0
	v_fma_mixlo_f16 v1, s28, v13, 0
	v_lshlrev_b32_e32 v1, 16, v1
	v_and_b32_e32 v0, 0xffff, v0
	v_or_b32_e32 v0, v1, v0
	v_fma_mixlo_f16 v1, s28, v14, 0
	v_fma_mixlo_f16 v3, s28, v15, 0
	v_lshlrev_b32_e32 v3, 16, v3
	v_and_b32_e32 v1, 0xffff, v1
	v_lshl_add_u32 v8, v58, 8, v65
	v_or3_b32 v1, v3, v1, 0
	v_or3_b32 v0, 0, 0, v0
	ds_write_b64 v8, v[0:1]
	s_waitcnt vmcnt(4)
	v_fma_mixlo_f16 v0, s28, v16, 0
	v_fma_mixlo_f16 v1, s28, v17, 0
	v_lshlrev_b32_e32 v1, 16, v1
	v_and_b32_e32 v0, 0xffff, v0
	v_or_b32_e32 v0, v1, v0
	v_fma_mixlo_f16 v1, s28, v18, 0
	v_fma_mixlo_f16 v3, s28, v19, 0
	v_lshlrev_b32_e32 v3, 16, v3
	v_and_b32_e32 v1, 0xffff, v1
	v_lshl_add_u32 v8, v57, 8, v65
	v_or3_b32 v1, v3, v1, 0
	v_or3_b32 v0, 0, 0, v0
	ds_write_b64 v8, v[0:1]
	s_cmp_eq_u64 s[18:19], 0
	s_waitcnt vmcnt(3)
	v_fma_mixlo_f16 v0, s28, v4, 0
	v_fma_mixlo_f16 v1, s28, v5, 0
	v_lshlrev_b32_e32 v1, 16, v1
	v_and_b32_e32 v0, 0xffff, v0
	v_or_b32_e32 v0, v1, v0
	v_fma_mixlo_f16 v1, s28, v6, 0
	v_fma_mixlo_f16 v3, s28, v7, 0
	v_lshlrev_b32_e32 v3, 16, v3
	v_and_b32_e32 v1, 0xffff, v1
	v_lshl_add_u32 v4, v52, 8, v65
	v_or3_b32 v1, v3, v1, 0
	v_or3_b32 v0, 0, 0, v0
	ds_write_b64 v4, v[0:1]
	s_waitcnt vmcnt(2)
	v_fma_mixlo_f16 v0, s28, v24, 0
	v_fma_mixlo_f16 v1, s28, v25, 0
	v_lshlrev_b32_e32 v1, 16, v1
	v_and_b32_e32 v0, 0xffff, v0
	v_or_b32_e32 v0, v1, v0
	v_fma_mixlo_f16 v1, s28, v26, 0
	v_fma_mixlo_f16 v3, s28, v27, 0
	v_lshlrev_b32_e32 v3, 16, v3
	v_and_b32_e32 v1, 0xffff, v1
	v_lshl_add_u32 v4, v53, 8, v65
	v_or3_b32 v1, v3, v1, 0
	v_or3_b32 v0, 0, 0, v0
	ds_write_b64 v4, v[0:1]
	;; [unrolled: 14-line block ×4, first 2 shown]
	s_waitcnt lgkmcnt(0)
	s_barrier
	s_cbranch_scc1 .LBB52_7
; %bb.6:
	s_load_dword s4, s[0:1], 0xd0
	s_mov_b32 s5, 0
	s_waitcnt lgkmcnt(0)
	s_mul_i32 s4, s4, s33
	s_add_i32 s4, s4, s2
	s_lshl_b64 s[4:5], s[4:5], 2
	s_add_u32 s4, s18, s4
	s_addc_u32 s5, s19, s5
	s_load_dword s36, s[4:5], 0x0
.LBB52_7:
	s_nop 0
	s_load_dwordx2 s[4:5], s[0:1], 0x8c
	s_load_dwordx4 s[28:31], s[0:1], 0x98
	s_ashr_i32 s18, s39, 1
	s_load_dwordx2 s[8:9], s[0:1], 0xa8
	v_lshlrev_b32_e32 v56, 2, v40
	s_waitcnt lgkmcnt(0)
	s_ashr_i32 s19, s4, 2
	s_ashr_i32 s4, s33, 31
	;; [unrolled: 1-line block ×3, first 2 shown]
	s_mul_hi_u32 s7, s28, s33
	s_mul_i32 s30, s28, s4
	s_add_i32 s7, s7, s30
	s_mul_i32 s29, s29, s33
	s_add_i32 s7, s7, s29
	s_mul_i32 s28, s28, s33
	s_add_u32 s10, s10, s28
	s_addc_u32 s7, s11, s7
	s_mul_i32 s11, s15, s37
	s_sub_i32 s11, s40, s11
	s_xor_b32 s6, s35, s6
	s_add_i32 s28, s15, 1
	s_sub_i32 s29, s11, s37
	s_cmp_ge_u32 s11, s37
	s_cselect_b32 s15, s28, s15
	s_cselect_b32 s11, s29, s11
	s_add_i32 s28, s15, 1
	s_cmp_ge_u32 s11, s37
	s_cselect_b32 s11, s28, s15
	s_xor_b32 s11, s11, s6
	s_sub_i32 s11, s11, s6
	s_mul_i32 s5, s11, s5
	s_ashr_i32 s15, s5, 31
	s_add_u32 s6, s10, s5
	s_mul_hi_u32 s5, s8, s33
	s_mul_i32 s4, s8, s4
	s_addc_u32 s7, s7, s15
	s_add_i32 s4, s5, s4
	s_mul_i32 s5, s9, s33
	s_add_i32 s4, s4, s5
	s_mul_i32 s5, s8, s33
	s_add_u32 s5, s12, s5
	s_mul_i32 s11, s11, s31
	s_addc_u32 s4, s13, s4
	s_ashr_i32 s8, s11, 31
	s_add_u32 s10, s5, s11
	s_addc_u32 s11, s4, s8
	s_lshl_b32 s15, s3, 6
	s_sub_i32 s12, s36, 64
	s_cmp_ge_i32 s15, s12
	v_mul_lo_u32 v39, v2, s18
	v_lshrrev_b32_e32 v46, 2, v40
	v_and_b32_e32 v41, 12, v56
	v_cmp_ne_u64_e32 vcc, 0, v[42:43]
	v_or_b32_e32 v80, 1, v63
	v_or_b32_e32 v77, 2, v63
	;; [unrolled: 1-line block ×7, first 2 shown]
	v_lshrrev_b32_e32 v68, 4, v40
	v_and_b32_e32 v67, 60, v56
	v_mbcnt_lo_u32_b32 v81, -1, 0
	s_cbranch_scc1 .LBB52_44
; %bb.8:
	v_add_u32_e32 v0, v46, v61
	v_mul_u32_u24_e32 v1, 0x50, v0
	v_lshlrev_b32_e32 v44, 2, v41
	s_movk_i32 s5, 0x6000
	v_mul_lo_u32 v0, s19, v0
	v_add3_u32 v47, v1, v44, s5
	v_ashrrev_i32_e32 v1, 31, v0
	v_lshl_add_u64 v[0:1], v[0:1], 2, s[6:7]
	v_mov_b32_e32 v45, 0
	s_movk_i32 s4, 0x50
	v_lshl_add_u64 v[4:5], v[0:1], 0, v[44:45]
	v_mov_b32_e32 v0, 0x6000
	v_mad_u32_u24 v92, v40, s4, v0
	v_mul_hi_u32 v0, s24, v80
	v_add_u32_e32 v0, v80, v0
	v_lshrrev_b32_e32 v0, s25, v0
	v_mul_lo_u32 v0, v0, s26
	v_sub_u32_e32 v0, v80, v0
	v_mul_lo_u32 v93, v0, s18
	v_mul_hi_u32 v0, s24, v77
	v_add_u32_e32 v0, v77, v0
	v_lshrrev_b32_e32 v0, s25, v0
	v_mul_lo_u32 v0, v0, s26
	v_sub_u32_e32 v0, v77, v0
	v_mul_lo_u32 v94, v0, s18
	;; [unrolled: 6-line block ×7, first 2 shown]
	v_mov_b32_e32 v0, 0x4000
	v_lshl_add_u32 v100, v66, 10, v0
	v_lshl_add_u32 v0, v66, 1, v68
	v_lshlrev_b32_e32 v44, 2, v67
	v_lshl_or_b32 v1, v0, 8, v44
	v_mul_lo_u32 v0, s2, v0
	v_add_u32_e32 v101, 0x6000, v1
	v_ashrrev_i32_e32 v1, 31, v0
	v_lshl_add_u64 v[0:1], v[0:1], 2, s[10:11]
	v_lshl_add_u64 v[6:7], v[0:1], 0, v[44:45]
	s_add_u32 s8, s0, 0xd0
	v_cndmask_b32_e64 v0, 0, 1, vcc
	v_or_b32_e32 v102, 0x6000, v65
	s_addc_u32 s9, s1, 0
	v_mov_b32_e32 v13, 0xfeffffff
	s_mov_b32 s13, 0x3fb8aa3b
	s_mov_b32 s28, 0xc2ce8ed0
	;; [unrolled: 1-line block ×4, first 2 shown]
	v_add_u32_e32 v103, v100, v22
	v_cmp_ne_u32_e64 s[4:5], 1, v0
	v_mbcnt_hi_u32_b32 v104, -1, v81
	v_mov_b32_e32 v105, 0x7f800000
	v_mov_b32_e32 v44, v45
	;; [unrolled: 1-line block ×31, first 2 shown]
.LBB52_9:                               ; =>This Inner Loop Header: Depth=1
	s_mul_hi_i32 s39, s15, s19
	s_mul_i32 s38, s15, s19
	v_lshl_add_u64 v[8:9], s[38:39], 2, v[4:5]
	global_load_dwordx4 v[0:3], v[8:9], off
	v_mov_b32_e32 v36, 0
	v_mov_b32_e32 v31, 0
	;; [unrolled: 1-line block ×16, first 2 shown]
	s_and_b64 vcc, exec, s[4:5]
	s_waitcnt vmcnt(0)
	ds_write_b128 v47, v[0:3]
	s_waitcnt lgkmcnt(0)
	s_barrier
	ds_read_b128 v[0:3], v92
	ds_read_b128 v[110:113], v92 offset:2560
	ds_read_b128 v[114:117], v38
	ds_read_b128 v[118:121], v38 offset:256
	ds_read_b128 v[122:125], v38 offset:512
	;; [unrolled: 1-line block ×7, first 2 shown]
	s_waitcnt lgkmcnt(7)
	;;#ASMSTART
	v_dot2_f32_f16 v36, v0, v114, v36
	;;#ASMEND
	s_nop 0
	;;#ASMSTART
	v_dot2_f32_f16 v36, v1, v115, v36
	;;#ASMEND
	s_nop 0
	;;#ASMSTART
	v_dot2_f32_f16 v36, v2, v116, v36
	;;#ASMEND
	s_nop 0
	;;#ASMSTART
	v_dot2_f32_f16 v36, v3, v117, v36
	;;#ASMEND
	s_waitcnt lgkmcnt(6)
	;;#ASMSTART
	v_dot2_f32_f16 v31, v0, v118, v31
	;;#ASMEND
	s_nop 0
	;;#ASMSTART
	v_dot2_f32_f16 v31, v1, v119, v31
	;;#ASMEND
	s_nop 0
	;;#ASMSTART
	v_dot2_f32_f16 v31, v2, v120, v31
	;;#ASMEND
	s_nop 0
	;;#ASMSTART
	v_dot2_f32_f16 v31, v3, v121, v31
	;;#ASMEND
	;; [unrolled: 16-line block ×8, first 2 shown]
	;;#ASMSTART
	v_dot2_f32_f16 v109, v110, v114, v109
	;;#ASMEND
	s_nop 0
	;;#ASMSTART
	v_dot2_f32_f16 v109, v111, v115, v109
	;;#ASMEND
	s_nop 0
	;;#ASMSTART
	v_dot2_f32_f16 v109, v112, v116, v109
	;;#ASMEND
	s_nop 0
	;;#ASMSTART
	v_dot2_f32_f16 v109, v113, v117, v109
	;;#ASMEND
	;;#ASMSTART
	v_dot2_f32_f16 v108, v110, v118, v108
	;;#ASMEND
	s_nop 0
	;;#ASMSTART
	v_dot2_f32_f16 v108, v111, v119, v108
	;;#ASMEND
	s_nop 0
	;;#ASMSTART
	v_dot2_f32_f16 v108, v112, v120, v108
	;;#ASMEND
	s_nop 0
	;;#ASMSTART
	v_dot2_f32_f16 v108, v113, v121, v108
	;;#ASMEND
	;; [unrolled: 15-line block ×8, first 2 shown]
	ds_read_b128 v[110:113], v92 offset:16
	ds_read_b128 v[0:3], v92 offset:2576
	;; [unrolled: 1-line block ×10, first 2 shown]
	s_waitcnt lgkmcnt(7)
	;;#ASMSTART
	v_dot2_f32_f16 v36, v110, v114, v36
	;;#ASMEND
	s_nop 0
	;;#ASMSTART
	v_dot2_f32_f16 v36, v111, v115, v36
	;;#ASMEND
	s_nop 0
	;;#ASMSTART
	v_dot2_f32_f16 v36, v112, v116, v36
	;;#ASMEND
	s_nop 0
	;;#ASMSTART
	v_dot2_f32_f16 v36, v113, v117, v36
	;;#ASMEND
	s_waitcnt lgkmcnt(6)
	;;#ASMSTART
	v_dot2_f32_f16 v31, v110, v118, v31
	;;#ASMEND
	s_nop 0
	;;#ASMSTART
	v_dot2_f32_f16 v31, v111, v119, v31
	;;#ASMEND
	s_nop 0
	;;#ASMSTART
	v_dot2_f32_f16 v31, v112, v120, v31
	;;#ASMEND
	s_nop 0
	;;#ASMSTART
	v_dot2_f32_f16 v31, v113, v121, v31
	;;#ASMEND
	;; [unrolled: 16-line block ×8, first 2 shown]
	;;#ASMSTART
	v_dot2_f32_f16 v109, v0, v114, v109
	;;#ASMEND
	s_nop 0
	;;#ASMSTART
	v_dot2_f32_f16 v109, v1, v115, v109
	;;#ASMEND
	s_nop 0
	;;#ASMSTART
	v_dot2_f32_f16 v109, v2, v116, v109
	;;#ASMEND
	s_nop 0
	;;#ASMSTART
	v_dot2_f32_f16 v109, v3, v117, v109
	;;#ASMEND
	;;#ASMSTART
	v_dot2_f32_f16 v108, v0, v118, v108
	;;#ASMEND
	s_nop 0
	;;#ASMSTART
	v_dot2_f32_f16 v108, v1, v119, v108
	;;#ASMEND
	s_nop 0
	;;#ASMSTART
	v_dot2_f32_f16 v108, v2, v120, v108
	;;#ASMEND
	s_nop 0
	;;#ASMSTART
	v_dot2_f32_f16 v108, v3, v121, v108
	;;#ASMEND
	;; [unrolled: 15-line block ×8, first 2 shown]
	ds_read_b128 v[110:113], v92 offset:32
	ds_read_b128 v[0:3], v92 offset:2592
	;; [unrolled: 1-line block ×10, first 2 shown]
	s_waitcnt lgkmcnt(7)
	;;#ASMSTART
	v_dot2_f32_f16 v36, v110, v114, v36
	;;#ASMEND
	s_nop 0
	;;#ASMSTART
	v_dot2_f32_f16 v36, v111, v115, v36
	;;#ASMEND
	s_nop 0
	;;#ASMSTART
	v_dot2_f32_f16 v36, v112, v116, v36
	;;#ASMEND
	s_nop 0
	;;#ASMSTART
	v_dot2_f32_f16 v36, v113, v117, v36
	;;#ASMEND
	s_waitcnt lgkmcnt(6)
	;;#ASMSTART
	v_dot2_f32_f16 v31, v110, v118, v31
	;;#ASMEND
	s_nop 0
	;;#ASMSTART
	v_dot2_f32_f16 v31, v111, v119, v31
	;;#ASMEND
	s_nop 0
	;;#ASMSTART
	v_dot2_f32_f16 v31, v112, v120, v31
	;;#ASMEND
	s_nop 0
	;;#ASMSTART
	v_dot2_f32_f16 v31, v113, v121, v31
	;;#ASMEND
	;; [unrolled: 16-line block ×8, first 2 shown]
	;;#ASMSTART
	v_dot2_f32_f16 v109, v0, v114, v109
	;;#ASMEND
	s_nop 0
	;;#ASMSTART
	v_dot2_f32_f16 v109, v1, v115, v109
	;;#ASMEND
	s_nop 0
	;;#ASMSTART
	v_dot2_f32_f16 v109, v2, v116, v109
	;;#ASMEND
	s_nop 0
	;;#ASMSTART
	v_dot2_f32_f16 v109, v3, v117, v109
	;;#ASMEND
	;;#ASMSTART
	v_dot2_f32_f16 v108, v0, v118, v108
	;;#ASMEND
	s_nop 0
	;;#ASMSTART
	v_dot2_f32_f16 v108, v1, v119, v108
	;;#ASMEND
	s_nop 0
	;;#ASMSTART
	v_dot2_f32_f16 v108, v2, v120, v108
	;;#ASMEND
	s_nop 0
	;;#ASMSTART
	v_dot2_f32_f16 v108, v3, v121, v108
	;;#ASMEND
	;; [unrolled: 15-line block ×8, first 2 shown]
	ds_read_b128 v[110:113], v92 offset:48
	ds_read_b128 v[0:3], v92 offset:2608
	;; [unrolled: 1-line block ×10, first 2 shown]
	s_waitcnt lgkmcnt(7)
	;;#ASMSTART
	v_dot2_f32_f16 v36, v110, v114, v36
	;;#ASMEND
	s_nop 0
	;;#ASMSTART
	v_dot2_f32_f16 v36, v111, v115, v36
	;;#ASMEND
	s_nop 0
	;;#ASMSTART
	v_dot2_f32_f16 v36, v112, v116, v36
	;;#ASMEND
	s_nop 0
	;;#ASMSTART
	v_dot2_f32_f16 v36, v113, v117, v36
	;;#ASMEND
	s_waitcnt lgkmcnt(6)
	;;#ASMSTART
	v_dot2_f32_f16 v31, v110, v118, v31
	;;#ASMEND
	s_nop 0
	;;#ASMSTART
	v_dot2_f32_f16 v31, v111, v119, v31
	;;#ASMEND
	s_nop 0
	;;#ASMSTART
	v_dot2_f32_f16 v31, v112, v120, v31
	;;#ASMEND
	s_nop 0
	;;#ASMSTART
	v_dot2_f32_f16 v31, v113, v121, v31
	;;#ASMEND
	;; [unrolled: 16-line block ×8, first 2 shown]
	;;#ASMSTART
	v_dot2_f32_f16 v109, v0, v114, v109
	;;#ASMEND
	s_nop 0
	;;#ASMSTART
	v_dot2_f32_f16 v109, v1, v115, v109
	;;#ASMEND
	s_nop 0
	;;#ASMSTART
	v_dot2_f32_f16 v109, v2, v116, v109
	;;#ASMEND
	s_nop 0
	;;#ASMSTART
	v_dot2_f32_f16 v109, v3, v117, v109
	;;#ASMEND
	;;#ASMSTART
	v_dot2_f32_f16 v108, v0, v118, v108
	;;#ASMEND
	s_nop 0
	;;#ASMSTART
	v_dot2_f32_f16 v108, v1, v119, v108
	;;#ASMEND
	s_nop 0
	;;#ASMSTART
	v_dot2_f32_f16 v108, v2, v120, v108
	;;#ASMEND
	s_nop 0
	;;#ASMSTART
	v_dot2_f32_f16 v108, v3, v121, v108
	;;#ASMEND
	;; [unrolled: 15-line block ×8, first 2 shown]
	s_barrier
	global_load_dwordx4 v[0:3], v[8:9], off offset:64
	s_waitcnt vmcnt(0)
	ds_write_b128 v47, v[0:3]
	s_waitcnt lgkmcnt(0)
	s_barrier
	ds_read_b128 v[110:113], v92
	ds_read_b128 v[0:3], v92 offset:2560
	ds_read_b128 v[114:117], v38 offset:64
	;; [unrolled: 1-line block ×9, first 2 shown]
	s_waitcnt lgkmcnt(7)
	;;#ASMSTART
	v_dot2_f32_f16 v36, v110, v114, v36
	;;#ASMEND
	s_nop 0
	;;#ASMSTART
	v_dot2_f32_f16 v36, v111, v115, v36
	;;#ASMEND
	s_nop 0
	;;#ASMSTART
	v_dot2_f32_f16 v36, v112, v116, v36
	;;#ASMEND
	s_nop 0
	;;#ASMSTART
	v_dot2_f32_f16 v36, v113, v117, v36
	;;#ASMEND
	s_waitcnt lgkmcnt(6)
	;;#ASMSTART
	v_dot2_f32_f16 v31, v110, v118, v31
	;;#ASMEND
	s_nop 0
	;;#ASMSTART
	v_dot2_f32_f16 v31, v111, v119, v31
	;;#ASMEND
	s_nop 0
	;;#ASMSTART
	v_dot2_f32_f16 v31, v112, v120, v31
	;;#ASMEND
	s_nop 0
	;;#ASMSTART
	v_dot2_f32_f16 v31, v113, v121, v31
	;;#ASMEND
	;; [unrolled: 16-line block ×8, first 2 shown]
	;;#ASMSTART
	v_dot2_f32_f16 v109, v0, v114, v109
	;;#ASMEND
	s_nop 0
	;;#ASMSTART
	v_dot2_f32_f16 v109, v1, v115, v109
	;;#ASMEND
	s_nop 0
	;;#ASMSTART
	v_dot2_f32_f16 v109, v2, v116, v109
	;;#ASMEND
	s_nop 0
	;;#ASMSTART
	v_dot2_f32_f16 v109, v3, v117, v109
	;;#ASMEND
	;;#ASMSTART
	v_dot2_f32_f16 v108, v0, v118, v108
	;;#ASMEND
	s_nop 0
	;;#ASMSTART
	v_dot2_f32_f16 v108, v1, v119, v108
	;;#ASMEND
	s_nop 0
	;;#ASMSTART
	v_dot2_f32_f16 v108, v2, v120, v108
	;;#ASMEND
	s_nop 0
	;;#ASMSTART
	v_dot2_f32_f16 v108, v3, v121, v108
	;;#ASMEND
	;; [unrolled: 15-line block ×8, first 2 shown]
	ds_read_b128 v[110:113], v92 offset:16
	ds_read_b128 v[0:3], v92 offset:2576
	;; [unrolled: 1-line block ×10, first 2 shown]
	s_waitcnt lgkmcnt(7)
	;;#ASMSTART
	v_dot2_f32_f16 v36, v110, v114, v36
	;;#ASMEND
	s_nop 0
	;;#ASMSTART
	v_dot2_f32_f16 v36, v111, v115, v36
	;;#ASMEND
	s_nop 0
	;;#ASMSTART
	v_dot2_f32_f16 v36, v112, v116, v36
	;;#ASMEND
	s_nop 0
	;;#ASMSTART
	v_dot2_f32_f16 v36, v113, v117, v36
	;;#ASMEND
	s_waitcnt lgkmcnt(6)
	;;#ASMSTART
	v_dot2_f32_f16 v31, v110, v118, v31
	;;#ASMEND
	s_nop 0
	;;#ASMSTART
	v_dot2_f32_f16 v31, v111, v119, v31
	;;#ASMEND
	s_nop 0
	;;#ASMSTART
	v_dot2_f32_f16 v31, v112, v120, v31
	;;#ASMEND
	s_nop 0
	;;#ASMSTART
	v_dot2_f32_f16 v31, v113, v121, v31
	;;#ASMEND
	;; [unrolled: 16-line block ×8, first 2 shown]
	;;#ASMSTART
	v_dot2_f32_f16 v109, v0, v114, v109
	;;#ASMEND
	s_nop 0
	;;#ASMSTART
	v_dot2_f32_f16 v109, v1, v115, v109
	;;#ASMEND
	s_nop 0
	;;#ASMSTART
	v_dot2_f32_f16 v109, v2, v116, v109
	;;#ASMEND
	s_nop 0
	;;#ASMSTART
	v_dot2_f32_f16 v109, v3, v117, v109
	;;#ASMEND
	;;#ASMSTART
	v_dot2_f32_f16 v108, v0, v118, v108
	;;#ASMEND
	s_nop 0
	;;#ASMSTART
	v_dot2_f32_f16 v108, v1, v119, v108
	;;#ASMEND
	s_nop 0
	;;#ASMSTART
	v_dot2_f32_f16 v108, v2, v120, v108
	;;#ASMEND
	s_nop 0
	;;#ASMSTART
	v_dot2_f32_f16 v108, v3, v121, v108
	;;#ASMEND
	;; [unrolled: 15-line block ×8, first 2 shown]
	ds_read_b128 v[110:113], v92 offset:32
	ds_read_b128 v[0:3], v92 offset:2592
	;; [unrolled: 1-line block ×10, first 2 shown]
	s_waitcnt lgkmcnt(7)
	;;#ASMSTART
	v_dot2_f32_f16 v36, v110, v114, v36
	;;#ASMEND
	s_nop 0
	;;#ASMSTART
	v_dot2_f32_f16 v36, v111, v115, v36
	;;#ASMEND
	s_nop 0
	;;#ASMSTART
	v_dot2_f32_f16 v36, v112, v116, v36
	;;#ASMEND
	s_nop 0
	;;#ASMSTART
	v_dot2_f32_f16 v36, v113, v117, v36
	;;#ASMEND
	s_waitcnt lgkmcnt(6)
	;;#ASMSTART
	v_dot2_f32_f16 v31, v110, v118, v31
	;;#ASMEND
	s_nop 0
	;;#ASMSTART
	v_dot2_f32_f16 v31, v111, v119, v31
	;;#ASMEND
	s_nop 0
	;;#ASMSTART
	v_dot2_f32_f16 v31, v112, v120, v31
	;;#ASMEND
	s_nop 0
	;;#ASMSTART
	v_dot2_f32_f16 v31, v113, v121, v31
	;;#ASMEND
	;; [unrolled: 16-line block ×8, first 2 shown]
	;;#ASMSTART
	v_dot2_f32_f16 v109, v0, v114, v109
	;;#ASMEND
	s_nop 0
	;;#ASMSTART
	v_dot2_f32_f16 v109, v1, v115, v109
	;;#ASMEND
	s_nop 0
	;;#ASMSTART
	v_dot2_f32_f16 v109, v2, v116, v109
	;;#ASMEND
	s_nop 0
	;;#ASMSTART
	v_dot2_f32_f16 v109, v3, v117, v109
	;;#ASMEND
	;;#ASMSTART
	v_dot2_f32_f16 v108, v0, v118, v108
	;;#ASMEND
	s_nop 0
	;;#ASMSTART
	v_dot2_f32_f16 v108, v1, v119, v108
	;;#ASMEND
	s_nop 0
	;;#ASMSTART
	v_dot2_f32_f16 v108, v2, v120, v108
	;;#ASMEND
	s_nop 0
	;;#ASMSTART
	v_dot2_f32_f16 v108, v3, v121, v108
	;;#ASMEND
	;; [unrolled: 15-line block ×8, first 2 shown]
	ds_read_b128 v[110:113], v92 offset:48
	ds_read_b128 v[0:3], v92 offset:2608
	;; [unrolled: 1-line block ×10, first 2 shown]
	s_waitcnt lgkmcnt(7)
	;;#ASMSTART
	v_dot2_f32_f16 v36, v110, v114, v36
	;;#ASMEND
	s_nop 0
	;;#ASMSTART
	v_dot2_f32_f16 v36, v111, v115, v36
	;;#ASMEND
	s_nop 0
	;;#ASMSTART
	v_dot2_f32_f16 v36, v112, v116, v36
	;;#ASMEND
	s_nop 0
	;;#ASMSTART
	v_dot2_f32_f16 v36, v113, v117, v36
	;;#ASMEND
	s_waitcnt lgkmcnt(6)
	;;#ASMSTART
	v_dot2_f32_f16 v31, v110, v118, v31
	;;#ASMEND
	s_nop 0
	;;#ASMSTART
	v_dot2_f32_f16 v31, v111, v119, v31
	;;#ASMEND
	s_nop 0
	;;#ASMSTART
	v_dot2_f32_f16 v31, v112, v120, v31
	;;#ASMEND
	s_nop 0
	;;#ASMSTART
	v_dot2_f32_f16 v31, v113, v121, v31
	;;#ASMEND
	;; [unrolled: 16-line block ×8, first 2 shown]
	;;#ASMSTART
	v_dot2_f32_f16 v109, v0, v114, v109
	;;#ASMEND
	s_nop 0
	;;#ASMSTART
	v_dot2_f32_f16 v109, v1, v115, v109
	;;#ASMEND
	s_nop 0
	;;#ASMSTART
	v_dot2_f32_f16 v109, v2, v116, v109
	;;#ASMEND
	s_nop 0
	;;#ASMSTART
	v_dot2_f32_f16 v109, v3, v117, v109
	;;#ASMEND
	;;#ASMSTART
	v_dot2_f32_f16 v108, v0, v118, v108
	;;#ASMEND
	s_nop 0
	;;#ASMSTART
	v_dot2_f32_f16 v108, v1, v119, v108
	;;#ASMEND
	s_nop 0
	;;#ASMSTART
	v_dot2_f32_f16 v108, v2, v120, v108
	;;#ASMEND
	s_nop 0
	;;#ASMSTART
	v_dot2_f32_f16 v108, v3, v121, v108
	;;#ASMEND
	;; [unrolled: 15-line block ×8, first 2 shown]
	s_barrier
	global_load_dwordx4 v[0:3], v[8:9], off offset:128
	s_waitcnt vmcnt(0)
	ds_write_b128 v47, v[0:3]
	s_waitcnt lgkmcnt(0)
	s_barrier
	ds_read_b128 v[110:113], v92
	ds_read_b128 v[0:3], v92 offset:2560
	ds_read_b128 v[114:117], v38 offset:128
	;; [unrolled: 1-line block ×9, first 2 shown]
	s_waitcnt lgkmcnt(7)
	;;#ASMSTART
	v_dot2_f32_f16 v36, v110, v114, v36
	;;#ASMEND
	s_nop 0
	;;#ASMSTART
	v_dot2_f32_f16 v36, v111, v115, v36
	;;#ASMEND
	s_nop 0
	;;#ASMSTART
	v_dot2_f32_f16 v36, v112, v116, v36
	;;#ASMEND
	s_nop 0
	;;#ASMSTART
	v_dot2_f32_f16 v36, v113, v117, v36
	;;#ASMEND
	s_waitcnt lgkmcnt(6)
	;;#ASMSTART
	v_dot2_f32_f16 v31, v110, v118, v31
	;;#ASMEND
	s_nop 0
	;;#ASMSTART
	v_dot2_f32_f16 v31, v111, v119, v31
	;;#ASMEND
	s_nop 0
	;;#ASMSTART
	v_dot2_f32_f16 v31, v112, v120, v31
	;;#ASMEND
	s_nop 0
	;;#ASMSTART
	v_dot2_f32_f16 v31, v113, v121, v31
	;;#ASMEND
	;; [unrolled: 16-line block ×8, first 2 shown]
	;;#ASMSTART
	v_dot2_f32_f16 v109, v0, v114, v109
	;;#ASMEND
	s_nop 0
	;;#ASMSTART
	v_dot2_f32_f16 v109, v1, v115, v109
	;;#ASMEND
	s_nop 0
	;;#ASMSTART
	v_dot2_f32_f16 v109, v2, v116, v109
	;;#ASMEND
	s_nop 0
	;;#ASMSTART
	v_dot2_f32_f16 v109, v3, v117, v109
	;;#ASMEND
	;;#ASMSTART
	v_dot2_f32_f16 v108, v0, v118, v108
	;;#ASMEND
	s_nop 0
	;;#ASMSTART
	v_dot2_f32_f16 v108, v1, v119, v108
	;;#ASMEND
	s_nop 0
	;;#ASMSTART
	v_dot2_f32_f16 v108, v2, v120, v108
	;;#ASMEND
	s_nop 0
	;;#ASMSTART
	v_dot2_f32_f16 v108, v3, v121, v108
	;;#ASMEND
	;; [unrolled: 15-line block ×8, first 2 shown]
	ds_read_b128 v[110:113], v92 offset:16
	ds_read_b128 v[0:3], v92 offset:2576
	;; [unrolled: 1-line block ×10, first 2 shown]
	s_waitcnt lgkmcnt(7)
	;;#ASMSTART
	v_dot2_f32_f16 v36, v110, v114, v36
	;;#ASMEND
	s_nop 0
	;;#ASMSTART
	v_dot2_f32_f16 v36, v111, v115, v36
	;;#ASMEND
	s_nop 0
	;;#ASMSTART
	v_dot2_f32_f16 v36, v112, v116, v36
	;;#ASMEND
	s_nop 0
	;;#ASMSTART
	v_dot2_f32_f16 v36, v113, v117, v36
	;;#ASMEND
	s_waitcnt lgkmcnt(6)
	;;#ASMSTART
	v_dot2_f32_f16 v31, v110, v118, v31
	;;#ASMEND
	s_nop 0
	;;#ASMSTART
	v_dot2_f32_f16 v31, v111, v119, v31
	;;#ASMEND
	s_nop 0
	;;#ASMSTART
	v_dot2_f32_f16 v31, v112, v120, v31
	;;#ASMEND
	s_nop 0
	;;#ASMSTART
	v_dot2_f32_f16 v31, v113, v121, v31
	;;#ASMEND
	;; [unrolled: 16-line block ×8, first 2 shown]
	;;#ASMSTART
	v_dot2_f32_f16 v109, v0, v114, v109
	;;#ASMEND
	s_nop 0
	;;#ASMSTART
	v_dot2_f32_f16 v109, v1, v115, v109
	;;#ASMEND
	s_nop 0
	;;#ASMSTART
	v_dot2_f32_f16 v109, v2, v116, v109
	;;#ASMEND
	s_nop 0
	;;#ASMSTART
	v_dot2_f32_f16 v109, v3, v117, v109
	;;#ASMEND
	;;#ASMSTART
	v_dot2_f32_f16 v108, v0, v118, v108
	;;#ASMEND
	s_nop 0
	;;#ASMSTART
	v_dot2_f32_f16 v108, v1, v119, v108
	;;#ASMEND
	s_nop 0
	;;#ASMSTART
	v_dot2_f32_f16 v108, v2, v120, v108
	;;#ASMEND
	s_nop 0
	;;#ASMSTART
	v_dot2_f32_f16 v108, v3, v121, v108
	;;#ASMEND
	;; [unrolled: 15-line block ×8, first 2 shown]
	ds_read_b128 v[110:113], v92 offset:32
	ds_read_b128 v[0:3], v92 offset:2592
	;; [unrolled: 1-line block ×10, first 2 shown]
	s_waitcnt lgkmcnt(7)
	;;#ASMSTART
	v_dot2_f32_f16 v36, v110, v114, v36
	;;#ASMEND
	s_nop 0
	;;#ASMSTART
	v_dot2_f32_f16 v36, v111, v115, v36
	;;#ASMEND
	s_nop 0
	;;#ASMSTART
	v_dot2_f32_f16 v36, v112, v116, v36
	;;#ASMEND
	s_nop 0
	;;#ASMSTART
	v_dot2_f32_f16 v36, v113, v117, v36
	;;#ASMEND
	s_waitcnt lgkmcnt(6)
	;;#ASMSTART
	v_dot2_f32_f16 v31, v110, v118, v31
	;;#ASMEND
	s_nop 0
	;;#ASMSTART
	v_dot2_f32_f16 v31, v111, v119, v31
	;;#ASMEND
	s_nop 0
	;;#ASMSTART
	v_dot2_f32_f16 v31, v112, v120, v31
	;;#ASMEND
	s_nop 0
	;;#ASMSTART
	v_dot2_f32_f16 v31, v113, v121, v31
	;;#ASMEND
	;; [unrolled: 16-line block ×8, first 2 shown]
	;;#ASMSTART
	v_dot2_f32_f16 v109, v0, v114, v109
	;;#ASMEND
	s_nop 0
	;;#ASMSTART
	v_dot2_f32_f16 v109, v1, v115, v109
	;;#ASMEND
	s_nop 0
	;;#ASMSTART
	v_dot2_f32_f16 v109, v2, v116, v109
	;;#ASMEND
	s_nop 0
	;;#ASMSTART
	v_dot2_f32_f16 v109, v3, v117, v109
	;;#ASMEND
	;;#ASMSTART
	v_dot2_f32_f16 v108, v0, v118, v108
	;;#ASMEND
	s_nop 0
	;;#ASMSTART
	v_dot2_f32_f16 v108, v1, v119, v108
	;;#ASMEND
	s_nop 0
	;;#ASMSTART
	v_dot2_f32_f16 v108, v2, v120, v108
	;;#ASMEND
	s_nop 0
	;;#ASMSTART
	v_dot2_f32_f16 v108, v3, v121, v108
	;;#ASMEND
	;; [unrolled: 15-line block ×8, first 2 shown]
	ds_read_b128 v[110:113], v92 offset:48
	ds_read_b128 v[0:3], v92 offset:2608
	;; [unrolled: 1-line block ×10, first 2 shown]
	s_waitcnt lgkmcnt(7)
	;;#ASMSTART
	v_dot2_f32_f16 v36, v110, v114, v36
	;;#ASMEND
	s_nop 0
	;;#ASMSTART
	v_dot2_f32_f16 v36, v111, v115, v36
	;;#ASMEND
	s_nop 0
	;;#ASMSTART
	v_dot2_f32_f16 v36, v112, v116, v36
	;;#ASMEND
	s_nop 0
	;;#ASMSTART
	v_dot2_f32_f16 v36, v113, v117, v36
	;;#ASMEND
	s_waitcnt lgkmcnt(6)
	;;#ASMSTART
	v_dot2_f32_f16 v31, v110, v118, v31
	;;#ASMEND
	s_nop 0
	;;#ASMSTART
	v_dot2_f32_f16 v31, v111, v119, v31
	;;#ASMEND
	s_nop 0
	;;#ASMSTART
	v_dot2_f32_f16 v31, v112, v120, v31
	;;#ASMEND
	s_nop 0
	;;#ASMSTART
	v_dot2_f32_f16 v31, v113, v121, v31
	;;#ASMEND
	;; [unrolled: 16-line block ×8, first 2 shown]
	;;#ASMSTART
	v_dot2_f32_f16 v109, v0, v114, v109
	;;#ASMEND
	s_nop 0
	;;#ASMSTART
	v_dot2_f32_f16 v109, v1, v115, v109
	;;#ASMEND
	s_nop 0
	;;#ASMSTART
	v_dot2_f32_f16 v109, v2, v116, v109
	;;#ASMEND
	s_nop 0
	;;#ASMSTART
	v_dot2_f32_f16 v109, v3, v117, v109
	;;#ASMEND
	;;#ASMSTART
	v_dot2_f32_f16 v108, v0, v118, v108
	;;#ASMEND
	s_nop 0
	;;#ASMSTART
	v_dot2_f32_f16 v108, v1, v119, v108
	;;#ASMEND
	s_nop 0
	;;#ASMSTART
	v_dot2_f32_f16 v108, v2, v120, v108
	;;#ASMEND
	s_nop 0
	;;#ASMSTART
	v_dot2_f32_f16 v108, v3, v121, v108
	;;#ASMEND
	;; [unrolled: 15-line block ×8, first 2 shown]
	s_barrier
	global_load_dwordx4 v[0:3], v[8:9], off offset:192
	s_waitcnt vmcnt(0)
	ds_write_b128 v47, v[0:3]
	s_waitcnt lgkmcnt(0)
	s_barrier
	ds_read_b128 v[110:113], v92
	ds_read_b128 v[0:3], v92 offset:2560
	ds_read_b128 v[114:117], v38 offset:192
	;; [unrolled: 1-line block ×9, first 2 shown]
	s_waitcnt lgkmcnt(7)
	;;#ASMSTART
	v_dot2_f32_f16 v36, v110, v114, v36
	;;#ASMEND
	s_nop 0
	;;#ASMSTART
	v_dot2_f32_f16 v36, v111, v115, v36
	;;#ASMEND
	s_nop 0
	;;#ASMSTART
	v_dot2_f32_f16 v36, v112, v116, v36
	;;#ASMEND
	s_nop 0
	;;#ASMSTART
	v_dot2_f32_f16 v36, v113, v117, v36
	;;#ASMEND
	s_waitcnt lgkmcnt(6)
	;;#ASMSTART
	v_dot2_f32_f16 v31, v110, v118, v31
	;;#ASMEND
	s_nop 0
	;;#ASMSTART
	v_dot2_f32_f16 v31, v111, v119, v31
	;;#ASMEND
	s_nop 0
	;;#ASMSTART
	v_dot2_f32_f16 v31, v112, v120, v31
	;;#ASMEND
	s_nop 0
	;;#ASMSTART
	v_dot2_f32_f16 v31, v113, v121, v31
	;;#ASMEND
	;; [unrolled: 16-line block ×8, first 2 shown]
	;;#ASMSTART
	v_dot2_f32_f16 v109, v0, v114, v109
	;;#ASMEND
	s_nop 0
	;;#ASMSTART
	v_dot2_f32_f16 v109, v1, v115, v109
	;;#ASMEND
	s_nop 0
	;;#ASMSTART
	v_dot2_f32_f16 v109, v2, v116, v109
	;;#ASMEND
	s_nop 0
	;;#ASMSTART
	v_dot2_f32_f16 v109, v3, v117, v109
	;;#ASMEND
	;;#ASMSTART
	v_dot2_f32_f16 v108, v0, v118, v108
	;;#ASMEND
	s_nop 0
	;;#ASMSTART
	v_dot2_f32_f16 v108, v1, v119, v108
	;;#ASMEND
	s_nop 0
	;;#ASMSTART
	v_dot2_f32_f16 v108, v2, v120, v108
	;;#ASMEND
	s_nop 0
	;;#ASMSTART
	v_dot2_f32_f16 v108, v3, v121, v108
	;;#ASMEND
	;; [unrolled: 15-line block ×8, first 2 shown]
	ds_read_b128 v[110:113], v92 offset:16
	ds_read_b128 v[0:3], v92 offset:2576
	;; [unrolled: 1-line block ×10, first 2 shown]
	s_waitcnt lgkmcnt(7)
	;;#ASMSTART
	v_dot2_f32_f16 v36, v110, v114, v36
	;;#ASMEND
	s_nop 0
	;;#ASMSTART
	v_dot2_f32_f16 v36, v111, v115, v36
	;;#ASMEND
	s_nop 0
	;;#ASMSTART
	v_dot2_f32_f16 v36, v112, v116, v36
	;;#ASMEND
	s_nop 0
	;;#ASMSTART
	v_dot2_f32_f16 v36, v113, v117, v36
	;;#ASMEND
	s_waitcnt lgkmcnt(6)
	;;#ASMSTART
	v_dot2_f32_f16 v31, v110, v118, v31
	;;#ASMEND
	s_nop 0
	;;#ASMSTART
	v_dot2_f32_f16 v31, v111, v119, v31
	;;#ASMEND
	s_nop 0
	;;#ASMSTART
	v_dot2_f32_f16 v31, v112, v120, v31
	;;#ASMEND
	s_nop 0
	;;#ASMSTART
	v_dot2_f32_f16 v31, v113, v121, v31
	;;#ASMEND
	;; [unrolled: 16-line block ×8, first 2 shown]
	;;#ASMSTART
	v_dot2_f32_f16 v109, v0, v114, v109
	;;#ASMEND
	s_nop 0
	;;#ASMSTART
	v_dot2_f32_f16 v109, v1, v115, v109
	;;#ASMEND
	s_nop 0
	;;#ASMSTART
	v_dot2_f32_f16 v109, v2, v116, v109
	;;#ASMEND
	s_nop 0
	;;#ASMSTART
	v_dot2_f32_f16 v109, v3, v117, v109
	;;#ASMEND
	;;#ASMSTART
	v_dot2_f32_f16 v108, v0, v118, v108
	;;#ASMEND
	s_nop 0
	;;#ASMSTART
	v_dot2_f32_f16 v108, v1, v119, v108
	;;#ASMEND
	s_nop 0
	;;#ASMSTART
	v_dot2_f32_f16 v108, v2, v120, v108
	;;#ASMEND
	s_nop 0
	;;#ASMSTART
	v_dot2_f32_f16 v108, v3, v121, v108
	;;#ASMEND
	;; [unrolled: 15-line block ×8, first 2 shown]
	ds_read_b128 v[110:113], v92 offset:32
	ds_read_b128 v[0:3], v92 offset:2592
	;; [unrolled: 1-line block ×10, first 2 shown]
	s_waitcnt lgkmcnt(7)
	;;#ASMSTART
	v_dot2_f32_f16 v36, v110, v114, v36
	;;#ASMEND
	s_nop 0
	;;#ASMSTART
	v_dot2_f32_f16 v36, v111, v115, v36
	;;#ASMEND
	s_nop 0
	;;#ASMSTART
	v_dot2_f32_f16 v36, v112, v116, v36
	;;#ASMEND
	s_nop 0
	;;#ASMSTART
	v_dot2_f32_f16 v36, v113, v117, v36
	;;#ASMEND
	s_waitcnt lgkmcnt(6)
	;;#ASMSTART
	v_dot2_f32_f16 v31, v110, v118, v31
	;;#ASMEND
	s_nop 0
	;;#ASMSTART
	v_dot2_f32_f16 v31, v111, v119, v31
	;;#ASMEND
	s_nop 0
	;;#ASMSTART
	v_dot2_f32_f16 v31, v112, v120, v31
	;;#ASMEND
	s_nop 0
	;;#ASMSTART
	v_dot2_f32_f16 v31, v113, v121, v31
	;;#ASMEND
	;; [unrolled: 16-line block ×8, first 2 shown]
	;;#ASMSTART
	v_dot2_f32_f16 v109, v0, v114, v109
	;;#ASMEND
	s_nop 0
	;;#ASMSTART
	v_dot2_f32_f16 v109, v1, v115, v109
	;;#ASMEND
	s_nop 0
	;;#ASMSTART
	v_dot2_f32_f16 v109, v2, v116, v109
	;;#ASMEND
	s_nop 0
	;;#ASMSTART
	v_dot2_f32_f16 v109, v3, v117, v109
	;;#ASMEND
	;;#ASMSTART
	v_dot2_f32_f16 v108, v0, v118, v108
	;;#ASMEND
	s_nop 0
	;;#ASMSTART
	v_dot2_f32_f16 v108, v1, v119, v108
	;;#ASMEND
	s_nop 0
	;;#ASMSTART
	v_dot2_f32_f16 v108, v2, v120, v108
	;;#ASMEND
	s_nop 0
	;;#ASMSTART
	v_dot2_f32_f16 v108, v3, v121, v108
	;;#ASMEND
	;; [unrolled: 15-line block ×8, first 2 shown]
	ds_read_b128 v[110:113], v92 offset:48
	ds_read_b128 v[0:3], v92 offset:2608
	;; [unrolled: 1-line block ×10, first 2 shown]
	s_waitcnt lgkmcnt(7)
	;;#ASMSTART
	v_dot2_f32_f16 v36, v110, v114, v36
	;;#ASMEND
	s_nop 0
	;;#ASMSTART
	v_dot2_f32_f16 v36, v111, v115, v36
	;;#ASMEND
	s_nop 0
	;;#ASMSTART
	v_dot2_f32_f16 v36, v112, v116, v36
	;;#ASMEND
	s_nop 0
	;;#ASMSTART
	v_dot2_f32_f16 v36, v113, v117, v36
	;;#ASMEND
	s_waitcnt lgkmcnt(6)
	;;#ASMSTART
	v_dot2_f32_f16 v31, v110, v118, v31
	;;#ASMEND
	s_nop 0
	;;#ASMSTART
	v_dot2_f32_f16 v31, v111, v119, v31
	;;#ASMEND
	s_nop 0
	;;#ASMSTART
	v_dot2_f32_f16 v31, v112, v120, v31
	;;#ASMEND
	s_nop 0
	;;#ASMSTART
	v_dot2_f32_f16 v31, v113, v121, v31
	;;#ASMEND
	;; [unrolled: 16-line block ×8, first 2 shown]
	;;#ASMSTART
	v_dot2_f32_f16 v109, v0, v114, v109
	;;#ASMEND
	s_nop 0
	;;#ASMSTART
	v_dot2_f32_f16 v109, v1, v115, v109
	;;#ASMEND
	s_nop 0
	;; [unrolled: 4-line block ×3, first 2 shown]
	;;#ASMSTART
	v_dot2_f32_f16 v109, v3, v117, v109
	;;#ASMEND
	;;#ASMSTART
	v_dot2_f32_f16 v108, v0, v118, v108
	;;#ASMEND
	s_nop 0
	;;#ASMSTART
	v_dot2_f32_f16 v108, v1, v119, v108
	;;#ASMEND
	s_nop 0
	;; [unrolled: 4-line block ×3, first 2 shown]
	;;#ASMSTART
	v_dot2_f32_f16 v108, v3, v121, v108
	;;#ASMEND
	;;#ASMSTART
	v_dot2_f32_f16 v37, v0, v122, v37
	;;#ASMEND
	s_nop 0
	;;#ASMSTART
	v_dot2_f32_f16 v37, v1, v123, v37
	;;#ASMEND
	v_add_u32_e32 v123, s15, v40
	;;#ASMSTART
	v_dot2_f32_f16 v37, v2, v124, v37
	;;#ASMEND
	s_nop 0
	;;#ASMSTART
	v_dot2_f32_f16 v37, v3, v125, v37
	;;#ASMEND
	;;#ASMSTART
	v_dot2_f32_f16 v35, v0, v126, v35
	;;#ASMEND
	s_nop 0
	;;#ASMSTART
	v_dot2_f32_f16 v35, v1, v127, v35
	;;#ASMEND
	s_nop 0
	;;#ASMSTART
	v_dot2_f32_f16 v35, v2, v128, v35
	;;#ASMEND
	s_nop 0
	;;#ASMSTART
	v_dot2_f32_f16 v35, v3, v129, v35
	;;#ASMEND
	;;#ASMSTART
	v_dot2_f32_f16 v34, v0, v130, v34
	;;#ASMEND
	s_nop 0
	;;#ASMSTART
	v_dot2_f32_f16 v34, v1, v131, v34
	;;#ASMEND
	s_nop 0
	;; [unrolled: 15-line block ×4, first 2 shown]
	;;#ASMSTART
	v_dot2_f32_f16 v27, v2, v140, v27
	;;#ASMEND
	s_nop 0
	;;#ASMSTART
	v_dot2_f32_f16 v27, v3, v141, v27
	;;#ASMEND
	;;#ASMSTART
	v_dot2_f32_f16 v25, v0, v142, v25
	;;#ASMEND
	v_add_u32_e32 v0, v123, v39
	;;#ASMSTART
	v_dot2_f32_f16 v25, v1, v143, v25
	;;#ASMEND
	v_ashrrev_i32_e32 v1, 31, v0
	;;#ASMSTART
	v_dot2_f32_f16 v25, v2, v144, v25
	;;#ASMEND
	v_mov_b32_e32 v2, 0
	;;#ASMSTART
	v_dot2_f32_f16 v25, v3, v145, v25
	;;#ASMEND
	s_cbranch_vccnz .LBB52_11
; %bb.10:                               ;   in Loop: Header=BB52_9 Depth=1
	v_lshl_add_u64 v[2:3], v[0:1], 1, v[42:43]
	global_load_ushort v2, v[2:3], off
	s_waitcnt vmcnt(0)
	v_cvt_f32_f16_e32 v2, v2
	v_mul_f32_e32 v2, v69, v2
.LBB52_11:                              ;   in Loop: Header=BB52_9 Depth=1
	v_mov_b32_e32 v9, 0
	s_and_b64 vcc, exec, s[4:5]
	v_mov_b32_e32 v3, 0
	s_cbranch_vccnz .LBB52_13
; %bb.12:                               ;   in Loop: Header=BB52_9 Depth=1
	v_lshl_add_u64 v[0:1], v[0:1], 1, v[42:43]
	global_load_ushort v0, v[0:1], off offset:64
	s_waitcnt vmcnt(0)
	v_cvt_f32_f16_e32 v0, v0
	v_mul_f32_e32 v3, v69, v0
.LBB52_13:                              ;   in Loop: Header=BB52_9 Depth=1
	v_and_b32_e32 v1, 0x60, v104
	v_add_u32_e32 v1, 32, v1
	v_xor_b32_e32 v8, 16, v104
	v_add_f32_e32 v2, v36, v2
	v_cmp_lt_i32_e32 vcc, v8, v1
	v_add_f32_e32 v3, v109, v3
	v_add_f32_e32 v0, 0x40051340, v2
	v_cndmask_b32_e32 v8, v104, v8, vcc
	v_add_f32_e32 v36, 0x40051340, v3
	v_lshlrev_b32_e32 v8, 2, v8
	v_max3_f32 v0, v13, v0, v36
	ds_bpermute_b32 v36, v8, v0
	v_xor_b32_e32 v109, 8, v104
	v_cmp_lt_i32_e32 vcc, v109, v1
	s_waitcnt lgkmcnt(0)
	v_max_f32_e32 v36, v36, v36
	v_cndmask_b32_e32 v109, v104, v109, vcc
	v_lshlrev_b32_e32 v118, 2, v109
	v_max_f32_e32 v0, v0, v36
	ds_bpermute_b32 v36, v118, v0
	v_xor_b32_e32 v109, 4, v104
	v_cmp_lt_i32_e32 vcc, v109, v1
	s_waitcnt lgkmcnt(0)
	v_max_f32_e32 v36, v36, v36
	v_cndmask_b32_e32 v109, v104, v109, vcc
	v_lshlrev_b32_e32 v119, 2, v109
	v_max_f32_e32 v0, v0, v36
	;; [unrolled: 8-line block ×3, first 2 shown]
	ds_bpermute_b32 v36, v120, v0
	v_xor_b32_e32 v109, 1, v104
	v_cmp_lt_i32_e32 vcc, v109, v1
	s_nop 1
	v_cndmask_b32_e32 v1, v104, v109, vcc
	v_lshlrev_b32_e32 v121, 2, v1
	s_waitcnt lgkmcnt(0)
	v_max_f32_e32 v1, v36, v36
	v_max_f32_e32 v117, v0, v1
	ds_bpermute_b32 v122, v121, v117
	v_add_u32_e32 v0, v123, v93
	s_and_b64 vcc, exec, s[4:5]
	v_ashrrev_i32_e32 v1, 31, v0
	s_cbranch_vccnz .LBB52_15
; %bb.14:                               ;   in Loop: Header=BB52_9 Depth=1
	v_lshl_add_u64 v[110:111], v[0:1], 1, v[42:43]
	global_load_ushort v9, v[110:111], off
	s_waitcnt vmcnt(0)
	v_cvt_f32_f16_e32 v9, v9
	v_mul_f32_e32 v9, v69, v9
.LBB52_15:                              ;   in Loop: Header=BB52_9 Depth=1
	v_mov_b32_e32 v36, 0
	s_and_b64 vcc, exec, s[4:5]
	v_mov_b32_e32 v109, 0
	s_cbranch_vccnz .LBB52_17
; %bb.16:                               ;   in Loop: Header=BB52_9 Depth=1
	v_lshl_add_u64 v[0:1], v[0:1], 1, v[42:43]
	global_load_ushort v0, v[0:1], off offset:64
	s_waitcnt vmcnt(0)
	v_cvt_f32_f16_e32 v0, v0
	v_mul_f32_e32 v109, v69, v0
.LBB52_17:                              ;   in Loop: Header=BB52_9 Depth=1
	v_add_f32_e32 v110, v31, v9
	v_add_f32_e32 v9, v108, v109
	v_add_f32_e32 v0, 0x40051340, v110
	v_add_f32_e32 v1, 0x40051340, v9
	v_max3_f32 v0, v12, v0, v1
	ds_bpermute_b32 v1, v8, v0
	s_and_b64 vcc, exec, s[4:5]
	s_waitcnt lgkmcnt(0)
	v_max_f32_e32 v1, v1, v1
	v_max_f32_e32 v0, v0, v1
	ds_bpermute_b32 v1, v118, v0
	s_waitcnt lgkmcnt(0)
	v_max_f32_e32 v1, v1, v1
	v_max_f32_e32 v0, v0, v1
	ds_bpermute_b32 v1, v119, v0
	s_waitcnt lgkmcnt(0)
	v_max_f32_e32 v1, v1, v1
	v_max_f32_e32 v0, v0, v1
	ds_bpermute_b32 v1, v120, v0
	s_waitcnt lgkmcnt(0)
	v_max_f32_e32 v1, v1, v1
	v_max_f32_e32 v31, v0, v1
	ds_bpermute_b32 v124, v121, v31
	v_add_u32_e32 v0, v123, v94
	v_ashrrev_i32_e32 v1, 31, v0
	s_cbranch_vccnz .LBB52_19
; %bb.18:                               ;   in Loop: Header=BB52_9 Depth=1
	v_lshl_add_u64 v[108:109], v[0:1], 1, v[42:43]
	global_load_ushort v36, v[108:109], off
	s_waitcnt vmcnt(0)
	v_cvt_f32_f16_e32 v36, v36
	v_mul_f32_e32 v36, v69, v36
.LBB52_19:                              ;   in Loop: Header=BB52_9 Depth=1
	v_mov_b32_e32 v108, 0
	s_and_b64 vcc, exec, s[4:5]
	v_mov_b32_e32 v109, 0
	s_cbranch_vccnz .LBB52_21
; %bb.20:                               ;   in Loop: Header=BB52_9 Depth=1
	v_lshl_add_u64 v[0:1], v[0:1], 1, v[42:43]
	global_load_ushort v0, v[0:1], off offset:64
	s_waitcnt vmcnt(0)
	v_cvt_f32_f16_e32 v0, v0
	v_mul_f32_e32 v109, v69, v0
.LBB52_21:                              ;   in Loop: Header=BB52_9 Depth=1
	v_add_f32_e32 v116, v29, v36
	v_add_f32_e32 v114, v37, v109
	v_add_f32_e32 v0, 0x40051340, v116
	v_add_f32_e32 v1, 0x40051340, v114
	v_max3_f32 v0, v10, v0, v1
	ds_bpermute_b32 v1, v8, v0
	s_and_b64 vcc, exec, s[4:5]
	s_waitcnt lgkmcnt(0)
	v_max_f32_e32 v1, v1, v1
	v_max_f32_e32 v0, v0, v1
	ds_bpermute_b32 v1, v118, v0
	s_waitcnt lgkmcnt(0)
	v_max_f32_e32 v1, v1, v1
	v_max_f32_e32 v0, v0, v1
	ds_bpermute_b32 v1, v119, v0
	s_waitcnt lgkmcnt(0)
	v_max_f32_e32 v1, v1, v1
	v_max_f32_e32 v0, v0, v1
	ds_bpermute_b32 v1, v120, v0
	s_waitcnt lgkmcnt(0)
	v_max_f32_e32 v1, v1, v1
	v_max_f32_e32 v125, v0, v1
	ds_bpermute_b32 v126, v121, v125
	v_add_u32_e32 v0, v123, v95
	;; [unrolled: 44-line block ×6, first 2 shown]
	v_ashrrev_i32_e32 v1, 31, v0
	s_cbranch_vccnz .LBB52_39
; %bb.38:                               ;   in Loop: Header=BB52_9 Depth=1
	v_lshl_add_u64 v[108:109], v[0:1], 1, v[42:43]
	global_load_ushort v30, v[108:109], off
	s_waitcnt vmcnt(0)
	v_cvt_f32_f16_e32 v30, v30
	v_mul_f32_e32 v30, v69, v30
.LBB52_39:                              ;   in Loop: Header=BB52_9 Depth=1
	s_and_b64 vcc, exec, s[4:5]
	s_cbranch_vccnz .LBB52_41
; %bb.40:                               ;   in Loop: Header=BB52_9 Depth=1
	v_lshl_add_u64 v[0:1], v[0:1], 1, v[42:43]
	global_load_ushort v0, v[0:1], off offset:64
	s_waitcnt vmcnt(0)
	v_cvt_f32_f16_e32 v0, v0
	v_mul_f32_e32 v0, v69, v0
	s_branch .LBB52_42
.LBB52_41:                              ;   in Loop: Header=BB52_9 Depth=1
	v_mov_b32_e32 v0, 0
.LBB52_42:                              ;   in Loop: Header=BB52_9 Depth=1
	v_add_f32_e32 v108, v14, v30
	v_add_f32_e32 v109, v25, v0
	;; [unrolled: 1-line block ×4, first 2 shown]
	v_max3_f32 v0, v106, v1, v0
	ds_bpermute_b32 v1, v8, v0
	s_waitcnt lgkmcnt(1)
	v_max_f32_e32 v14, v27, v27
	v_max_f32_e32 v8, v15, v15
	v_max_f32_e32 v30, v8, v14
	v_max_f32_e32 v8, v29, v29
	s_waitcnt lgkmcnt(0)
	v_max_f32_e32 v1, v1, v1
	v_max_f32_e32 v0, v0, v1
	ds_bpermute_b32 v1, v118, v0
	v_max_f32_e32 v14, v24, v24
	v_max_f32_e32 v29, v14, v8
	v_max_f32_e32 v8, v28, v28
	v_max_f32_e32 v14, v26, v26
	s_waitcnt lgkmcnt(0)
	v_max_f32_e32 v1, v1, v1
	v_max_f32_e32 v0, v0, v1
	ds_bpermute_b32 v1, v119, v0
	;; [unrolled: 8-line block ×4, first 2 shown]
	v_max_f32_e32 v14, v31, v31
	v_max_f32_e32 v25, v14, v8
	;; [unrolled: 1-line block ×5, first 2 shown]
	s_waitcnt lgkmcnt(0)
	v_max_f32_e32 v1, v1, v1
	v_max_f32_e32 v31, v0, v1
	v_sub_f32_e32 v0, v2, v24
	v_mul_f32_e32 v1, 0x3fb8aa3b, v0
	v_fma_f32 v2, v0, s13, -v1
	v_rndne_f32_e32 v8, v1
	v_fmac_f32_e32 v2, 0x32a5705f, v0
	v_sub_f32_e32 v1, v1, v8
	v_add_f32_e32 v1, v1, v2
	v_exp_f32_e32 v1, v1
	v_cvt_i32_f32_e32 v2, v8
	v_sub_f32_e32 v8, v13, v24
	v_cmp_ngt_f32_e32 vcc, s28, v0
	v_sub_f32_e32 v12, v12, v25
	v_ldexp_f32 v1, v1, v2
	v_sub_f32_e32 v2, v3, v24
	v_mul_f32_e32 v3, 0x3fb8aa3b, v2
	v_fma_f32 v13, v2, s13, -v3
	v_rndne_f32_e32 v14, v3
	v_fmac_f32_e32 v13, 0x32a5705f, v2
	v_sub_f32_e32 v3, v3, v14
	v_add_f32_e32 v3, v3, v13
	v_cvt_i32_f32_e32 v13, v14
	v_mul_f32_e32 v14, 0x3fb8aa3b, v8
	v_fma_f32 v15, v8, s13, -v14
	v_rndne_f32_e32 v117, v14
	v_fmac_f32_e32 v15, 0x32a5705f, v8
	v_sub_f32_e32 v14, v14, v117
	v_add_f32_e32 v14, v14, v15
	v_exp_f32_e32 v3, v3
	v_exp_f32_e32 v14, v14
	v_cvt_i32_f32_e32 v15, v117
	v_cndmask_b32_e32 v1, 0, v1, vcc
	v_cmp_nlt_f32_e32 vcc, s29, v0
	v_sub_f32_e32 v36, v36, v27
	v_sub_f32_e32 v34, v34, v28
	v_cndmask_b32_e32 v0, v105, v1, vcc
	v_ldexp_f32 v1, v3, v13
	v_ldexp_f32 v3, v14, v15
	v_cmp_ngt_f32_e32 vcc, s28, v8
	v_sub_f32_e32 v37, v37, v29
	v_sub_f32_e32 v35, v35, v29
	v_cndmask_b32_e32 v3, 0, v3, vcc
	v_cmp_nlt_f32_e32 vcc, s29, v8
	s_mul_hi_i32 s39, s15, s2
	s_mul_i32 s38, s15, s2
	v_cndmask_b32_e32 v8, v105, v3, vcc
	v_cvt_f16_f32_e32 v3, v8
	v_cmp_ngt_f32_e32 vcc, s28, v2
	s_barrier
	s_nop 0
	v_cndmask_b32_e32 v1, 0, v1, vcc
	v_cmp_nlt_f32_e32 vcc, s29, v2
	s_or_b32 s31, s15, 16
	s_nop 0
	v_cndmask_b32_e32 v2, v105, v1, vcc
	v_mul_u32_u24_e32 v1, 0x10001, v3
	v_sub_f32_e32 v3, v110, v25
	v_mul_f32_e32 v13, 0x3fb8aa3b, v3
	v_fma_f32 v14, v3, s13, -v13
	v_rndne_f32_e32 v15, v13
	v_fmac_f32_e32 v14, 0x32a5705f, v3
	v_sub_f32_e32 v13, v13, v15
	v_add_f32_e32 v13, v13, v14
	v_exp_f32_e32 v13, v13
	v_cvt_i32_f32_e32 v14, v15
	v_pk_mul_f16 v110, v90, v1
	v_pk_mul_f16 v90, v91, v1
	v_cmp_ngt_f32_e32 vcc, s28, v3
	v_ldexp_f32 v1, v13, v14
	v_sub_f32_e32 v13, v9, v25
	v_mul_f32_e32 v9, 0x3fb8aa3b, v13
	v_fma_f32 v14, v13, s13, -v9
	v_rndne_f32_e32 v15, v9
	v_fmac_f32_e32 v14, 0x32a5705f, v13
	v_sub_f32_e32 v9, v9, v15
	v_add_f32_e32 v9, v9, v14
	v_cvt_i32_f32_e32 v14, v15
	v_mul_f32_e32 v15, 0x3fb8aa3b, v12
	v_fma_f32 v91, v12, s13, -v15
	v_rndne_f32_e32 v117, v15
	v_fmac_f32_e32 v91, 0x32a5705f, v12
	v_sub_f32_e32 v15, v15, v117
	v_add_f32_e32 v15, v15, v91
	v_exp_f32_e32 v9, v9
	v_exp_f32_e32 v15, v15
	v_cvt_i32_f32_e32 v91, v117
	v_cndmask_b32_e32 v1, 0, v1, vcc
	v_cmp_nlt_f32_e32 vcc, s29, v3
	v_ldexp_f32 v3, v9, v14
	v_ldexp_f32 v9, v15, v91
	v_cndmask_b32_e32 v1, v105, v1, vcc
	v_cmp_ngt_f32_e32 vcc, s28, v12
	s_nop 1
	v_cndmask_b32_e32 v9, 0, v9, vcc
	v_cmp_nlt_f32_e32 vcc, s29, v12
	s_nop 1
	v_cndmask_b32_e32 v9, v105, v9, vcc
	v_cmp_ngt_f32_e32 vcc, s28, v13
	v_cvt_f16_f32_e32 v12, v9
	v_mul_u32_u24_e32 v12, 0x10001, v12
	v_cndmask_b32_e32 v3, 0, v3, vcc
	v_cmp_nlt_f32_e32 vcc, s29, v13
	v_sub_f32_e32 v13, v116, v26
	v_mul_f32_e32 v14, 0x3fb8aa3b, v13
	v_fma_f32 v15, v13, s13, -v14
	v_rndne_f32_e32 v91, v14
	v_fmac_f32_e32 v15, 0x32a5705f, v13
	v_sub_f32_e32 v14, v14, v91
	v_add_f32_e32 v14, v14, v15
	v_exp_f32_e32 v14, v14
	v_cvt_i32_f32_e32 v15, v91
	v_pk_mul_f16 v91, v88, v12
	v_pk_mul_f16 v116, v89, v12
	v_sub_f32_e32 v12, v10, v26
	v_ldexp_f32 v10, v14, v15
	v_sub_f32_e32 v15, v114, v26
	v_mul_f32_e32 v14, 0x3fb8aa3b, v15
	v_fma_f32 v88, v15, s13, -v14
	v_rndne_f32_e32 v89, v14
	v_fmac_f32_e32 v88, 0x32a5705f, v15
	v_sub_f32_e32 v14, v14, v89
	v_add_f32_e32 v14, v14, v88
	v_cvt_i32_f32_e32 v88, v89
	v_mul_f32_e32 v89, 0x3fb8aa3b, v12
	v_fma_f32 v114, v12, s13, -v89
	v_rndne_f32_e32 v117, v89
	v_fmac_f32_e32 v114, 0x32a5705f, v12
	v_sub_f32_e32 v89, v89, v117
	v_add_f32_e32 v89, v89, v114
	v_exp_f32_e32 v14, v14
	v_exp_f32_e32 v89, v89
	v_cvt_i32_f32_e32 v114, v117
	v_cndmask_b32_e32 v3, v105, v3, vcc
	v_cmp_ngt_f32_e32 vcc, s28, v13
	s_nop 1
	v_cndmask_b32_e32 v10, 0, v10, vcc
	v_cmp_nlt_f32_e32 vcc, s29, v13
	v_ldexp_f32 v13, v14, v88
	v_ldexp_f32 v14, v89, v114
	v_cndmask_b32_e32 v10, v105, v10, vcc
	v_cmp_ngt_f32_e32 vcc, s28, v12
	s_nop 1
	v_cndmask_b32_e32 v14, 0, v14, vcc
	v_cmp_nlt_f32_e32 vcc, s29, v12
	s_nop 1
	v_cndmask_b32_e32 v14, v105, v14, vcc
	v_cvt_f16_f32_e32 v88, v14
	v_cmp_ngt_f32_e32 vcc, s28, v15
	s_nop 1
	v_cndmask_b32_e32 v12, 0, v13, vcc
	v_cmp_nlt_f32_e32 vcc, s29, v15
	v_sub_f32_e32 v15, v115, v27
	v_mul_u32_u24_e32 v13, 0x10001, v88
	v_mul_f32_e32 v88, 0x3fb8aa3b, v15
	v_fma_f32 v89, v15, s13, -v88
	v_rndne_f32_e32 v114, v88
	v_fmac_f32_e32 v89, 0x32a5705f, v15
	v_sub_f32_e32 v88, v88, v114
	v_add_f32_e32 v88, v88, v89
	v_exp_f32_e32 v88, v88
	v_cvt_i32_f32_e32 v89, v114
	v_pk_mul_f16 v114, v86, v13
	v_mul_f32_e32 v86, 0x3fb8aa3b, v36
	v_pk_mul_f16 v115, v87, v13
	v_sub_f32_e32 v13, v11, v27
	v_ldexp_f32 v11, v88, v89
	v_fma_f32 v87, v36, s13, -v86
	v_rndne_f32_e32 v88, v86
	v_fmac_f32_e32 v87, 0x32a5705f, v36
	v_sub_f32_e32 v86, v86, v88
	v_add_f32_e32 v86, v86, v87
	v_cvt_i32_f32_e32 v87, v88
	v_mul_f32_e32 v88, 0x3fb8aa3b, v13
	v_fma_f32 v89, v13, s13, -v88
	v_rndne_f32_e32 v117, v88
	v_fmac_f32_e32 v89, 0x32a5705f, v13
	v_sub_f32_e32 v88, v88, v117
	v_add_f32_e32 v88, v88, v89
	v_exp_f32_e32 v88, v88
	v_cvt_i32_f32_e32 v89, v117
	v_cndmask_b32_e32 v12, v105, v12, vcc
	v_cmp_ngt_f32_e32 vcc, s28, v15
	v_exp_f32_e32 v86, v86
	s_nop 0
	v_cndmask_b32_e32 v11, 0, v11, vcc
	v_cmp_nlt_f32_e32 vcc, s29, v15
	v_ldexp_f32 v15, v88, v89
	v_ldexp_f32 v86, v86, v87
	v_cndmask_b32_e32 v11, v105, v11, vcc
	v_cmp_ngt_f32_e32 vcc, s28, v13
	s_nop 1
	v_cndmask_b32_e32 v15, 0, v15, vcc
	v_cmp_nlt_f32_e32 vcc, s29, v13
	s_nop 1
	v_cndmask_b32_e32 v15, v105, v15, vcc
	v_cvt_f16_f32_e32 v87, v15
	v_cmp_ngt_f32_e32 vcc, s28, v36
	s_nop 1
	v_cndmask_b32_e32 v13, 0, v86, vcc
	v_sub_f32_e32 v86, v113, v28
	v_cmp_nlt_f32_e32 vcc, s29, v36
	v_mul_u32_u24_e32 v36, 0x10001, v87
	v_mul_f32_e32 v87, 0x3fb8aa3b, v86
	v_fma_f32 v88, v86, s13, -v87
	v_rndne_f32_e32 v89, v87
	v_fmac_f32_e32 v88, 0x32a5705f, v86
	v_sub_f32_e32 v87, v87, v89
	v_add_f32_e32 v87, v87, v88
	v_exp_f32_e32 v87, v87
	v_cvt_i32_f32_e32 v88, v89
	v_pk_mul_f16 v117, v84, v36
	v_mul_f32_e32 v84, 0x3fb8aa3b, v34
	v_pk_mul_f16 v118, v85, v36
	v_sub_f32_e32 v36, v32, v28
	v_ldexp_f32 v32, v87, v88
	v_fma_f32 v85, v34, s13, -v84
	v_rndne_f32_e32 v87, v84
	v_fmac_f32_e32 v85, 0x32a5705f, v34
	v_sub_f32_e32 v84, v84, v87
	v_add_f32_e32 v84, v84, v85
	v_cvt_i32_f32_e32 v85, v87
	v_mul_f32_e32 v87, 0x3fb8aa3b, v36
	v_fma_f32 v88, v36, s13, -v87
	v_rndne_f32_e32 v89, v87
	v_fmac_f32_e32 v88, 0x32a5705f, v36
	v_sub_f32_e32 v87, v87, v89
	v_add_f32_e32 v87, v87, v88
	v_exp_f32_e32 v84, v84
	v_exp_f32_e32 v87, v87
	v_cvt_i32_f32_e32 v88, v89
	v_cndmask_b32_e32 v13, v105, v13, vcc
	v_cmp_ngt_f32_e32 vcc, s28, v86
	v_ldexp_f32 v84, v84, v85
	v_ldexp_f32 v85, v87, v88
	v_cndmask_b32_e32 v32, 0, v32, vcc
	v_cmp_nlt_f32_e32 vcc, s29, v86
	v_sub_f32_e32 v89, v111, v30
	s_nop 0
	v_cndmask_b32_e32 v32, v105, v32, vcc
	v_cmp_ngt_f32_e32 vcc, s28, v36
	s_nop 1
	v_cndmask_b32_e32 v85, 0, v85, vcc
	v_cmp_nlt_f32_e32 vcc, s29, v36
	s_nop 1
	v_cndmask_b32_e32 v36, v105, v85, vcc
	v_cvt_f16_f32_e32 v85, v36
	v_cmp_ngt_f32_e32 vcc, s28, v34
	s_nop 1
	v_cndmask_b32_e32 v84, 0, v84, vcc
	v_cmp_nlt_f32_e32 vcc, s29, v34
	s_nop 1
	v_cndmask_b32_e32 v34, v105, v84, vcc
	v_mul_u32_u24_e32 v84, 0x10001, v85
	v_mul_f32_e32 v85, 0x3fb8aa3b, v37
	v_fma_f32 v86, v37, s13, -v85
	v_rndne_f32_e32 v87, v85
	v_fmac_f32_e32 v86, 0x32a5705f, v37
	v_sub_f32_e32 v85, v85, v87
	v_add_f32_e32 v85, v85, v86
	v_exp_f32_e32 v85, v85
	v_cvt_i32_f32_e32 v86, v87
	v_pk_mul_f16 v120, v83, v84
	v_mul_f32_e32 v83, 0x3fb8aa3b, v35
	v_pk_mul_f16 v119, v82, v84
	v_sub_f32_e32 v82, v33, v29
	v_ldexp_f32 v33, v85, v86
	v_fma_f32 v84, v35, s13, -v83
	v_rndne_f32_e32 v85, v83
	v_fmac_f32_e32 v84, 0x32a5705f, v35
	v_sub_f32_e32 v83, v83, v85
	v_add_f32_e32 v83, v83, v84
	v_cvt_i32_f32_e32 v84, v85
	v_mul_f32_e32 v85, 0x3fb8aa3b, v82
	v_fma_f32 v86, v82, s13, -v85
	v_rndne_f32_e32 v87, v85
	v_fmac_f32_e32 v86, 0x32a5705f, v82
	v_sub_f32_e32 v85, v85, v87
	v_add_f32_e32 v85, v85, v86
	v_exp_f32_e32 v85, v85
	v_cvt_i32_f32_e32 v86, v87
	v_cmp_ngt_f32_e32 vcc, s28, v37
	v_exp_f32_e32 v83, v83
	v_sub_f32_e32 v87, v107, v30
	v_cndmask_b32_e32 v33, 0, v33, vcc
	v_cmp_nlt_f32_e32 vcc, s29, v37
	v_ldexp_f32 v37, v85, v86
	v_ldexp_f32 v83, v83, v84
	v_cndmask_b32_e32 v33, v105, v33, vcc
	v_cmp_ngt_f32_e32 vcc, s28, v82
	v_sub_f32_e32 v86, v112, v30
	s_nop 0
	v_cndmask_b32_e32 v37, 0, v37, vcc
	v_cmp_nlt_f32_e32 vcc, s29, v82
	s_nop 1
	v_cndmask_b32_e32 v37, v105, v37, vcc
	v_cmp_ngt_f32_e32 vcc, s28, v35
	v_cvt_f16_f32_e32 v82, v37
	v_mul_u32_u24_e32 v82, 0x10001, v82
	v_cndmask_b32_e32 v83, 0, v83, vcc
	v_cmp_nlt_f32_e32 vcc, s29, v35
	v_pk_mul_f16 v121, v78, v82
	v_pk_mul_f16 v122, v79, v82
	v_cndmask_b32_e32 v35, v105, v83, vcc
	v_mul_f32_e32 v83, 0x3fb8aa3b, v86
	v_fma_f32 v84, v86, s13, -v83
	v_rndne_f32_e32 v85, v83
	v_fmac_f32_e32 v84, 0x32a5705f, v86
	v_sub_f32_e32 v83, v83, v85
	v_add_f32_e32 v83, v83, v84
	v_exp_f32_e32 v83, v83
	v_cvt_i32_f32_e32 v84, v85
	v_cmp_ngt_f32_e32 vcc, s28, v86
	v_ldexp_f32 v78, v83, v84
	s_nop 0
	v_cndmask_b32_e32 v88, 0, v78, vcc
	v_mul_f32_e32 v78, 0x3fb8aa3b, v89
	v_fma_f32 v79, v89, s13, -v78
	v_rndne_f32_e32 v82, v78
	v_fmac_f32_e32 v79, 0x32a5705f, v89
	v_sub_f32_e32 v78, v78, v82
	v_add_f32_e32 v78, v78, v79
	v_exp_f32_e32 v107, v78
	v_mul_f32_e32 v78, 0x3fb8aa3b, v87
	v_cvt_i32_f32_e32 v111, v82
	v_fma_f32 v79, v87, s13, -v78
	v_rndne_f32_e32 v82, v78
	v_fmac_f32_e32 v79, 0x32a5705f, v87
	v_sub_f32_e32 v78, v78, v82
	v_add_f32_e32 v78, v78, v79
	v_exp_f32_e32 v112, v78
	v_lshl_add_u64 v[78:79], s[38:39], 2, v[6:7]
	v_cvt_i32_f32_e32 v113, v82
	global_load_dwordx4 v[82:85], v[78:79], off
	v_cmp_nlt_f32_e32 vcc, s29, v86
	v_ldexp_f32 v79, v107, v111
	v_ldexp_f32 v86, v112, v113
	v_cndmask_b32_e32 v78, v105, v88, vcc
	v_cmp_ngt_f32_e32 vcc, s28, v87
	s_mul_hi_i32 s39, s31, s2
	s_mul_i32 s38, s31, s2
	v_cndmask_b32_e32 v86, 0, v86, vcc
	v_cmp_nlt_f32_e32 vcc, s29, v87
	s_or_b32 s31, s15, 32
	s_nop 0
	v_cndmask_b32_e32 v86, v105, v86, vcc
	v_cvt_f16_f32_e32 v87, v86
	v_cmp_ngt_f32_e32 vcc, s28, v89
	s_nop 1
	v_cndmask_b32_e32 v79, 0, v79, vcc
	v_cmp_nlt_f32_e32 vcc, s29, v89
	s_nop 1
	v_cndmask_b32_e32 v112, v105, v79, vcc
	v_mul_u32_u24_e32 v79, 0x10001, v87
	v_sub_f32_e32 v87, v108, v31
	v_mul_f32_e32 v88, 0x3fb8aa3b, v87
	v_fma_f32 v89, v87, s13, -v88
	v_rndne_f32_e32 v107, v88
	v_fmac_f32_e32 v89, 0x32a5705f, v87
	v_sub_f32_e32 v88, v88, v107
	v_add_f32_e32 v88, v88, v89
	v_exp_f32_e32 v88, v88
	v_cvt_i32_f32_e32 v89, v107
	v_pk_mul_f16 v123, v75, v79
	v_pk_mul_f16 v111, v74, v79
	v_sub_f32_e32 v74, v106, v31
	v_ldexp_f32 v75, v88, v89
	v_sub_f32_e32 v88, v109, v31
	v_mul_f32_e32 v79, 0x3fb8aa3b, v88
	v_fma_f32 v89, v88, s13, -v79
	v_rndne_f32_e32 v106, v79
	v_fmac_f32_e32 v89, 0x32a5705f, v88
	v_sub_f32_e32 v79, v79, v106
	v_add_f32_e32 v79, v79, v89
	v_exp_f32_e32 v89, v79
	v_cvt_i32_f32_e32 v106, v106
	v_cmp_ngt_f32_e32 vcc, s28, v87
	s_nop 1
	v_cndmask_b32_e32 v75, 0, v75, vcc
	v_cmp_nlt_f32_e32 vcc, s29, v87
	v_mul_f32_e32 v87, 0x3fb8aa3b, v74
	s_nop 0
	v_cndmask_b32_e32 v79, v105, v75, vcc
	v_ldexp_f32 v75, v89, v106
	v_fma_f32 v89, v74, s13, -v87
	v_rndne_f32_e32 v106, v87
	v_fmac_f32_e32 v89, 0x32a5705f, v74
	v_sub_f32_e32 v87, v87, v106
	v_add_f32_e32 v87, v87, v89
	v_exp_f32_e32 v87, v87
	v_cvt_i32_f32_e32 v89, v106
	v_cmp_ngt_f32_e32 vcc, s28, v88
	v_pk_add_f32 v[106:107], v[32:33], v[34:35]
	s_nop 0
	v_cndmask_b32_e32 v75, 0, v75, vcc
	v_cmp_nlt_f32_e32 vcc, s29, v88
	v_pk_fma_f32 v[20:21], v[20:21], v[36:37], v[106:107]
	s_nop 0
	v_cndmask_b32_e32 v113, v105, v75, vcc
	v_ldexp_f32 v75, v87, v89
	v_cmp_ngt_f32_e32 vcc, s28, v74
	v_pk_add_f32 v[108:109], v[78:79], v[112:113]
	v_pk_add_f32 v[88:89], v[10:11], v[12:13]
	v_cndmask_b32_e32 v75, 0, v75, vcc
	v_cmp_nlt_f32_e32 vcc, s29, v74
	v_pk_fma_f32 v[18:19], v[18:19], v[14:15], v[88:89]
	v_cvt_pk_f16_f32 v89, v78, v79
	v_cndmask_b32_e32 v87, v105, v75, vcc
	v_pk_fma_f32 v[22:23], v[22:23], v[86:87], v[108:109]
	v_cvt_f16_f32_e32 v86, v87
	v_pk_add_f32 v[74:75], v[0:1], v[2:3]
	v_cvt_pk_f16_f32 v88, v32, v33
	v_pk_fma_f32 v[16:17], v[16:17], v[8:9], v[74:75]
	v_mul_u32_u24_e32 v8, 0x10001, v86
	v_pk_mul_f16 v36, v44, v8
	v_pk_mul_f16 v37, v45, v8
	v_cvt_pk_f16_f32 v87, v10, v11
	v_cvt_pk_f16_f32 v86, v0, v1
	v_cvt_pk_f16_f32 v11, v112, v113
	v_cvt_pk_f16_f32 v10, v34, v35
	v_cvt_pk_f16_f32 v9, v12, v13
	v_cvt_pk_f16_f32 v8, v2, v3
	ds_write_b128 v103, v[86:89]
	ds_write_b128 v103, v[8:11] offset:512
	s_waitcnt vmcnt(0)
	ds_write_b128 v101, v[82:85]
	s_waitcnt lgkmcnt(0)
	s_barrier
	ds_read_b128 v[0:3], v100
	ds_read2_b64 v[8:11], v102 offset1:32
	ds_read_b128 v[12:15], v100 offset:16
	ds_read_b128 v[32:35], v100 offset:32
	;; [unrolled: 1-line block ×3, first 2 shown]
	s_waitcnt lgkmcnt(4)
	v_mul_u32_u24_sdwa v44, v0, s30 dst_sel:DWORD dst_unused:UNUSED_PAD src0_sel:WORD_0 src1_sel:DWORD
	v_mul_u32_u24_sdwa v0, v0, s30 dst_sel:DWORD dst_unused:UNUSED_PAD src0_sel:WORD_1 src1_sel:DWORD
	v_mul_u32_u24_sdwa v45, v1, s30 dst_sel:DWORD dst_unused:UNUSED_PAD src0_sel:WORD_0 src1_sel:DWORD
	v_mul_u32_u24_sdwa v1, v1, s30 dst_sel:DWORD dst_unused:UNUSED_PAD src0_sel:WORD_1 src1_sel:DWORD
	;; [unrolled: 2-line block ×4, first 2 shown]
	s_waitcnt lgkmcnt(3)
	v_pk_fma_f16 v78, v8, v44, v110
	v_pk_fma_f16 v79, v8, v0, v91
	v_pk_fma_f16 v86, v8, v45, v114
	v_pk_fma_f16 v87, v8, v1, v117
	v_pk_fma_f16 v88, v8, v74, v119
	v_pk_fma_f16 v89, v8, v2, v121
	v_pk_fma_f16 v91, v8, v75, v111
	v_pk_fma_f16 v8, v8, v3, v36
	v_pk_fma_f16 v36, v9, v44, v90
	v_pk_fma_f16 v0, v9, v0, v116
	v_pk_fma_f16 v44, v9, v45, v115
	v_pk_fma_f16 v1, v9, v1, v118
	v_pk_fma_f16 v45, v9, v74, v120
	v_pk_fma_f16 v2, v9, v2, v122
	v_pk_fma_f16 v74, v9, v75, v123
	v_pk_fma_f16 v3, v9, v3, v37
	s_waitcnt lgkmcnt(2)
	v_mul_u32_u24_sdwa v9, v12, s30 dst_sel:DWORD dst_unused:UNUSED_PAD src0_sel:WORD_0 src1_sel:DWORD
	v_mul_u32_u24_sdwa v12, v12, s30 dst_sel:DWORD dst_unused:UNUSED_PAD src0_sel:WORD_1 src1_sel:DWORD
	v_mul_u32_u24_sdwa v37, v13, s30 dst_sel:DWORD dst_unused:UNUSED_PAD src0_sel:WORD_0 src1_sel:DWORD
	v_mul_u32_u24_sdwa v13, v13, s30 dst_sel:DWORD dst_unused:UNUSED_PAD src0_sel:WORD_1 src1_sel:DWORD
	;; [unrolled: 2-line block ×4, first 2 shown]
	v_pk_fma_f16 v78, v10, v9, v78
	v_pk_fma_f16 v79, v10, v12, v79
	;; [unrolled: 1-line block ×16, first 2 shown]
	ds_read2_b64 v[0:3], v102 offset0:64 offset1:96
	s_waitcnt lgkmcnt(2)
	v_mul_u32_u24_sdwa v15, v32, s30 dst_sel:DWORD dst_unused:UNUSED_PAD src0_sel:WORD_0 src1_sel:DWORD
	v_mul_u32_u24_sdwa v32, v32, s30 dst_sel:DWORD dst_unused:UNUSED_PAD src0_sel:WORD_1 src1_sel:DWORD
	v_mul_u32_u24_sdwa v44, v33, s30 dst_sel:DWORD dst_unused:UNUSED_PAD src0_sel:WORD_0 src1_sel:DWORD
	v_mul_u32_u24_sdwa v33, v33, s30 dst_sel:DWORD dst_unused:UNUSED_PAD src0_sel:WORD_1 src1_sel:DWORD
	;; [unrolled: 2-line block ×4, first 2 shown]
	s_waitcnt lgkmcnt(0)
	v_pk_fma_f16 v75, v0, v15, v78
	v_pk_fma_f16 v78, v0, v32, v79
	;; [unrolled: 1-line block ×16, first 2 shown]
	v_mul_u32_u24_sdwa v11, v82, s30 dst_sel:DWORD dst_unused:UNUSED_PAD src0_sel:WORD_0 src1_sel:DWORD
	v_mul_u32_u24_sdwa v32, v82, s30 dst_sel:DWORD dst_unused:UNUSED_PAD src0_sel:WORD_1 src1_sel:DWORD
	v_mul_u32_u24_sdwa v33, v83, s30 dst_sel:DWORD dst_unused:UNUSED_PAD src0_sel:WORD_0 src1_sel:DWORD
	v_mul_u32_u24_sdwa v34, v83, s30 dst_sel:DWORD dst_unused:UNUSED_PAD src0_sel:WORD_1 src1_sel:DWORD
	;; [unrolled: 2-line block ×4, first 2 shown]
	v_pk_fma_f16 v45, v2, v11, v75
	v_pk_fma_f16 v74, v2, v32, v78
	;; [unrolled: 1-line block ×6, first 2 shown]
	ds_read_b128 v[8:11], v100 offset:64
	v_pk_fma_f16 v78, v2, v34, v86
	v_pk_fma_f16 v79, v2, v35, v87
	;; [unrolled: 1-line block ×10, first 2 shown]
	ds_read2_b64 v[0:3], v102 offset0:128 offset1:160
	ds_read_b128 v[12:15], v100 offset:80
	s_waitcnt lgkmcnt(2)
	v_mul_u32_u24_sdwa v86, v8, s30 dst_sel:DWORD dst_unused:UNUSED_PAD src0_sel:WORD_0 src1_sel:DWORD
	v_mul_u32_u24_sdwa v8, v8, s30 dst_sel:DWORD dst_unused:UNUSED_PAD src0_sel:WORD_1 src1_sel:DWORD
	v_mul_u32_u24_sdwa v87, v9, s30 dst_sel:DWORD dst_unused:UNUSED_PAD src0_sel:WORD_0 src1_sel:DWORD
	v_mul_u32_u24_sdwa v9, v9, s30 dst_sel:DWORD dst_unused:UNUSED_PAD src0_sel:WORD_1 src1_sel:DWORD
	v_mul_u32_u24_sdwa v88, v10, s30 dst_sel:DWORD dst_unused:UNUSED_PAD src0_sel:WORD_0 src1_sel:DWORD
	v_mul_u32_u24_sdwa v10, v10, s30 dst_sel:DWORD dst_unused:UNUSED_PAD src0_sel:WORD_1 src1_sel:DWORD
	v_mul_u32_u24_sdwa v89, v11, s30 dst_sel:DWORD dst_unused:UNUSED_PAD src0_sel:WORD_0 src1_sel:DWORD
	v_mul_u32_u24_sdwa v11, v11, s30 dst_sel:DWORD dst_unused:UNUSED_PAD src0_sel:WORD_1 src1_sel:DWORD
	s_waitcnt lgkmcnt(1)
	v_pk_fma_f16 v45, v0, v86, v45
	v_pk_fma_f16 v74, v0, v8, v74
	;; [unrolled: 1-line block ×16, first 2 shown]
	s_waitcnt lgkmcnt(0)
	v_mul_u32_u24_sdwa v11, v12, s30 dst_sel:DWORD dst_unused:UNUSED_PAD src0_sel:WORD_0 src1_sel:DWORD
	v_mul_u32_u24_sdwa v12, v12, s30 dst_sel:DWORD dst_unused:UNUSED_PAD src0_sel:WORD_1 src1_sel:DWORD
	v_mul_u32_u24_sdwa v35, v13, s30 dst_sel:DWORD dst_unused:UNUSED_PAD src0_sel:WORD_0 src1_sel:DWORD
	v_mul_u32_u24_sdwa v13, v13, s30 dst_sel:DWORD dst_unused:UNUSED_PAD src0_sel:WORD_1 src1_sel:DWORD
	;; [unrolled: 2-line block ×4, first 2 shown]
	v_pk_fma_f16 v44, v2, v11, v45
	v_pk_fma_f16 v45, v2, v12, v74
	;; [unrolled: 1-line block ×11, first 2 shown]
	ds_read_b128 v[8:11], v100 offset:96
	v_pk_fma_f16 v79, v2, v14, v82
	v_pk_fma_f16 v82, v2, v37, v83
	;; [unrolled: 1-line block ×5, first 2 shown]
	ds_read2_b64 v[0:3], v102 offset0:192 offset1:224
	ds_read_b128 v[12:15], v100 offset:112
	s_waitcnt lgkmcnt(2)
	v_mul_u32_u24_sdwa v86, v8, s30 dst_sel:DWORD dst_unused:UNUSED_PAD src0_sel:WORD_0 src1_sel:DWORD
	v_mul_u32_u24_sdwa v8, v8, s30 dst_sel:DWORD dst_unused:UNUSED_PAD src0_sel:WORD_1 src1_sel:DWORD
	v_mul_u32_u24_sdwa v87, v9, s30 dst_sel:DWORD dst_unused:UNUSED_PAD src0_sel:WORD_0 src1_sel:DWORD
	v_mul_u32_u24_sdwa v9, v9, s30 dst_sel:DWORD dst_unused:UNUSED_PAD src0_sel:WORD_1 src1_sel:DWORD
	;; [unrolled: 2-line block ×4, first 2 shown]
	s_waitcnt lgkmcnt(1)
	v_pk_fma_f16 v44, v0, v86, v44
	v_pk_fma_f16 v45, v0, v8, v45
	v_pk_fma_f16 v74, v0, v87, v74
	v_pk_fma_f16 v75, v0, v9, v75
	v_pk_fma_f16 v78, v0, v88, v78
	v_pk_fma_f16 v79, v0, v10, v79
	v_pk_fma_f16 v82, v0, v89, v82
	v_pk_fma_f16 v0, v0, v11, v83
	v_pk_fma_f16 v83, v1, v86, v84
	v_pk_fma_f16 v8, v1, v8, v85
	v_pk_fma_f16 v32, v1, v87, v32
	v_pk_fma_f16 v9, v1, v9, v35
	v_pk_fma_f16 v33, v1, v88, v33
	v_pk_fma_f16 v10, v1, v10, v36
	v_pk_fma_f16 v34, v1, v89, v34
	v_pk_fma_f16 v1, v1, v11, v37
	s_waitcnt lgkmcnt(0)
	v_mul_u32_u24_sdwa v11, v12, s30 dst_sel:DWORD dst_unused:UNUSED_PAD src0_sel:WORD_0 src1_sel:DWORD
	v_mul_u32_u24_sdwa v12, v12, s30 dst_sel:DWORD dst_unused:UNUSED_PAD src0_sel:WORD_1 src1_sel:DWORD
	v_mul_u32_u24_sdwa v35, v13, s30 dst_sel:DWORD dst_unused:UNUSED_PAD src0_sel:WORD_0 src1_sel:DWORD
	v_mul_u32_u24_sdwa v13, v13, s30 dst_sel:DWORD dst_unused:UNUSED_PAD src0_sel:WORD_1 src1_sel:DWORD
	;; [unrolled: 2-line block ×4, first 2 shown]
	v_pk_fma_f16 v44, v2, v11, v44
	v_pk_fma_f16 v45, v2, v12, v45
	;; [unrolled: 1-line block ×12, first 2 shown]
	ds_read_b128 v[8:11], v100 offset:128
	v_add_u32_e32 v0, 0x800, v102
	v_pk_fma_f16 v85, v3, v35, v32
	v_pk_fma_f16 v36, v3, v36, v33
	;; [unrolled: 1-line block ×4, first 2 shown]
	ds_read2_b64 v[12:15], v0 offset1:32
	ds_read_b128 v[32:35], v100 offset:144
	s_waitcnt lgkmcnt(2)
	v_mul_u32_u24_sdwa v3, v8, s30 dst_sel:DWORD dst_unused:UNUSED_PAD src0_sel:WORD_0 src1_sel:DWORD
	v_mul_u32_u24_sdwa v8, v8, s30 dst_sel:DWORD dst_unused:UNUSED_PAD src0_sel:WORD_1 src1_sel:DWORD
	v_mul_u32_u24_sdwa v88, v9, s30 dst_sel:DWORD dst_unused:UNUSED_PAD src0_sel:WORD_0 src1_sel:DWORD
	v_mul_u32_u24_sdwa v9, v9, s30 dst_sel:DWORD dst_unused:UNUSED_PAD src0_sel:WORD_1 src1_sel:DWORD
	;; [unrolled: 2-line block ×4, first 2 shown]
	s_waitcnt lgkmcnt(1)
	v_pk_fma_f16 v44, v12, v3, v44
	v_pk_fma_f16 v45, v12, v8, v45
	;; [unrolled: 1-line block ×16, first 2 shown]
	s_waitcnt lgkmcnt(0)
	v_mul_u32_u24_sdwa v11, v32, s30 dst_sel:DWORD dst_unused:UNUSED_PAD src0_sel:WORD_0 src1_sel:DWORD
	v_mul_u32_u24_sdwa v13, v32, s30 dst_sel:DWORD dst_unused:UNUSED_PAD src0_sel:WORD_1 src1_sel:DWORD
	v_mul_u32_u24_sdwa v32, v33, s30 dst_sel:DWORD dst_unused:UNUSED_PAD src0_sel:WORD_0 src1_sel:DWORD
	v_mul_u32_u24_sdwa v33, v33, s30 dst_sel:DWORD dst_unused:UNUSED_PAD src0_sel:WORD_1 src1_sel:DWORD
	;; [unrolled: 2-line block ×4, first 2 shown]
	v_pk_fma_f16 v44, v14, v11, v44
	v_pk_fma_f16 v78, v14, v83, v78
	;; [unrolled: 1-line block ×7, first 2 shown]
	ds_read_b128 v[8:11], v100 offset:160
	v_pk_fma_f16 v45, v14, v13, v45
	v_pk_fma_f16 v74, v14, v32, v74
	;; [unrolled: 1-line block ×9, first 2 shown]
	ds_read2_b64 v[12:15], v0 offset0:64 offset1:96
	ds_read_b128 v[32:35], v100 offset:176
	s_waitcnt lgkmcnt(2)
	v_mul_u32_u24_sdwa v84, v8, s30 dst_sel:DWORD dst_unused:UNUSED_PAD src0_sel:WORD_0 src1_sel:DWORD
	v_mul_u32_u24_sdwa v8, v8, s30 dst_sel:DWORD dst_unused:UNUSED_PAD src0_sel:WORD_1 src1_sel:DWORD
	v_mul_u32_u24_sdwa v88, v9, s30 dst_sel:DWORD dst_unused:UNUSED_PAD src0_sel:WORD_0 src1_sel:DWORD
	v_mul_u32_u24_sdwa v9, v9, s30 dst_sel:DWORD dst_unused:UNUSED_PAD src0_sel:WORD_1 src1_sel:DWORD
	;; [unrolled: 2-line block ×4, first 2 shown]
	s_waitcnt lgkmcnt(1)
	v_pk_fma_f16 v44, v12, v84, v44
	v_pk_fma_f16 v45, v12, v8, v45
	;; [unrolled: 1-line block ×16, first 2 shown]
	s_waitcnt lgkmcnt(0)
	v_mul_u32_u24_sdwa v11, v32, s30 dst_sel:DWORD dst_unused:UNUSED_PAD src0_sel:WORD_0 src1_sel:DWORD
	v_mul_u32_u24_sdwa v13, v32, s30 dst_sel:DWORD dst_unused:UNUSED_PAD src0_sel:WORD_1 src1_sel:DWORD
	v_mul_u32_u24_sdwa v32, v33, s30 dst_sel:DWORD dst_unused:UNUSED_PAD src0_sel:WORD_0 src1_sel:DWORD
	v_mul_u32_u24_sdwa v33, v33, s30 dst_sel:DWORD dst_unused:UNUSED_PAD src0_sel:WORD_1 src1_sel:DWORD
	;; [unrolled: 2-line block ×3, first 2 shown]
	v_pk_fma_f16 v44, v14, v11, v44
	v_pk_fma_f16 v3, v15, v11, v3
	;; [unrolled: 1-line block ×5, first 2 shown]
	ds_read_b128 v[8:11], v100 offset:192
	v_mul_u32_u24_sdwa v84, v35, s30 dst_sel:DWORD dst_unused:UNUSED_PAD src0_sel:WORD_0 src1_sel:DWORD
	v_mul_u32_u24_sdwa v35, v35, s30 dst_sel:DWORD dst_unused:UNUSED_PAD src0_sel:WORD_1 src1_sel:DWORD
	v_pk_fma_f16 v45, v14, v13, v45
	v_pk_fma_f16 v74, v14, v32, v74
	;; [unrolled: 1-line block ×11, first 2 shown]
	ds_read2_b64 v[12:15], v0 offset0:128 offset1:160
	ds_read_b128 v[32:35], v100 offset:208
	s_waitcnt lgkmcnt(2)
	v_mul_u32_u24_sdwa v83, v8, s30 dst_sel:DWORD dst_unused:UNUSED_PAD src0_sel:WORD_0 src1_sel:DWORD
	v_mul_u32_u24_sdwa v112, v8, s30 dst_sel:DWORD dst_unused:UNUSED_PAD src0_sel:WORD_1 src1_sel:DWORD
	v_mul_u32_u24_sdwa v113, v9, s30 dst_sel:DWORD dst_unused:UNUSED_PAD src0_sel:WORD_0 src1_sel:DWORD
	v_mul_u32_u24_sdwa v114, v9, s30 dst_sel:DWORD dst_unused:UNUSED_PAD src0_sel:WORD_1 src1_sel:DWORD
	;; [unrolled: 2-line block ×4, first 2 shown]
	s_waitcnt lgkmcnt(1)
	v_pk_fma_f16 v44, v12, v83, v44
	v_pk_fma_f16 v45, v12, v112, v45
	;; [unrolled: 1-line block ×9, first 2 shown]
	v_lshl_add_u64 v[2:3], s[38:39], 2, v[6:7]
	ds_read2_b64 v[8:11], v0 offset0:192 offset1:224
	ds_read_b128 v[82:85], v100 offset:224
	ds_read_b128 v[86:89], v100 offset:240
	s_waitcnt lgkmcnt(0)
	s_barrier
	global_load_dwordx4 v[106:109], v[2:3], off
	v_pk_fma_f16 v2, v13, v112, v90
	v_pk_fma_f16 v3, v13, v113, v91
	v_pk_fma_f16 v90, v13, v114, v110
	v_pk_fma_f16 v36, v13, v115, v36
	v_pk_fma_f16 v91, v13, v116, v111
	v_pk_fma_f16 v37, v13, v117, v37
	v_pk_fma_f16 v1, v13, v118, v1
	v_mul_u32_u24_sdwa v13, v32, s30 dst_sel:DWORD dst_unused:UNUSED_PAD src0_sel:WORD_0 src1_sel:DWORD
	v_mul_u32_u24_sdwa v32, v32, s30 dst_sel:DWORD dst_unused:UNUSED_PAD src0_sel:WORD_1 src1_sel:DWORD
	v_mul_u32_u24_sdwa v110, v33, s30 dst_sel:DWORD dst_unused:UNUSED_PAD src0_sel:WORD_0 src1_sel:DWORD
	v_mul_u32_u24_sdwa v33, v33, s30 dst_sel:DWORD dst_unused:UNUSED_PAD src0_sel:WORD_1 src1_sel:DWORD
	v_mul_u32_u24_sdwa v111, v34, s30 dst_sel:DWORD dst_unused:UNUSED_PAD src0_sel:WORD_0 src1_sel:DWORD
	v_mul_u32_u24_sdwa v34, v34, s30 dst_sel:DWORD dst_unused:UNUSED_PAD src0_sel:WORD_1 src1_sel:DWORD
	v_mul_u32_u24_sdwa v112, v35, s30 dst_sel:DWORD dst_unused:UNUSED_PAD src0_sel:WORD_0 src1_sel:DWORD
	v_mul_u32_u24_sdwa v35, v35, s30 dst_sel:DWORD dst_unused:UNUSED_PAD src0_sel:WORD_1 src1_sel:DWORD
	v_pk_fma_f16 v44, v14, v13, v44
	v_pk_fma_f16 v45, v14, v32, v45
	v_pk_fma_f16 v74, v14, v110, v74
	v_pk_fma_f16 v75, v14, v33, v75
	v_pk_fma_f16 v78, v14, v111, v78
	v_pk_fma_f16 v79, v14, v34, v79
	v_pk_fma_f16 v113, v14, v112, v119
	v_pk_fma_f16 v12, v14, v35, v12
	v_pk_fma_f16 v13, v15, v13, v120
	v_pk_fma_f16 v2, v15, v32, v2
	v_pk_fma_f16 v3, v15, v110, v3
	v_pk_fma_f16 v14, v15, v33, v90
	v_pk_fma_f16 v32, v15, v111, v36
	v_pk_fma_f16 v33, v15, v34, v91
	v_pk_fma_f16 v34, v15, v112, v37
	v_pk_fma_f16 v1, v15, v35, v1
	v_mul_u32_u24_sdwa v15, v82, s30 dst_sel:DWORD dst_unused:UNUSED_PAD src0_sel:WORD_0 src1_sel:DWORD
	v_mul_u32_u24_sdwa v35, v82, s30 dst_sel:DWORD dst_unused:UNUSED_PAD src0_sel:WORD_1 src1_sel:DWORD
	v_mul_u32_u24_sdwa v36, v83, s30 dst_sel:DWORD dst_unused:UNUSED_PAD src0_sel:WORD_0 src1_sel:DWORD
	v_mul_u32_u24_sdwa v37, v83, s30 dst_sel:DWORD dst_unused:UNUSED_PAD src0_sel:WORD_1 src1_sel:DWORD
	v_mul_u32_u24_sdwa v82, v84, s30 dst_sel:DWORD dst_unused:UNUSED_PAD src0_sel:WORD_0 src1_sel:DWORD
	v_mul_u32_u24_sdwa v83, v84, s30 dst_sel:DWORD dst_unused:UNUSED_PAD src0_sel:WORD_1 src1_sel:DWORD
	v_mul_u32_u24_sdwa v84, v85, s30 dst_sel:DWORD dst_unused:UNUSED_PAD src0_sel:WORD_0 src1_sel:DWORD
	v_mul_u32_u24_sdwa v85, v85, s30 dst_sel:DWORD dst_unused:UNUSED_PAD src0_sel:WORD_1 src1_sel:DWORD
	v_pk_fma_f16 v44, v8, v15, v44
	v_pk_fma_f16 v45, v8, v35, v45
	v_pk_fma_f16 v74, v8, v36, v74
	v_pk_fma_f16 v75, v8, v37, v75
	v_pk_fma_f16 v78, v8, v82, v78
	v_pk_fma_f16 v79, v8, v83, v79
	v_pk_fma_f16 v90, v8, v84, v113
	v_pk_fma_f16 v8, v8, v85, v12
	v_pk_fma_f16 v12, v9, v15, v13
	;; [unrolled: 24-line block ×3, first 2 shown]
	v_pk_fma_f16 v2, v11, v33, v2
	v_pk_fma_f16 v3, v11, v34, v3
	v_pk_fma_f16 v111, v11, v35, v13
	v_pk_fma_f16 v36, v11, v36, v14
	v_pk_fma_f16 v37, v11, v37, v15
	v_pk_fma_f16 v112, v11, v82, v32
	v_pk_fma_f16 v1, v11, v83, v1
	s_waitcnt vmcnt(0)
	ds_write_b128 v101, v[106:109]
	s_waitcnt lgkmcnt(0)
	s_barrier
	ds_read_b128 v[8:11], v100 offset:256
	ds_read2_b64 v[12:15], v102 offset1:32
	ds_read_b128 v[32:35], v100 offset:272
	ds_read_b128 v[82:85], v100 offset:288
	;; [unrolled: 1-line block ×3, first 2 shown]
	s_waitcnt lgkmcnt(4)
	v_mul_u32_u24_sdwa v106, v8, s30 dst_sel:DWORD dst_unused:UNUSED_PAD src0_sel:WORD_0 src1_sel:DWORD
	v_mul_u32_u24_sdwa v8, v8, s30 dst_sel:DWORD dst_unused:UNUSED_PAD src0_sel:WORD_1 src1_sel:DWORD
	v_mul_u32_u24_sdwa v107, v9, s30 dst_sel:DWORD dst_unused:UNUSED_PAD src0_sel:WORD_0 src1_sel:DWORD
	v_mul_u32_u24_sdwa v9, v9, s30 dst_sel:DWORD dst_unused:UNUSED_PAD src0_sel:WORD_1 src1_sel:DWORD
	;; [unrolled: 2-line block ×4, first 2 shown]
	s_waitcnt lgkmcnt(3)
	v_pk_fma_f16 v44, v12, v106, v44
	v_pk_fma_f16 v45, v12, v8, v45
	;; [unrolled: 1-line block ×16, first 2 shown]
	s_waitcnt lgkmcnt(2)
	v_mul_u32_u24_sdwa v11, v32, s30 dst_sel:DWORD dst_unused:UNUSED_PAD src0_sel:WORD_0 src1_sel:DWORD
	v_mul_u32_u24_sdwa v13, v32, s30 dst_sel:DWORD dst_unused:UNUSED_PAD src0_sel:WORD_1 src1_sel:DWORD
	v_mul_u32_u24_sdwa v32, v33, s30 dst_sel:DWORD dst_unused:UNUSED_PAD src0_sel:WORD_0 src1_sel:DWORD
	v_mul_u32_u24_sdwa v33, v33, s30 dst_sel:DWORD dst_unused:UNUSED_PAD src0_sel:WORD_1 src1_sel:DWORD
	;; [unrolled: 2-line block ×4, first 2 shown]
	v_pk_fma_f16 v44, v14, v11, v44
	v_pk_fma_f16 v45, v14, v13, v45
	;; [unrolled: 1-line block ×14, first 2 shown]
	ds_read2_b64 v[8:11], v102 offset0:64 offset1:96
	v_pk_fma_f16 v34, v15, v106, v36
	v_pk_fma_f16 v1, v15, v35, v1
	s_waitcnt lgkmcnt(2)
	v_mul_u32_u24_sdwa v15, v82, s30 dst_sel:DWORD dst_unused:UNUSED_PAD src0_sel:WORD_0 src1_sel:DWORD
	v_mul_u32_u24_sdwa v35, v82, s30 dst_sel:DWORD dst_unused:UNUSED_PAD src0_sel:WORD_1 src1_sel:DWORD
	v_mul_u32_u24_sdwa v36, v83, s30 dst_sel:DWORD dst_unused:UNUSED_PAD src0_sel:WORD_0 src1_sel:DWORD
	v_mul_u32_u24_sdwa v37, v83, s30 dst_sel:DWORD dst_unused:UNUSED_PAD src0_sel:WORD_1 src1_sel:DWORD
	v_mul_u32_u24_sdwa v82, v84, s30 dst_sel:DWORD dst_unused:UNUSED_PAD src0_sel:WORD_0 src1_sel:DWORD
	v_mul_u32_u24_sdwa v83, v84, s30 dst_sel:DWORD dst_unused:UNUSED_PAD src0_sel:WORD_1 src1_sel:DWORD
	v_mul_u32_u24_sdwa v84, v85, s30 dst_sel:DWORD dst_unused:UNUSED_PAD src0_sel:WORD_0 src1_sel:DWORD
	v_mul_u32_u24_sdwa v85, v85, s30 dst_sel:DWORD dst_unused:UNUSED_PAD src0_sel:WORD_1 src1_sel:DWORD
	s_waitcnt lgkmcnt(0)
	v_pk_fma_f16 v44, v8, v15, v44
	v_pk_fma_f16 v45, v8, v35, v45
	;; [unrolled: 1-line block ×16, first 2 shown]
	v_mul_u32_u24_sdwa v9, v86, s30 dst_sel:DWORD dst_unused:UNUSED_PAD src0_sel:WORD_0 src1_sel:DWORD
	v_mul_u32_u24_sdwa v35, v87, s30 dst_sel:DWORD dst_unused:UNUSED_PAD src0_sel:WORD_1 src1_sel:DWORD
	v_mul_u32_u24_sdwa v36, v88, s30 dst_sel:DWORD dst_unused:UNUSED_PAD src0_sel:WORD_0 src1_sel:DWORD
	v_mul_u32_u24_sdwa v37, v88, s30 dst_sel:DWORD dst_unused:UNUSED_PAD src0_sel:WORD_1 src1_sel:DWORD
	v_mul_u32_u24_sdwa v33, v86, s30 dst_sel:DWORD dst_unused:UNUSED_PAD src0_sel:WORD_1 src1_sel:DWORD
	v_mul_u32_u24_sdwa v34, v87, s30 dst_sel:DWORD dst_unused:UNUSED_PAD src0_sel:WORD_0 src1_sel:DWORD
	v_mul_u32_u24_sdwa v82, v89, s30 dst_sel:DWORD dst_unused:UNUSED_PAD src0_sel:WORD_0 src1_sel:DWORD
	v_mul_u32_u24_sdwa v83, v89, s30 dst_sel:DWORD dst_unused:UNUSED_PAD src0_sel:WORD_1 src1_sel:DWORD
	v_pk_fma_f16 v78, v10, v36, v78
	v_pk_fma_f16 v79, v10, v37, v79
	;; [unrolled: 1-line block ×6, first 2 shown]
	ds_read_b128 v[12:15], v100 offset:320
	v_pk_fma_f16 v44, v10, v9, v44
	v_pk_fma_f16 v45, v10, v33, v45
	;; [unrolled: 1-line block ×10, first 2 shown]
	ds_read2_b64 v[8:11], v102 offset0:128 offset1:160
	ds_read_b128 v[32:35], v100 offset:336
	s_waitcnt lgkmcnt(2)
	v_mul_u32_u24_sdwa v83, v12, s30 dst_sel:DWORD dst_unused:UNUSED_PAD src0_sel:WORD_0 src1_sel:DWORD
	v_mul_u32_u24_sdwa v12, v12, s30 dst_sel:DWORD dst_unused:UNUSED_PAD src0_sel:WORD_1 src1_sel:DWORD
	v_mul_u32_u24_sdwa v88, v13, s30 dst_sel:DWORD dst_unused:UNUSED_PAD src0_sel:WORD_0 src1_sel:DWORD
	v_mul_u32_u24_sdwa v13, v13, s30 dst_sel:DWORD dst_unused:UNUSED_PAD src0_sel:WORD_1 src1_sel:DWORD
	v_mul_u32_u24_sdwa v89, v14, s30 dst_sel:DWORD dst_unused:UNUSED_PAD src0_sel:WORD_0 src1_sel:DWORD
	v_mul_u32_u24_sdwa v14, v14, s30 dst_sel:DWORD dst_unused:UNUSED_PAD src0_sel:WORD_1 src1_sel:DWORD
	v_mul_u32_u24_sdwa v90, v15, s30 dst_sel:DWORD dst_unused:UNUSED_PAD src0_sel:WORD_0 src1_sel:DWORD
	v_mul_u32_u24_sdwa v15, v15, s30 dst_sel:DWORD dst_unused:UNUSED_PAD src0_sel:WORD_1 src1_sel:DWORD
	s_waitcnt lgkmcnt(1)
	v_pk_fma_f16 v44, v8, v83, v44
	v_pk_fma_f16 v45, v8, v12, v45
	;; [unrolled: 1-line block ×16, first 2 shown]
	s_waitcnt lgkmcnt(0)
	v_mul_u32_u24_sdwa v9, v32, s30 dst_sel:DWORD dst_unused:UNUSED_PAD src0_sel:WORD_0 src1_sel:DWORD
	v_mul_u32_u24_sdwa v15, v32, s30 dst_sel:DWORD dst_unused:UNUSED_PAD src0_sel:WORD_1 src1_sel:DWORD
	v_mul_u32_u24_sdwa v32, v33, s30 dst_sel:DWORD dst_unused:UNUSED_PAD src0_sel:WORD_0 src1_sel:DWORD
	v_mul_u32_u24_sdwa v33, v33, s30 dst_sel:DWORD dst_unused:UNUSED_PAD src0_sel:WORD_1 src1_sel:DWORD
	;; [unrolled: 2-line block ×4, first 2 shown]
	v_pk_fma_f16 v45, v10, v15, v45
	v_pk_fma_f16 v78, v10, v37, v78
	;; [unrolled: 1-line block ×6, first 2 shown]
	ds_read_b128 v[12:15], v100 offset:352
	v_pk_fma_f16 v44, v10, v9, v44
	v_pk_fma_f16 v74, v10, v32, v74
	;; [unrolled: 1-line block ×10, first 2 shown]
	ds_read2_b64 v[8:11], v102 offset0:192 offset1:224
	ds_read_b128 v[32:35], v100 offset:368
	s_waitcnt lgkmcnt(2)
	v_mul_u32_u24_sdwa v82, v12, s30 dst_sel:DWORD dst_unused:UNUSED_PAD src0_sel:WORD_0 src1_sel:DWORD
	v_mul_u32_u24_sdwa v12, v12, s30 dst_sel:DWORD dst_unused:UNUSED_PAD src0_sel:WORD_1 src1_sel:DWORD
	v_mul_u32_u24_sdwa v88, v13, s30 dst_sel:DWORD dst_unused:UNUSED_PAD src0_sel:WORD_0 src1_sel:DWORD
	v_mul_u32_u24_sdwa v13, v13, s30 dst_sel:DWORD dst_unused:UNUSED_PAD src0_sel:WORD_1 src1_sel:DWORD
	;; [unrolled: 2-line block ×4, first 2 shown]
	s_waitcnt lgkmcnt(1)
	v_pk_fma_f16 v44, v8, v82, v44
	v_pk_fma_f16 v45, v8, v12, v45
	v_pk_fma_f16 v74, v8, v88, v74
	v_pk_fma_f16 v75, v8, v13, v75
	v_pk_fma_f16 v78, v8, v89, v78
	v_pk_fma_f16 v79, v8, v14, v79
	v_pk_fma_f16 v84, v8, v90, v84
	v_pk_fma_f16 v8, v8, v15, v85
	v_pk_fma_f16 v82, v9, v82, v83
	v_pk_fma_f16 v2, v9, v12, v2
	v_pk_fma_f16 v3, v9, v88, v3
	v_pk_fma_f16 v12, v9, v13, v86
	v_pk_fma_f16 v13, v9, v89, v37
	v_pk_fma_f16 v14, v9, v14, v87
	v_pk_fma_f16 v36, v9, v90, v36
	v_pk_fma_f16 v1, v9, v15, v1
	s_waitcnt lgkmcnt(0)
	v_mul_u32_u24_sdwa v9, v32, s30 dst_sel:DWORD dst_unused:UNUSED_PAD src0_sel:WORD_0 src1_sel:DWORD
	v_mul_u32_u24_sdwa v15, v32, s30 dst_sel:DWORD dst_unused:UNUSED_PAD src0_sel:WORD_1 src1_sel:DWORD
	v_mul_u32_u24_sdwa v32, v33, s30 dst_sel:DWORD dst_unused:UNUSED_PAD src0_sel:WORD_0 src1_sel:DWORD
	v_mul_u32_u24_sdwa v33, v33, s30 dst_sel:DWORD dst_unused:UNUSED_PAD src0_sel:WORD_1 src1_sel:DWORD
	;; [unrolled: 2-line block ×4, first 2 shown]
	v_pk_fma_f16 v45, v10, v15, v45
	v_pk_fma_f16 v78, v10, v37, v78
	;; [unrolled: 1-line block ×6, first 2 shown]
	ds_read_b128 v[12:15], v100 offset:384
	v_pk_fma_f16 v44, v10, v9, v44
	v_pk_fma_f16 v74, v10, v32, v74
	;; [unrolled: 1-line block ×10, first 2 shown]
	ds_read2_b64 v[8:11], v0 offset1:32
	ds_read_b128 v[32:35], v100 offset:400
	s_waitcnt lgkmcnt(2)
	v_mul_u32_u24_sdwa v83, v12, s30 dst_sel:DWORD dst_unused:UNUSED_PAD src0_sel:WORD_0 src1_sel:DWORD
	v_mul_u32_u24_sdwa v12, v12, s30 dst_sel:DWORD dst_unused:UNUSED_PAD src0_sel:WORD_1 src1_sel:DWORD
	v_mul_u32_u24_sdwa v88, v13, s30 dst_sel:DWORD dst_unused:UNUSED_PAD src0_sel:WORD_0 src1_sel:DWORD
	v_mul_u32_u24_sdwa v13, v13, s30 dst_sel:DWORD dst_unused:UNUSED_PAD src0_sel:WORD_1 src1_sel:DWORD
	;; [unrolled: 2-line block ×4, first 2 shown]
	s_waitcnt lgkmcnt(1)
	v_pk_fma_f16 v44, v8, v83, v44
	v_pk_fma_f16 v45, v8, v12, v45
	;; [unrolled: 1-line block ×16, first 2 shown]
	s_waitcnt lgkmcnt(0)
	v_mul_u32_u24_sdwa v9, v32, s30 dst_sel:DWORD dst_unused:UNUSED_PAD src0_sel:WORD_0 src1_sel:DWORD
	v_mul_u32_u24_sdwa v15, v32, s30 dst_sel:DWORD dst_unused:UNUSED_PAD src0_sel:WORD_1 src1_sel:DWORD
	v_mul_u32_u24_sdwa v32, v33, s30 dst_sel:DWORD dst_unused:UNUSED_PAD src0_sel:WORD_0 src1_sel:DWORD
	v_mul_u32_u24_sdwa v33, v33, s30 dst_sel:DWORD dst_unused:UNUSED_PAD src0_sel:WORD_1 src1_sel:DWORD
	v_mul_u32_u24_sdwa v37, v34, s30 dst_sel:DWORD dst_unused:UNUSED_PAD src0_sel:WORD_0 src1_sel:DWORD
	v_mul_u32_u24_sdwa v34, v34, s30 dst_sel:DWORD dst_unused:UNUSED_PAD src0_sel:WORD_1 src1_sel:DWORD
	v_mul_u32_u24_sdwa v83, v35, s30 dst_sel:DWORD dst_unused:UNUSED_PAD src0_sel:WORD_0 src1_sel:DWORD
	v_mul_u32_u24_sdwa v35, v35, s30 dst_sel:DWORD dst_unused:UNUSED_PAD src0_sel:WORD_1 src1_sel:DWORD
	v_pk_fma_f16 v45, v10, v15, v45
	v_pk_fma_f16 v78, v10, v37, v78
	;; [unrolled: 1-line block ×6, first 2 shown]
	ds_read_b128 v[12:15], v100 offset:416
	v_pk_fma_f16 v44, v10, v9, v44
	v_pk_fma_f16 v74, v10, v32, v74
	;; [unrolled: 1-line block ×10, first 2 shown]
	ds_read2_b64 v[8:11], v0 offset0:64 offset1:96
	ds_read_b128 v[32:35], v100 offset:432
	s_waitcnt lgkmcnt(2)
	v_mul_u32_u24_sdwa v83, v12, s30 dst_sel:DWORD dst_unused:UNUSED_PAD src0_sel:WORD_0 src1_sel:DWORD
	v_mul_u32_u24_sdwa v12, v12, s30 dst_sel:DWORD dst_unused:UNUSED_PAD src0_sel:WORD_1 src1_sel:DWORD
	v_mul_u32_u24_sdwa v88, v13, s30 dst_sel:DWORD dst_unused:UNUSED_PAD src0_sel:WORD_0 src1_sel:DWORD
	v_mul_u32_u24_sdwa v13, v13, s30 dst_sel:DWORD dst_unused:UNUSED_PAD src0_sel:WORD_1 src1_sel:DWORD
	;; [unrolled: 2-line block ×4, first 2 shown]
	s_waitcnt lgkmcnt(1)
	v_pk_fma_f16 v44, v8, v83, v44
	v_pk_fma_f16 v45, v8, v12, v45
	;; [unrolled: 1-line block ×16, first 2 shown]
	s_waitcnt lgkmcnt(0)
	v_mul_u32_u24_sdwa v9, v32, s30 dst_sel:DWORD dst_unused:UNUSED_PAD src0_sel:WORD_0 src1_sel:DWORD
	v_mul_u32_u24_sdwa v15, v32, s30 dst_sel:DWORD dst_unused:UNUSED_PAD src0_sel:WORD_1 src1_sel:DWORD
	v_mul_u32_u24_sdwa v32, v33, s30 dst_sel:DWORD dst_unused:UNUSED_PAD src0_sel:WORD_0 src1_sel:DWORD
	v_mul_u32_u24_sdwa v33, v33, s30 dst_sel:DWORD dst_unused:UNUSED_PAD src0_sel:WORD_1 src1_sel:DWORD
	;; [unrolled: 2-line block ×3, first 2 shown]
	v_pk_fma_f16 v45, v10, v15, v45
	v_pk_fma_f16 v78, v10, v37, v78
	;; [unrolled: 1-line block ×6, first 2 shown]
	ds_read_b128 v[12:15], v100 offset:448
	v_mul_u32_u24_sdwa v83, v35, s30 dst_sel:DWORD dst_unused:UNUSED_PAD src0_sel:WORD_0 src1_sel:DWORD
	v_mul_u32_u24_sdwa v35, v35, s30 dst_sel:DWORD dst_unused:UNUSED_PAD src0_sel:WORD_1 src1_sel:DWORD
	v_pk_fma_f16 v44, v10, v9, v44
	v_pk_fma_f16 v74, v10, v32, v74
	;; [unrolled: 1-line block ×10, first 2 shown]
	ds_read2_b64 v[8:11], v0 offset0:128 offset1:160
	ds_read_b128 v[32:35], v100 offset:464
	s_waitcnt lgkmcnt(2)
	v_mul_u32_u24_sdwa v2, v12, s30 dst_sel:DWORD dst_unused:UNUSED_PAD src0_sel:WORD_0 src1_sel:DWORD
	s_mul_hi_i32 s39, s31, s2
	s_mul_i32 s38, s31, s2
	v_mul_u32_u24_sdwa v112, v12, s30 dst_sel:DWORD dst_unused:UNUSED_PAD src0_sel:WORD_1 src1_sel:DWORD
	v_mul_u32_u24_sdwa v113, v13, s30 dst_sel:DWORD dst_unused:UNUSED_PAD src0_sel:WORD_0 src1_sel:DWORD
	v_mul_u32_u24_sdwa v114, v13, s30 dst_sel:DWORD dst_unused:UNUSED_PAD src0_sel:WORD_1 src1_sel:DWORD
	v_mul_u32_u24_sdwa v115, v14, s30 dst_sel:DWORD dst_unused:UNUSED_PAD src0_sel:WORD_0 src1_sel:DWORD
	;; [unrolled: 2-line block ×3, first 2 shown]
	v_mul_u32_u24_sdwa v118, v15, s30 dst_sel:DWORD dst_unused:UNUSED_PAD src0_sel:WORD_1 src1_sel:DWORD
	s_waitcnt lgkmcnt(1)
	v_pk_fma_f16 v44, v8, v2, v44
	v_pk_fma_f16 v120, v9, v2, v82
	v_lshl_add_u64 v[2:3], s[38:39], 2, v[6:7]
	v_pk_fma_f16 v45, v8, v112, v45
	v_pk_fma_f16 v74, v8, v113, v74
	v_pk_fma_f16 v75, v8, v114, v75
	v_pk_fma_f16 v78, v8, v115, v78
	v_pk_fma_f16 v79, v8, v116, v79
	v_pk_fma_f16 v119, v8, v117, v84
	v_pk_fma_f16 v8, v8, v118, v85
	ds_read2_b64 v[12:15], v0 offset0:192 offset1:224
	ds_read_b128 v[82:85], v100 offset:480
	ds_read_b128 v[86:89], v100 offset:496
	s_waitcnt lgkmcnt(0)
	s_barrier
	global_load_dwordx4 v[106:109], v[2:3], off
	v_pk_fma_f16 v2, v9, v112, v90
	v_pk_fma_f16 v3, v9, v113, v91
	v_pk_fma_f16 v90, v9, v114, v110
	v_pk_fma_f16 v37, v9, v115, v37
	v_pk_fma_f16 v91, v9, v116, v111
	v_pk_fma_f16 v36, v9, v117, v36
	v_pk_fma_f16 v1, v9, v118, v1
	v_mul_u32_u24_sdwa v9, v32, s30 dst_sel:DWORD dst_unused:UNUSED_PAD src0_sel:WORD_0 src1_sel:DWORD
	v_mul_u32_u24_sdwa v32, v32, s30 dst_sel:DWORD dst_unused:UNUSED_PAD src0_sel:WORD_1 src1_sel:DWORD
	v_mul_u32_u24_sdwa v110, v33, s30 dst_sel:DWORD dst_unused:UNUSED_PAD src0_sel:WORD_0 src1_sel:DWORD
	v_mul_u32_u24_sdwa v33, v33, s30 dst_sel:DWORD dst_unused:UNUSED_PAD src0_sel:WORD_1 src1_sel:DWORD
	v_mul_u32_u24_sdwa v111, v34, s30 dst_sel:DWORD dst_unused:UNUSED_PAD src0_sel:WORD_0 src1_sel:DWORD
	v_mul_u32_u24_sdwa v34, v34, s30 dst_sel:DWORD dst_unused:UNUSED_PAD src0_sel:WORD_1 src1_sel:DWORD
	v_mul_u32_u24_sdwa v112, v35, s30 dst_sel:DWORD dst_unused:UNUSED_PAD src0_sel:WORD_0 src1_sel:DWORD
	v_mul_u32_u24_sdwa v35, v35, s30 dst_sel:DWORD dst_unused:UNUSED_PAD src0_sel:WORD_1 src1_sel:DWORD
	v_pk_fma_f16 v44, v10, v9, v44
	v_pk_fma_f16 v45, v10, v32, v45
	v_pk_fma_f16 v74, v10, v110, v74
	v_pk_fma_f16 v75, v10, v33, v75
	v_pk_fma_f16 v78, v10, v111, v78
	v_pk_fma_f16 v79, v10, v34, v79
	v_pk_fma_f16 v113, v10, v112, v119
	v_pk_fma_f16 v8, v10, v35, v8
	v_pk_fma_f16 v9, v11, v9, v120
	v_pk_fma_f16 v2, v11, v32, v2
	v_pk_fma_f16 v3, v11, v110, v3
	v_pk_fma_f16 v10, v11, v33, v90
	v_pk_fma_f16 v32, v11, v111, v37
	v_pk_fma_f16 v33, v11, v34, v91
	v_pk_fma_f16 v34, v11, v112, v36
	v_pk_fma_f16 v1, v11, v35, v1
	v_mul_u32_u24_sdwa v11, v82, s30 dst_sel:DWORD dst_unused:UNUSED_PAD src0_sel:WORD_0 src1_sel:DWORD
	v_mul_u32_u24_sdwa v35, v82, s30 dst_sel:DWORD dst_unused:UNUSED_PAD src0_sel:WORD_1 src1_sel:DWORD
	v_mul_u32_u24_sdwa v36, v83, s30 dst_sel:DWORD dst_unused:UNUSED_PAD src0_sel:WORD_0 src1_sel:DWORD
	v_mul_u32_u24_sdwa v37, v83, s30 dst_sel:DWORD dst_unused:UNUSED_PAD src0_sel:WORD_1 src1_sel:DWORD
	v_mul_u32_u24_sdwa v82, v84, s30 dst_sel:DWORD dst_unused:UNUSED_PAD src0_sel:WORD_0 src1_sel:DWORD
	v_mul_u32_u24_sdwa v83, v84, s30 dst_sel:DWORD dst_unused:UNUSED_PAD src0_sel:WORD_1 src1_sel:DWORD
	v_mul_u32_u24_sdwa v84, v85, s30 dst_sel:DWORD dst_unused:UNUSED_PAD src0_sel:WORD_0 src1_sel:DWORD
	v_mul_u32_u24_sdwa v85, v85, s30 dst_sel:DWORD dst_unused:UNUSED_PAD src0_sel:WORD_1 src1_sel:DWORD
	v_pk_fma_f16 v44, v12, v11, v44
	v_pk_fma_f16 v45, v12, v35, v45
	v_pk_fma_f16 v74, v12, v36, v74
	v_pk_fma_f16 v75, v12, v37, v75
	v_pk_fma_f16 v78, v12, v82, v78
	v_pk_fma_f16 v79, v12, v83, v79
	v_pk_fma_f16 v90, v12, v84, v113
	v_pk_fma_f16 v8, v12, v85, v8
	v_pk_fma_f16 v9, v13, v11, v9
	;; [unrolled: 24-line block ×3, first 2 shown]
	v_pk_fma_f16 v2, v15, v33, v2
	v_pk_fma_f16 v3, v15, v34, v3
	;; [unrolled: 1-line block ×7, first 2 shown]
	s_waitcnt vmcnt(0)
	ds_write_b128 v101, v[106:109]
	s_waitcnt lgkmcnt(0)
	s_barrier
	ds_read_b128 v[8:11], v100 offset:512
	ds_read2_b64 v[12:15], v102 offset1:32
	ds_read_b128 v[32:35], v100 offset:528
	ds_read_b128 v[82:85], v100 offset:544
	;; [unrolled: 1-line block ×3, first 2 shown]
	s_waitcnt lgkmcnt(4)
	v_mul_u32_u24_sdwa v106, v8, s30 dst_sel:DWORD dst_unused:UNUSED_PAD src0_sel:WORD_0 src1_sel:DWORD
	v_mul_u32_u24_sdwa v8, v8, s30 dst_sel:DWORD dst_unused:UNUSED_PAD src0_sel:WORD_1 src1_sel:DWORD
	v_mul_u32_u24_sdwa v107, v9, s30 dst_sel:DWORD dst_unused:UNUSED_PAD src0_sel:WORD_0 src1_sel:DWORD
	v_mul_u32_u24_sdwa v9, v9, s30 dst_sel:DWORD dst_unused:UNUSED_PAD src0_sel:WORD_1 src1_sel:DWORD
	;; [unrolled: 2-line block ×4, first 2 shown]
	s_waitcnt lgkmcnt(3)
	v_pk_fma_f16 v44, v12, v106, v44
	v_pk_fma_f16 v45, v12, v8, v45
	;; [unrolled: 1-line block ×16, first 2 shown]
	s_waitcnt lgkmcnt(2)
	v_mul_u32_u24_sdwa v11, v32, s30 dst_sel:DWORD dst_unused:UNUSED_PAD src0_sel:WORD_0 src1_sel:DWORD
	v_mul_u32_u24_sdwa v13, v32, s30 dst_sel:DWORD dst_unused:UNUSED_PAD src0_sel:WORD_1 src1_sel:DWORD
	v_mul_u32_u24_sdwa v32, v33, s30 dst_sel:DWORD dst_unused:UNUSED_PAD src0_sel:WORD_0 src1_sel:DWORD
	v_mul_u32_u24_sdwa v33, v33, s30 dst_sel:DWORD dst_unused:UNUSED_PAD src0_sel:WORD_1 src1_sel:DWORD
	;; [unrolled: 2-line block ×4, first 2 shown]
	v_pk_fma_f16 v44, v14, v11, v44
	v_pk_fma_f16 v45, v14, v13, v45
	;; [unrolled: 1-line block ×14, first 2 shown]
	ds_read2_b64 v[8:11], v102 offset0:64 offset1:96
	v_pk_fma_f16 v34, v15, v106, v36
	v_pk_fma_f16 v1, v15, v35, v1
	s_waitcnt lgkmcnt(2)
	v_mul_u32_u24_sdwa v15, v82, s30 dst_sel:DWORD dst_unused:UNUSED_PAD src0_sel:WORD_0 src1_sel:DWORD
	v_mul_u32_u24_sdwa v35, v82, s30 dst_sel:DWORD dst_unused:UNUSED_PAD src0_sel:WORD_1 src1_sel:DWORD
	v_mul_u32_u24_sdwa v36, v83, s30 dst_sel:DWORD dst_unused:UNUSED_PAD src0_sel:WORD_0 src1_sel:DWORD
	v_mul_u32_u24_sdwa v37, v83, s30 dst_sel:DWORD dst_unused:UNUSED_PAD src0_sel:WORD_1 src1_sel:DWORD
	;; [unrolled: 2-line block ×4, first 2 shown]
	s_waitcnt lgkmcnt(0)
	v_pk_fma_f16 v44, v8, v15, v44
	v_pk_fma_f16 v45, v8, v35, v45
	v_pk_fma_f16 v74, v8, v36, v74
	v_pk_fma_f16 v75, v8, v37, v75
	v_pk_fma_f16 v78, v8, v82, v78
	v_pk_fma_f16 v79, v8, v83, v79
	v_pk_fma_f16 v90, v8, v84, v90
	v_pk_fma_f16 v8, v8, v85, v12
	v_pk_fma_f16 v12, v9, v15, v14
	v_pk_fma_f16 v2, v9, v35, v2
	v_pk_fma_f16 v3, v9, v36, v3
	v_pk_fma_f16 v13, v9, v37, v13
	v_pk_fma_f16 v14, v9, v82, v32
	v_pk_fma_f16 v15, v9, v83, v33
	v_pk_fma_f16 v32, v9, v84, v34
	v_pk_fma_f16 v1, v9, v85, v1
	v_mul_u32_u24_sdwa v9, v86, s30 dst_sel:DWORD dst_unused:UNUSED_PAD src0_sel:WORD_0 src1_sel:DWORD
	v_mul_u32_u24_sdwa v35, v87, s30 dst_sel:DWORD dst_unused:UNUSED_PAD src0_sel:WORD_1 src1_sel:DWORD
	v_mul_u32_u24_sdwa v36, v88, s30 dst_sel:DWORD dst_unused:UNUSED_PAD src0_sel:WORD_0 src1_sel:DWORD
	v_mul_u32_u24_sdwa v37, v88, s30 dst_sel:DWORD dst_unused:UNUSED_PAD src0_sel:WORD_1 src1_sel:DWORD
	v_mul_u32_u24_sdwa v33, v86, s30 dst_sel:DWORD dst_unused:UNUSED_PAD src0_sel:WORD_1 src1_sel:DWORD
	v_mul_u32_u24_sdwa v34, v87, s30 dst_sel:DWORD dst_unused:UNUSED_PAD src0_sel:WORD_0 src1_sel:DWORD
	v_mul_u32_u24_sdwa v82, v89, s30 dst_sel:DWORD dst_unused:UNUSED_PAD src0_sel:WORD_0 src1_sel:DWORD
	v_mul_u32_u24_sdwa v83, v89, s30 dst_sel:DWORD dst_unused:UNUSED_PAD src0_sel:WORD_1 src1_sel:DWORD
	v_pk_fma_f16 v78, v10, v36, v78
	v_pk_fma_f16 v79, v10, v37, v79
	;; [unrolled: 1-line block ×6, first 2 shown]
	ds_read_b128 v[12:15], v100 offset:576
	v_pk_fma_f16 v44, v10, v9, v44
	v_pk_fma_f16 v45, v10, v33, v45
	;; [unrolled: 1-line block ×10, first 2 shown]
	ds_read2_b64 v[8:11], v102 offset0:128 offset1:160
	ds_read_b128 v[32:35], v100 offset:592
	s_waitcnt lgkmcnt(2)
	v_mul_u32_u24_sdwa v83, v12, s30 dst_sel:DWORD dst_unused:UNUSED_PAD src0_sel:WORD_0 src1_sel:DWORD
	v_mul_u32_u24_sdwa v12, v12, s30 dst_sel:DWORD dst_unused:UNUSED_PAD src0_sel:WORD_1 src1_sel:DWORD
	v_mul_u32_u24_sdwa v88, v13, s30 dst_sel:DWORD dst_unused:UNUSED_PAD src0_sel:WORD_0 src1_sel:DWORD
	v_mul_u32_u24_sdwa v13, v13, s30 dst_sel:DWORD dst_unused:UNUSED_PAD src0_sel:WORD_1 src1_sel:DWORD
	;; [unrolled: 2-line block ×4, first 2 shown]
	s_waitcnt lgkmcnt(1)
	v_pk_fma_f16 v44, v8, v83, v44
	v_pk_fma_f16 v45, v8, v12, v45
	;; [unrolled: 1-line block ×16, first 2 shown]
	s_waitcnt lgkmcnt(0)
	v_mul_u32_u24_sdwa v9, v32, s30 dst_sel:DWORD dst_unused:UNUSED_PAD src0_sel:WORD_0 src1_sel:DWORD
	v_mul_u32_u24_sdwa v15, v32, s30 dst_sel:DWORD dst_unused:UNUSED_PAD src0_sel:WORD_1 src1_sel:DWORD
	v_mul_u32_u24_sdwa v32, v33, s30 dst_sel:DWORD dst_unused:UNUSED_PAD src0_sel:WORD_0 src1_sel:DWORD
	v_mul_u32_u24_sdwa v33, v33, s30 dst_sel:DWORD dst_unused:UNUSED_PAD src0_sel:WORD_1 src1_sel:DWORD
	;; [unrolled: 2-line block ×4, first 2 shown]
	v_pk_fma_f16 v45, v10, v15, v45
	v_pk_fma_f16 v78, v10, v37, v78
	;; [unrolled: 1-line block ×6, first 2 shown]
	ds_read_b128 v[12:15], v100 offset:608
	v_pk_fma_f16 v44, v10, v9, v44
	v_pk_fma_f16 v74, v10, v32, v74
	;; [unrolled: 1-line block ×10, first 2 shown]
	ds_read2_b64 v[8:11], v102 offset0:192 offset1:224
	ds_read_b128 v[32:35], v100 offset:624
	s_waitcnt lgkmcnt(2)
	v_mul_u32_u24_sdwa v82, v12, s30 dst_sel:DWORD dst_unused:UNUSED_PAD src0_sel:WORD_0 src1_sel:DWORD
	v_mul_u32_u24_sdwa v12, v12, s30 dst_sel:DWORD dst_unused:UNUSED_PAD src0_sel:WORD_1 src1_sel:DWORD
	v_mul_u32_u24_sdwa v88, v13, s30 dst_sel:DWORD dst_unused:UNUSED_PAD src0_sel:WORD_0 src1_sel:DWORD
	v_mul_u32_u24_sdwa v13, v13, s30 dst_sel:DWORD dst_unused:UNUSED_PAD src0_sel:WORD_1 src1_sel:DWORD
	;; [unrolled: 2-line block ×4, first 2 shown]
	s_waitcnt lgkmcnt(1)
	v_pk_fma_f16 v44, v8, v82, v44
	v_pk_fma_f16 v45, v8, v12, v45
	;; [unrolled: 1-line block ×16, first 2 shown]
	s_waitcnt lgkmcnt(0)
	v_mul_u32_u24_sdwa v9, v32, s30 dst_sel:DWORD dst_unused:UNUSED_PAD src0_sel:WORD_0 src1_sel:DWORD
	v_mul_u32_u24_sdwa v15, v32, s30 dst_sel:DWORD dst_unused:UNUSED_PAD src0_sel:WORD_1 src1_sel:DWORD
	v_mul_u32_u24_sdwa v32, v33, s30 dst_sel:DWORD dst_unused:UNUSED_PAD src0_sel:WORD_0 src1_sel:DWORD
	v_mul_u32_u24_sdwa v33, v33, s30 dst_sel:DWORD dst_unused:UNUSED_PAD src0_sel:WORD_1 src1_sel:DWORD
	;; [unrolled: 2-line block ×4, first 2 shown]
	v_pk_fma_f16 v45, v10, v15, v45
	v_pk_fma_f16 v78, v10, v37, v78
	;; [unrolled: 1-line block ×6, first 2 shown]
	ds_read_b128 v[12:15], v100 offset:640
	v_pk_fma_f16 v44, v10, v9, v44
	v_pk_fma_f16 v74, v10, v32, v74
	;; [unrolled: 1-line block ×10, first 2 shown]
	ds_read2_b64 v[8:11], v0 offset1:32
	ds_read_b128 v[32:35], v100 offset:656
	s_waitcnt lgkmcnt(2)
	v_mul_u32_u24_sdwa v83, v12, s30 dst_sel:DWORD dst_unused:UNUSED_PAD src0_sel:WORD_0 src1_sel:DWORD
	v_mul_u32_u24_sdwa v12, v12, s30 dst_sel:DWORD dst_unused:UNUSED_PAD src0_sel:WORD_1 src1_sel:DWORD
	v_mul_u32_u24_sdwa v88, v13, s30 dst_sel:DWORD dst_unused:UNUSED_PAD src0_sel:WORD_0 src1_sel:DWORD
	v_mul_u32_u24_sdwa v13, v13, s30 dst_sel:DWORD dst_unused:UNUSED_PAD src0_sel:WORD_1 src1_sel:DWORD
	v_mul_u32_u24_sdwa v89, v14, s30 dst_sel:DWORD dst_unused:UNUSED_PAD src0_sel:WORD_0 src1_sel:DWORD
	v_mul_u32_u24_sdwa v14, v14, s30 dst_sel:DWORD dst_unused:UNUSED_PAD src0_sel:WORD_1 src1_sel:DWORD
	v_mul_u32_u24_sdwa v90, v15, s30 dst_sel:DWORD dst_unused:UNUSED_PAD src0_sel:WORD_0 src1_sel:DWORD
	v_mul_u32_u24_sdwa v15, v15, s30 dst_sel:DWORD dst_unused:UNUSED_PAD src0_sel:WORD_1 src1_sel:DWORD
	s_waitcnt lgkmcnt(1)
	v_pk_fma_f16 v44, v8, v83, v44
	v_pk_fma_f16 v45, v8, v12, v45
	;; [unrolled: 1-line block ×16, first 2 shown]
	s_waitcnt lgkmcnt(0)
	v_mul_u32_u24_sdwa v9, v32, s30 dst_sel:DWORD dst_unused:UNUSED_PAD src0_sel:WORD_0 src1_sel:DWORD
	v_mul_u32_u24_sdwa v15, v32, s30 dst_sel:DWORD dst_unused:UNUSED_PAD src0_sel:WORD_1 src1_sel:DWORD
	v_mul_u32_u24_sdwa v32, v33, s30 dst_sel:DWORD dst_unused:UNUSED_PAD src0_sel:WORD_0 src1_sel:DWORD
	v_mul_u32_u24_sdwa v33, v33, s30 dst_sel:DWORD dst_unused:UNUSED_PAD src0_sel:WORD_1 src1_sel:DWORD
	;; [unrolled: 2-line block ×4, first 2 shown]
	v_pk_fma_f16 v45, v10, v15, v45
	v_pk_fma_f16 v78, v10, v37, v78
	;; [unrolled: 1-line block ×6, first 2 shown]
	ds_read_b128 v[12:15], v100 offset:672
	v_pk_fma_f16 v44, v10, v9, v44
	v_pk_fma_f16 v74, v10, v32, v74
	;; [unrolled: 1-line block ×10, first 2 shown]
	ds_read2_b64 v[8:11], v0 offset0:64 offset1:96
	ds_read_b128 v[32:35], v100 offset:688
	s_waitcnt lgkmcnt(2)
	v_mul_u32_u24_sdwa v83, v12, s30 dst_sel:DWORD dst_unused:UNUSED_PAD src0_sel:WORD_0 src1_sel:DWORD
	v_mul_u32_u24_sdwa v12, v12, s30 dst_sel:DWORD dst_unused:UNUSED_PAD src0_sel:WORD_1 src1_sel:DWORD
	v_mul_u32_u24_sdwa v88, v13, s30 dst_sel:DWORD dst_unused:UNUSED_PAD src0_sel:WORD_0 src1_sel:DWORD
	v_mul_u32_u24_sdwa v13, v13, s30 dst_sel:DWORD dst_unused:UNUSED_PAD src0_sel:WORD_1 src1_sel:DWORD
	;; [unrolled: 2-line block ×4, first 2 shown]
	s_waitcnt lgkmcnt(1)
	v_pk_fma_f16 v44, v8, v83, v44
	v_pk_fma_f16 v45, v8, v12, v45
	v_pk_fma_f16 v74, v8, v88, v74
	v_pk_fma_f16 v75, v8, v13, v75
	v_pk_fma_f16 v78, v8, v89, v78
	v_pk_fma_f16 v79, v8, v14, v79
	v_pk_fma_f16 v84, v8, v90, v84
	v_pk_fma_f16 v8, v8, v15, v85
	v_pk_fma_f16 v82, v9, v83, v82
	v_pk_fma_f16 v2, v9, v12, v2
	v_pk_fma_f16 v3, v9, v88, v3
	v_pk_fma_f16 v12, v9, v13, v86
	v_pk_fma_f16 v13, v9, v89, v37
	v_pk_fma_f16 v14, v9, v14, v87
	v_pk_fma_f16 v36, v9, v90, v36
	v_pk_fma_f16 v1, v9, v15, v1
	s_waitcnt lgkmcnt(0)
	v_mul_u32_u24_sdwa v9, v32, s30 dst_sel:DWORD dst_unused:UNUSED_PAD src0_sel:WORD_0 src1_sel:DWORD
	v_mul_u32_u24_sdwa v15, v32, s30 dst_sel:DWORD dst_unused:UNUSED_PAD src0_sel:WORD_1 src1_sel:DWORD
	v_mul_u32_u24_sdwa v32, v33, s30 dst_sel:DWORD dst_unused:UNUSED_PAD src0_sel:WORD_0 src1_sel:DWORD
	v_mul_u32_u24_sdwa v33, v33, s30 dst_sel:DWORD dst_unused:UNUSED_PAD src0_sel:WORD_1 src1_sel:DWORD
	;; [unrolled: 2-line block ×3, first 2 shown]
	v_pk_fma_f16 v45, v10, v15, v45
	v_pk_fma_f16 v78, v10, v37, v78
	;; [unrolled: 1-line block ×6, first 2 shown]
	ds_read_b128 v[12:15], v100 offset:704
	v_mul_u32_u24_sdwa v83, v35, s30 dst_sel:DWORD dst_unused:UNUSED_PAD src0_sel:WORD_0 src1_sel:DWORD
	v_mul_u32_u24_sdwa v35, v35, s30 dst_sel:DWORD dst_unused:UNUSED_PAD src0_sel:WORD_1 src1_sel:DWORD
	v_pk_fma_f16 v44, v10, v9, v44
	v_pk_fma_f16 v74, v10, v32, v74
	;; [unrolled: 1-line block ×10, first 2 shown]
	ds_read2_b64 v[8:11], v0 offset0:128 offset1:160
	ds_read_b128 v[32:35], v100 offset:720
	s_or_b32 s31, s15, 48
	s_waitcnt lgkmcnt(2)
	v_mul_u32_u24_sdwa v2, v12, s30 dst_sel:DWORD dst_unused:UNUSED_PAD src0_sel:WORD_0 src1_sel:DWORD
	s_mul_hi_i32 s39, s31, s2
	s_mul_i32 s38, s31, s2
	v_mul_u32_u24_sdwa v112, v12, s30 dst_sel:DWORD dst_unused:UNUSED_PAD src0_sel:WORD_1 src1_sel:DWORD
	v_mul_u32_u24_sdwa v113, v13, s30 dst_sel:DWORD dst_unused:UNUSED_PAD src0_sel:WORD_0 src1_sel:DWORD
	v_mul_u32_u24_sdwa v114, v13, s30 dst_sel:DWORD dst_unused:UNUSED_PAD src0_sel:WORD_1 src1_sel:DWORD
	v_mul_u32_u24_sdwa v115, v14, s30 dst_sel:DWORD dst_unused:UNUSED_PAD src0_sel:WORD_0 src1_sel:DWORD
	;; [unrolled: 2-line block ×3, first 2 shown]
	v_mul_u32_u24_sdwa v118, v15, s30 dst_sel:DWORD dst_unused:UNUSED_PAD src0_sel:WORD_1 src1_sel:DWORD
	s_waitcnt lgkmcnt(1)
	v_pk_fma_f16 v44, v8, v2, v44
	v_pk_fma_f16 v120, v9, v2, v82
	v_lshl_add_u64 v[2:3], s[38:39], 2, v[6:7]
	v_pk_fma_f16 v45, v8, v112, v45
	v_pk_fma_f16 v74, v8, v113, v74
	;; [unrolled: 1-line block ×7, first 2 shown]
	ds_read2_b64 v[12:15], v0 offset0:192 offset1:224
	ds_read_b128 v[82:85], v100 offset:736
	ds_read_b128 v[86:89], v100 offset:752
	s_waitcnt lgkmcnt(0)
	s_barrier
	global_load_dwordx4 v[106:109], v[2:3], off
	v_pk_fma_f16 v2, v9, v112, v90
	v_pk_fma_f16 v3, v9, v113, v91
	v_pk_fma_f16 v90, v9, v114, v110
	v_pk_fma_f16 v37, v9, v115, v37
	v_pk_fma_f16 v91, v9, v116, v111
	v_pk_fma_f16 v36, v9, v117, v36
	v_pk_fma_f16 v1, v9, v118, v1
	v_mul_u32_u24_sdwa v9, v32, s30 dst_sel:DWORD dst_unused:UNUSED_PAD src0_sel:WORD_0 src1_sel:DWORD
	v_mul_u32_u24_sdwa v32, v32, s30 dst_sel:DWORD dst_unused:UNUSED_PAD src0_sel:WORD_1 src1_sel:DWORD
	v_mul_u32_u24_sdwa v110, v33, s30 dst_sel:DWORD dst_unused:UNUSED_PAD src0_sel:WORD_0 src1_sel:DWORD
	v_mul_u32_u24_sdwa v33, v33, s30 dst_sel:DWORD dst_unused:UNUSED_PAD src0_sel:WORD_1 src1_sel:DWORD
	v_mul_u32_u24_sdwa v111, v34, s30 dst_sel:DWORD dst_unused:UNUSED_PAD src0_sel:WORD_0 src1_sel:DWORD
	v_mul_u32_u24_sdwa v34, v34, s30 dst_sel:DWORD dst_unused:UNUSED_PAD src0_sel:WORD_1 src1_sel:DWORD
	v_mul_u32_u24_sdwa v112, v35, s30 dst_sel:DWORD dst_unused:UNUSED_PAD src0_sel:WORD_0 src1_sel:DWORD
	v_mul_u32_u24_sdwa v35, v35, s30 dst_sel:DWORD dst_unused:UNUSED_PAD src0_sel:WORD_1 src1_sel:DWORD
	v_pk_fma_f16 v44, v10, v9, v44
	v_pk_fma_f16 v45, v10, v32, v45
	v_pk_fma_f16 v74, v10, v110, v74
	v_pk_fma_f16 v75, v10, v33, v75
	v_pk_fma_f16 v78, v10, v111, v78
	v_pk_fma_f16 v79, v10, v34, v79
	v_pk_fma_f16 v113, v10, v112, v119
	v_pk_fma_f16 v8, v10, v35, v8
	v_pk_fma_f16 v9, v11, v9, v120
	v_pk_fma_f16 v2, v11, v32, v2
	v_pk_fma_f16 v3, v11, v110, v3
	v_pk_fma_f16 v10, v11, v33, v90
	v_pk_fma_f16 v32, v11, v111, v37
	v_pk_fma_f16 v33, v11, v34, v91
	v_pk_fma_f16 v34, v11, v112, v36
	v_pk_fma_f16 v1, v11, v35, v1
	v_mul_u32_u24_sdwa v11, v82, s30 dst_sel:DWORD dst_unused:UNUSED_PAD src0_sel:WORD_0 src1_sel:DWORD
	v_mul_u32_u24_sdwa v35, v82, s30 dst_sel:DWORD dst_unused:UNUSED_PAD src0_sel:WORD_1 src1_sel:DWORD
	v_mul_u32_u24_sdwa v36, v83, s30 dst_sel:DWORD dst_unused:UNUSED_PAD src0_sel:WORD_0 src1_sel:DWORD
	v_mul_u32_u24_sdwa v37, v83, s30 dst_sel:DWORD dst_unused:UNUSED_PAD src0_sel:WORD_1 src1_sel:DWORD
	v_mul_u32_u24_sdwa v82, v84, s30 dst_sel:DWORD dst_unused:UNUSED_PAD src0_sel:WORD_0 src1_sel:DWORD
	v_mul_u32_u24_sdwa v83, v84, s30 dst_sel:DWORD dst_unused:UNUSED_PAD src0_sel:WORD_1 src1_sel:DWORD
	v_mul_u32_u24_sdwa v84, v85, s30 dst_sel:DWORD dst_unused:UNUSED_PAD src0_sel:WORD_0 src1_sel:DWORD
	v_mul_u32_u24_sdwa v85, v85, s30 dst_sel:DWORD dst_unused:UNUSED_PAD src0_sel:WORD_1 src1_sel:DWORD
	v_pk_fma_f16 v44, v12, v11, v44
	v_pk_fma_f16 v45, v12, v35, v45
	v_pk_fma_f16 v74, v12, v36, v74
	v_pk_fma_f16 v75, v12, v37, v75
	v_pk_fma_f16 v78, v12, v82, v78
	v_pk_fma_f16 v79, v12, v83, v79
	v_pk_fma_f16 v90, v12, v84, v113
	v_pk_fma_f16 v8, v12, v85, v8
	v_pk_fma_f16 v9, v13, v11, v9
	;; [unrolled: 24-line block ×3, first 2 shown]
	v_pk_fma_f16 v2, v15, v33, v2
	v_pk_fma_f16 v3, v15, v34, v3
	;; [unrolled: 1-line block ×7, first 2 shown]
	s_waitcnt vmcnt(0)
	ds_write_b128 v101, v[106:109]
	s_waitcnt lgkmcnt(0)
	s_barrier
	ds_read_b128 v[8:11], v100 offset:768
	ds_read2_b64 v[12:15], v102 offset1:32
	ds_read_b128 v[32:35], v100 offset:784
	ds_read_b128 v[82:85], v100 offset:800
	;; [unrolled: 1-line block ×3, first 2 shown]
	s_waitcnt lgkmcnt(4)
	v_mul_u32_u24_sdwa v106, v8, s30 dst_sel:DWORD dst_unused:UNUSED_PAD src0_sel:WORD_0 src1_sel:DWORD
	v_mul_u32_u24_sdwa v8, v8, s30 dst_sel:DWORD dst_unused:UNUSED_PAD src0_sel:WORD_1 src1_sel:DWORD
	v_mul_u32_u24_sdwa v107, v9, s30 dst_sel:DWORD dst_unused:UNUSED_PAD src0_sel:WORD_0 src1_sel:DWORD
	v_mul_u32_u24_sdwa v9, v9, s30 dst_sel:DWORD dst_unused:UNUSED_PAD src0_sel:WORD_1 src1_sel:DWORD
	v_mul_u32_u24_sdwa v108, v10, s30 dst_sel:DWORD dst_unused:UNUSED_PAD src0_sel:WORD_0 src1_sel:DWORD
	v_mul_u32_u24_sdwa v10, v10, s30 dst_sel:DWORD dst_unused:UNUSED_PAD src0_sel:WORD_1 src1_sel:DWORD
	v_mul_u32_u24_sdwa v109, v11, s30 dst_sel:DWORD dst_unused:UNUSED_PAD src0_sel:WORD_0 src1_sel:DWORD
	v_mul_u32_u24_sdwa v11, v11, s30 dst_sel:DWORD dst_unused:UNUSED_PAD src0_sel:WORD_1 src1_sel:DWORD
	s_waitcnt lgkmcnt(3)
	v_pk_fma_f16 v44, v12, v106, v44
	v_pk_fma_f16 v45, v12, v8, v45
	;; [unrolled: 1-line block ×16, first 2 shown]
	s_waitcnt lgkmcnt(2)
	v_mul_u32_u24_sdwa v11, v32, s30 dst_sel:DWORD dst_unused:UNUSED_PAD src0_sel:WORD_0 src1_sel:DWORD
	v_mul_u32_u24_sdwa v13, v32, s30 dst_sel:DWORD dst_unused:UNUSED_PAD src0_sel:WORD_1 src1_sel:DWORD
	v_mul_u32_u24_sdwa v32, v33, s30 dst_sel:DWORD dst_unused:UNUSED_PAD src0_sel:WORD_0 src1_sel:DWORD
	v_mul_u32_u24_sdwa v33, v33, s30 dst_sel:DWORD dst_unused:UNUSED_PAD src0_sel:WORD_1 src1_sel:DWORD
	;; [unrolled: 2-line block ×4, first 2 shown]
	v_pk_fma_f16 v44, v14, v11, v44
	v_pk_fma_f16 v45, v14, v13, v45
	;; [unrolled: 1-line block ×14, first 2 shown]
	ds_read2_b64 v[8:11], v102 offset0:64 offset1:96
	v_pk_fma_f16 v34, v15, v106, v36
	v_pk_fma_f16 v1, v15, v35, v1
	s_waitcnt lgkmcnt(2)
	v_mul_u32_u24_sdwa v15, v82, s30 dst_sel:DWORD dst_unused:UNUSED_PAD src0_sel:WORD_0 src1_sel:DWORD
	v_mul_u32_u24_sdwa v35, v82, s30 dst_sel:DWORD dst_unused:UNUSED_PAD src0_sel:WORD_1 src1_sel:DWORD
	v_mul_u32_u24_sdwa v36, v83, s30 dst_sel:DWORD dst_unused:UNUSED_PAD src0_sel:WORD_0 src1_sel:DWORD
	v_mul_u32_u24_sdwa v37, v83, s30 dst_sel:DWORD dst_unused:UNUSED_PAD src0_sel:WORD_1 src1_sel:DWORD
	;; [unrolled: 2-line block ×4, first 2 shown]
	s_waitcnt lgkmcnt(0)
	v_pk_fma_f16 v44, v8, v15, v44
	v_pk_fma_f16 v45, v8, v35, v45
	;; [unrolled: 1-line block ×16, first 2 shown]
	v_mul_u32_u24_sdwa v9, v86, s30 dst_sel:DWORD dst_unused:UNUSED_PAD src0_sel:WORD_0 src1_sel:DWORD
	v_mul_u32_u24_sdwa v35, v87, s30 dst_sel:DWORD dst_unused:UNUSED_PAD src0_sel:WORD_1 src1_sel:DWORD
	v_mul_u32_u24_sdwa v36, v88, s30 dst_sel:DWORD dst_unused:UNUSED_PAD src0_sel:WORD_0 src1_sel:DWORD
	v_mul_u32_u24_sdwa v37, v88, s30 dst_sel:DWORD dst_unused:UNUSED_PAD src0_sel:WORD_1 src1_sel:DWORD
	v_mul_u32_u24_sdwa v33, v86, s30 dst_sel:DWORD dst_unused:UNUSED_PAD src0_sel:WORD_1 src1_sel:DWORD
	v_mul_u32_u24_sdwa v34, v87, s30 dst_sel:DWORD dst_unused:UNUSED_PAD src0_sel:WORD_0 src1_sel:DWORD
	v_mul_u32_u24_sdwa v82, v89, s30 dst_sel:DWORD dst_unused:UNUSED_PAD src0_sel:WORD_0 src1_sel:DWORD
	v_mul_u32_u24_sdwa v83, v89, s30 dst_sel:DWORD dst_unused:UNUSED_PAD src0_sel:WORD_1 src1_sel:DWORD
	v_pk_fma_f16 v78, v10, v36, v78
	v_pk_fma_f16 v79, v10, v37, v79
	;; [unrolled: 1-line block ×6, first 2 shown]
	ds_read_b128 v[12:15], v100 offset:832
	v_pk_fma_f16 v44, v10, v9, v44
	v_pk_fma_f16 v45, v10, v33, v45
	;; [unrolled: 1-line block ×10, first 2 shown]
	ds_read2_b64 v[8:11], v102 offset0:128 offset1:160
	ds_read_b128 v[32:35], v100 offset:848
	s_waitcnt lgkmcnt(2)
	v_mul_u32_u24_sdwa v83, v12, s30 dst_sel:DWORD dst_unused:UNUSED_PAD src0_sel:WORD_0 src1_sel:DWORD
	v_mul_u32_u24_sdwa v12, v12, s30 dst_sel:DWORD dst_unused:UNUSED_PAD src0_sel:WORD_1 src1_sel:DWORD
	v_mul_u32_u24_sdwa v88, v13, s30 dst_sel:DWORD dst_unused:UNUSED_PAD src0_sel:WORD_0 src1_sel:DWORD
	v_mul_u32_u24_sdwa v13, v13, s30 dst_sel:DWORD dst_unused:UNUSED_PAD src0_sel:WORD_1 src1_sel:DWORD
	;; [unrolled: 2-line block ×4, first 2 shown]
	s_waitcnt lgkmcnt(1)
	v_pk_fma_f16 v44, v8, v83, v44
	v_pk_fma_f16 v45, v8, v12, v45
	;; [unrolled: 1-line block ×16, first 2 shown]
	s_waitcnt lgkmcnt(0)
	v_mul_u32_u24_sdwa v9, v32, s30 dst_sel:DWORD dst_unused:UNUSED_PAD src0_sel:WORD_0 src1_sel:DWORD
	v_mul_u32_u24_sdwa v15, v32, s30 dst_sel:DWORD dst_unused:UNUSED_PAD src0_sel:WORD_1 src1_sel:DWORD
	v_mul_u32_u24_sdwa v32, v33, s30 dst_sel:DWORD dst_unused:UNUSED_PAD src0_sel:WORD_0 src1_sel:DWORD
	v_mul_u32_u24_sdwa v33, v33, s30 dst_sel:DWORD dst_unused:UNUSED_PAD src0_sel:WORD_1 src1_sel:DWORD
	;; [unrolled: 2-line block ×4, first 2 shown]
	v_pk_fma_f16 v45, v10, v15, v45
	v_pk_fma_f16 v78, v10, v37, v78
	;; [unrolled: 1-line block ×6, first 2 shown]
	ds_read_b128 v[12:15], v100 offset:864
	v_pk_fma_f16 v44, v10, v9, v44
	v_pk_fma_f16 v74, v10, v32, v74
	;; [unrolled: 1-line block ×10, first 2 shown]
	ds_read2_b64 v[8:11], v102 offset0:192 offset1:224
	ds_read_b128 v[32:35], v100 offset:880
	s_waitcnt lgkmcnt(2)
	v_mul_u32_u24_sdwa v82, v12, s30 dst_sel:DWORD dst_unused:UNUSED_PAD src0_sel:WORD_0 src1_sel:DWORD
	v_mul_u32_u24_sdwa v12, v12, s30 dst_sel:DWORD dst_unused:UNUSED_PAD src0_sel:WORD_1 src1_sel:DWORD
	v_mul_u32_u24_sdwa v88, v13, s30 dst_sel:DWORD dst_unused:UNUSED_PAD src0_sel:WORD_0 src1_sel:DWORD
	v_mul_u32_u24_sdwa v13, v13, s30 dst_sel:DWORD dst_unused:UNUSED_PAD src0_sel:WORD_1 src1_sel:DWORD
	;; [unrolled: 2-line block ×4, first 2 shown]
	s_waitcnt lgkmcnt(1)
	v_pk_fma_f16 v44, v8, v82, v44
	v_pk_fma_f16 v45, v8, v12, v45
	;; [unrolled: 1-line block ×16, first 2 shown]
	s_waitcnt lgkmcnt(0)
	v_mul_u32_u24_sdwa v9, v32, s30 dst_sel:DWORD dst_unused:UNUSED_PAD src0_sel:WORD_0 src1_sel:DWORD
	v_mul_u32_u24_sdwa v15, v32, s30 dst_sel:DWORD dst_unused:UNUSED_PAD src0_sel:WORD_1 src1_sel:DWORD
	v_mul_u32_u24_sdwa v32, v33, s30 dst_sel:DWORD dst_unused:UNUSED_PAD src0_sel:WORD_0 src1_sel:DWORD
	v_mul_u32_u24_sdwa v33, v33, s30 dst_sel:DWORD dst_unused:UNUSED_PAD src0_sel:WORD_1 src1_sel:DWORD
	;; [unrolled: 2-line block ×4, first 2 shown]
	v_pk_fma_f16 v45, v10, v15, v45
	v_pk_fma_f16 v78, v10, v37, v78
	;; [unrolled: 1-line block ×6, first 2 shown]
	ds_read_b128 v[12:15], v100 offset:896
	v_pk_fma_f16 v44, v10, v9, v44
	v_pk_fma_f16 v74, v10, v32, v74
	;; [unrolled: 1-line block ×10, first 2 shown]
	ds_read2_b64 v[8:11], v0 offset1:32
	ds_read_b128 v[32:35], v100 offset:912
	s_waitcnt lgkmcnt(2)
	v_mul_u32_u24_sdwa v83, v12, s30 dst_sel:DWORD dst_unused:UNUSED_PAD src0_sel:WORD_0 src1_sel:DWORD
	v_mul_u32_u24_sdwa v12, v12, s30 dst_sel:DWORD dst_unused:UNUSED_PAD src0_sel:WORD_1 src1_sel:DWORD
	v_mul_u32_u24_sdwa v88, v13, s30 dst_sel:DWORD dst_unused:UNUSED_PAD src0_sel:WORD_0 src1_sel:DWORD
	v_mul_u32_u24_sdwa v13, v13, s30 dst_sel:DWORD dst_unused:UNUSED_PAD src0_sel:WORD_1 src1_sel:DWORD
	;; [unrolled: 2-line block ×4, first 2 shown]
	s_waitcnt lgkmcnt(1)
	v_pk_fma_f16 v44, v8, v83, v44
	v_pk_fma_f16 v45, v8, v12, v45
	;; [unrolled: 1-line block ×16, first 2 shown]
	s_waitcnt lgkmcnt(0)
	v_mul_u32_u24_sdwa v9, v32, s30 dst_sel:DWORD dst_unused:UNUSED_PAD src0_sel:WORD_0 src1_sel:DWORD
	v_mul_u32_u24_sdwa v15, v32, s30 dst_sel:DWORD dst_unused:UNUSED_PAD src0_sel:WORD_1 src1_sel:DWORD
	v_mul_u32_u24_sdwa v32, v33, s30 dst_sel:DWORD dst_unused:UNUSED_PAD src0_sel:WORD_0 src1_sel:DWORD
	v_mul_u32_u24_sdwa v33, v33, s30 dst_sel:DWORD dst_unused:UNUSED_PAD src0_sel:WORD_1 src1_sel:DWORD
	;; [unrolled: 2-line block ×4, first 2 shown]
	v_pk_fma_f16 v45, v10, v15, v45
	v_pk_fma_f16 v78, v10, v37, v78
	;; [unrolled: 1-line block ×6, first 2 shown]
	ds_read_b128 v[12:15], v100 offset:928
	v_pk_fma_f16 v44, v10, v9, v44
	v_pk_fma_f16 v74, v10, v32, v74
	;; [unrolled: 1-line block ×10, first 2 shown]
	ds_read2_b64 v[8:11], v0 offset0:64 offset1:96
	ds_read_b128 v[32:35], v100 offset:944
	s_waitcnt lgkmcnt(2)
	v_mul_u32_u24_sdwa v83, v12, s30 dst_sel:DWORD dst_unused:UNUSED_PAD src0_sel:WORD_0 src1_sel:DWORD
	v_mul_u32_u24_sdwa v12, v12, s30 dst_sel:DWORD dst_unused:UNUSED_PAD src0_sel:WORD_1 src1_sel:DWORD
	v_mul_u32_u24_sdwa v88, v13, s30 dst_sel:DWORD dst_unused:UNUSED_PAD src0_sel:WORD_0 src1_sel:DWORD
	v_mul_u32_u24_sdwa v13, v13, s30 dst_sel:DWORD dst_unused:UNUSED_PAD src0_sel:WORD_1 src1_sel:DWORD
	;; [unrolled: 2-line block ×4, first 2 shown]
	s_waitcnt lgkmcnt(1)
	v_pk_fma_f16 v44, v8, v83, v44
	v_pk_fma_f16 v45, v8, v12, v45
	;; [unrolled: 1-line block ×16, first 2 shown]
	s_waitcnt lgkmcnt(0)
	v_mul_u32_u24_sdwa v9, v32, s30 dst_sel:DWORD dst_unused:UNUSED_PAD src0_sel:WORD_0 src1_sel:DWORD
	v_mul_u32_u24_sdwa v15, v32, s30 dst_sel:DWORD dst_unused:UNUSED_PAD src0_sel:WORD_1 src1_sel:DWORD
	v_mul_u32_u24_sdwa v32, v33, s30 dst_sel:DWORD dst_unused:UNUSED_PAD src0_sel:WORD_0 src1_sel:DWORD
	v_mul_u32_u24_sdwa v33, v33, s30 dst_sel:DWORD dst_unused:UNUSED_PAD src0_sel:WORD_1 src1_sel:DWORD
	;; [unrolled: 2-line block ×4, first 2 shown]
	v_pk_fma_f16 v45, v10, v15, v45
	v_pk_fma_f16 v78, v10, v37, v78
	;; [unrolled: 1-line block ×6, first 2 shown]
	ds_read_b128 v[12:15], v100 offset:960
	v_pk_fma_f16 v44, v10, v9, v44
	v_pk_fma_f16 v74, v10, v32, v74
	;; [unrolled: 1-line block ×10, first 2 shown]
	ds_read2_b64 v[8:11], v0 offset0:128 offset1:160
	ds_read_b128 v[32:35], v100 offset:976
	s_waitcnt lgkmcnt(2)
	v_mul_u32_u24_sdwa v83, v12, s30 dst_sel:DWORD dst_unused:UNUSED_PAD src0_sel:WORD_0 src1_sel:DWORD
	v_mul_u32_u24_sdwa v12, v12, s30 dst_sel:DWORD dst_unused:UNUSED_PAD src0_sel:WORD_1 src1_sel:DWORD
	v_mul_u32_u24_sdwa v88, v13, s30 dst_sel:DWORD dst_unused:UNUSED_PAD src0_sel:WORD_0 src1_sel:DWORD
	v_mul_u32_u24_sdwa v13, v13, s30 dst_sel:DWORD dst_unused:UNUSED_PAD src0_sel:WORD_1 src1_sel:DWORD
	v_mul_u32_u24_sdwa v89, v14, s30 dst_sel:DWORD dst_unused:UNUSED_PAD src0_sel:WORD_0 src1_sel:DWORD
	v_mul_u32_u24_sdwa v14, v14, s30 dst_sel:DWORD dst_unused:UNUSED_PAD src0_sel:WORD_1 src1_sel:DWORD
	v_mul_u32_u24_sdwa v90, v15, s30 dst_sel:DWORD dst_unused:UNUSED_PAD src0_sel:WORD_0 src1_sel:DWORD
	v_mul_u32_u24_sdwa v15, v15, s30 dst_sel:DWORD dst_unused:UNUSED_PAD src0_sel:WORD_1 src1_sel:DWORD
	s_waitcnt lgkmcnt(1)
	v_pk_fma_f16 v44, v8, v83, v44
	v_pk_fma_f16 v45, v8, v12, v45
	;; [unrolled: 1-line block ×16, first 2 shown]
	s_waitcnt lgkmcnt(0)
	v_mul_u32_u24_sdwa v9, v32, s30 dst_sel:DWORD dst_unused:UNUSED_PAD src0_sel:WORD_0 src1_sel:DWORD
	v_mul_u32_u24_sdwa v15, v32, s30 dst_sel:DWORD dst_unused:UNUSED_PAD src0_sel:WORD_1 src1_sel:DWORD
	v_mul_u32_u24_sdwa v32, v33, s30 dst_sel:DWORD dst_unused:UNUSED_PAD src0_sel:WORD_0 src1_sel:DWORD
	v_mul_u32_u24_sdwa v33, v33, s30 dst_sel:DWORD dst_unused:UNUSED_PAD src0_sel:WORD_1 src1_sel:DWORD
	;; [unrolled: 2-line block ×4, first 2 shown]
	v_pk_fma_f16 v44, v10, v9, v44
	v_pk_fma_f16 v45, v10, v15, v45
	v_pk_fma_f16 v74, v10, v32, v74
	v_pk_fma_f16 v75, v10, v33, v75
	v_pk_fma_f16 v78, v10, v37, v78
	v_pk_fma_f16 v79, v10, v34, v79
	v_pk_fma_f16 v84, v10, v83, v84
	v_pk_fma_f16 v85, v10, v35, v8
	v_pk_fma_f16 v82, v11, v9, v82
	v_pk_fma_f16 v86, v11, v15, v2
	v_pk_fma_f16 v32, v11, v32, v3
	v_pk_fma_f16 v33, v11, v33, v12
	v_pk_fma_f16 v37, v11, v37, v13
	v_pk_fma_f16 v34, v11, v34, v14
	ds_read_b128 v[12:15], v100 offset:992
	v_pk_fma_f16 v36, v11, v83, v36
	v_pk_fma_f16 v35, v11, v35, v1
	ds_read2_b64 v[0:3], v0 offset0:192 offset1:224
	ds_read_b128 v[8:11], v100 offset:1008
	s_waitcnt lgkmcnt(0)
	s_barrier
	s_load_dword s31, s[8:9], 0x4
	v_mul_u32_u24_sdwa v83, v12, s30 dst_sel:DWORD dst_unused:UNUSED_PAD src0_sel:WORD_0 src1_sel:DWORD
	v_mul_u32_u24_sdwa v12, v12, s30 dst_sel:DWORD dst_unused:UNUSED_PAD src0_sel:WORD_1 src1_sel:DWORD
	v_mul_u32_u24_sdwa v87, v13, s30 dst_sel:DWORD dst_unused:UNUSED_PAD src0_sel:WORD_0 src1_sel:DWORD
	v_mul_u32_u24_sdwa v13, v13, s30 dst_sel:DWORD dst_unused:UNUSED_PAD src0_sel:WORD_1 src1_sel:DWORD
	;; [unrolled: 2-line block ×4, first 2 shown]
	s_waitcnt lgkmcnt(0)
	s_lshl_b32 s31, s31, 6
	v_pk_fma_f16 v44, v0, v83, v44
	v_pk_fma_f16 v45, v0, v12, v45
	;; [unrolled: 1-line block ×16, first 2 shown]
	v_mul_u32_u24_sdwa v15, v8, s30 dst_sel:DWORD dst_unused:UNUSED_PAD src0_sel:WORD_0 src1_sel:DWORD
	v_mul_u32_u24_sdwa v8, v8, s30 dst_sel:DWORD dst_unused:UNUSED_PAD src0_sel:WORD_1 src1_sel:DWORD
	v_mul_u32_u24_sdwa v35, v9, s30 dst_sel:DWORD dst_unused:UNUSED_PAD src0_sel:WORD_0 src1_sel:DWORD
	v_mul_u32_u24_sdwa v9, v9, s30 dst_sel:DWORD dst_unused:UNUSED_PAD src0_sel:WORD_1 src1_sel:DWORD
	;; [unrolled: 2-line block ×4, first 2 shown]
	s_add_i32 s15, s31, s15
	v_pk_fma_f16 v90, v2, v15, v44
	v_pk_fma_f16 v88, v2, v8, v45
	;; [unrolled: 1-line block ×15, first 2 shown]
	s_cmp_lt_i32 s15, s12
	v_pk_fma_f16 v45, v3, v11, v1
	s_cbranch_scc0 .LBB52_45
; %bb.43:                               ;   in Loop: Header=BB52_9 Depth=1
	v_mov_b32_e32 v13, v24
	v_mov_b32_e32 v12, v25
	;; [unrolled: 1-line block ×8, first 2 shown]
	s_branch .LBB52_9
.LBB52_44:
	v_mov_b32_e32 v24, 0xfeffffff
	v_mov_b32_e32 v25, v24
	v_mov_b32_e32 v26, v24
	v_mov_b32_e32 v27, v24
	v_mov_b32_e32 v28, v24
	v_mov_b32_e32 v29, v24
	v_mov_b32_e32 v30, v24
	v_mov_b32_e32 v31, v24
	v_mov_b32_e32 v90, 0
	v_mov_b32_e32 v22, 0
	v_mov_b32_e32 v21, 0
	v_mov_b32_e32 v20, 0
	v_mov_b32_e32 v19, 0
	v_mov_b32_e32 v18, 0
	v_mov_b32_e32 v17, 0
	v_mov_b32_e32 v16, 0
	v_mov_b32_e32 v91, 0
	v_mov_b32_e32 v88, 0
	v_mov_b32_e32 v89, 0
	v_mov_b32_e32 v86, 0
	v_mov_b32_e32 v87, 0
	v_mov_b32_e32 v84, 0
	v_mov_b32_e32 v85, 0
	v_mov_b32_e32 v82, 0
	v_mov_b32_e32 v83, 0
	v_mov_b32_e32 v78, 0
	v_mov_b32_e32 v79, 0
	v_mov_b32_e32 v74, 0
	v_mov_b32_e32 v75, 0
	v_mov_b32_e32 v44, 0
	v_mov_b32_e32 v45, 0
.LBB52_45:
	s_cmp_gt_i32 s36, s15
	s_cbranch_scc1 .LBB52_47
; %bb.46:
	v_mbcnt_hi_u32_b32 v92, -1, v81
	v_and_b32_e32 v0, 0x60, v92
	v_add_u32_e32 v93, 32, v0
	v_xor_b32_e32 v95, 16, v92
	v_xor_b32_e32 v98, 8, v92
	;; [unrolled: 1-line block ×5, first 2 shown]
	s_cbranch_execz .LBB52_48
	s_branch .LBB52_128
.LBB52_47:
                                        ; implicit-def: $vgpr92
                                        ; implicit-def: $vgpr93
                                        ; implicit-def: $vgpr95
                                        ; implicit-def: $vgpr98
                                        ; implicit-def: $vgpr96
                                        ; implicit-def: $vgpr97
                                        ; implicit-def: $vgpr94
.LBB52_48:
	s_mul_hi_i32 s5, s15, s19
	s_mul_i32 s4, s15, s19
	s_sub_i32 s28, s36, s15
	s_lshl_b64 s[4:5], s[4:5], 2
	v_add_u32_e32 v2, v46, v61
	s_add_u32 s4, s6, s4
	v_mul_lo_u32 v0, s19, v2
	s_addc_u32 s5, s7, s5
	v_ashrrev_i32_e32 v1, 31, v0
	v_lshl_add_u64 v[0:1], v[0:1], 2, s[4:5]
	s_mov_b32 s4, 0
	s_mov_b32 s6, s4
	s_mov_b64 s[8:9], src_private_base
	v_lshlrev_b32_e32 v46, 2, v41
	v_mov_b32_e32 v47, 0
	s_mov_b32 s5, s4
	v_mov_b32_e32 v96, s6
	v_lshl_add_u64 v[36:37], v[0:1], 0, v[46:47]
	v_mov_b32_e32 v95, s5
	v_mov_b32_e32 v94, s4
	;; [unrolled: 1-line block ×3, first 2 shown]
	v_cmp_gt_i32_e32 vcc, s28, v2
	v_mov_b32_e32 v93, 0
	scratch_store_dword off, v47, off
	scratch_store_dwordx3 off, v[94:96], off offset:4
	v_cndmask_b32_e32 v1, v92, v37, vcc
	v_cndmask_b32_e32 v0, v93, v36, vcc
	flat_load_dwordx4 v[6:9], v[0:1]
	s_movk_i32 s4, 0x50
	v_mul_u32_u24_e32 v41, 0x50, v40
	v_mad_u32_u24 v46, v2, s4, v46
	v_mov_b32_e32 v0, v47
	v_mov_b32_e32 v1, v47
	;; [unrolled: 1-line block ×6, first 2 shown]
	s_mov_b64 s[4:5], 0x80
	s_waitcnt vmcnt(0) lgkmcnt(0)
	ds_write_b128 v46, v[6:9] offset:24576
	s_waitcnt lgkmcnt(0)
	s_barrier
	ds_read_b128 v[8:11], v41 offset:24576
	ds_read_b128 v[32:35], v41 offset:27136
	ds_read_b128 v[12:15], v38
	ds_read_b128 v[98:101], v38 offset:256
	ds_read_b128 v[102:105], v38 offset:512
	;; [unrolled: 1-line block ×7, first 2 shown]
	s_waitcnt lgkmcnt(7)
	;;#ASMSTART
	v_dot2_f32_f16 v0, v8, v12, v0
	;;#ASMEND
	v_mov_b32_e32 v6, v47
	;;#ASMSTART
	v_dot2_f32_f16 v0, v9, v13, v0
	;;#ASMEND
	v_mov_b32_e32 v7, v47
	;;#ASMSTART
	v_dot2_f32_f16 v0, v10, v14, v0
	;;#ASMEND
	s_nop 0
	;;#ASMSTART
	v_dot2_f32_f16 v0, v11, v15, v0
	;;#ASMEND
	s_waitcnt lgkmcnt(6)
	;;#ASMSTART
	v_dot2_f32_f16 v1, v8, v98, v1
	;;#ASMEND
	s_nop 0
	;;#ASMSTART
	v_dot2_f32_f16 v1, v9, v99, v1
	;;#ASMEND
	s_nop 0
	;;#ASMSTART
	v_dot2_f32_f16 v1, v10, v100, v1
	;;#ASMEND
	s_nop 0
	;;#ASMSTART
	v_dot2_f32_f16 v1, v11, v101, v1
	;;#ASMEND
	s_waitcnt lgkmcnt(5)
	;;#ASMSTART
	v_dot2_f32_f16 v2, v8, v102, v2
	;;#ASMEND
	s_nop 0
	;;#ASMSTART
	v_dot2_f32_f16 v2, v9, v103, v2
	;;#ASMEND
	s_nop 0
	;; [unrolled: 16-line block ×6, first 2 shown]
	;;#ASMSTART
	v_dot2_f32_f16 v6, v10, v120, v6
	;;#ASMEND
	s_nop 0
	;;#ASMSTART
	v_dot2_f32_f16 v6, v11, v121, v6
	;;#ASMEND
	s_waitcnt lgkmcnt(0)
	;;#ASMSTART
	v_dot2_f32_f16 v7, v8, v122, v7
	;;#ASMEND
	v_mov_b32_e32 v8, v47
	;;#ASMSTART
	v_dot2_f32_f16 v7, v9, v123, v7
	;;#ASMEND
	v_mov_b32_e32 v9, v47
	;; [unrolled: 4-line block ×3, first 2 shown]
	;;#ASMSTART
	v_dot2_f32_f16 v7, v11, v125, v7
	;;#ASMEND
	;;#ASMSTART
	v_dot2_f32_f16 v8, v32, v12, v8
	;;#ASMEND
	v_mov_b32_e32 v11, v47
	;;#ASMSTART
	v_dot2_f32_f16 v8, v33, v13, v8
	;;#ASMEND
	v_mov_b32_e32 v12, v47
	;; [unrolled: 4-line block ×3, first 2 shown]
	;;#ASMSTART
	v_dot2_f32_f16 v8, v35, v15, v8
	;;#ASMEND
	;;#ASMSTART
	v_dot2_f32_f16 v9, v32, v98, v9
	;;#ASMEND
	v_mov_b32_e32 v14, v47
	;;#ASMSTART
	v_dot2_f32_f16 v9, v33, v99, v9
	;;#ASMEND
	v_mov_b32_e32 v15, v47
	;;#ASMSTART
	v_dot2_f32_f16 v9, v34, v100, v9
	;;#ASMEND
	s_nop 0
	;;#ASMSTART
	v_dot2_f32_f16 v9, v35, v101, v9
	;;#ASMEND
	;;#ASMSTART
	v_dot2_f32_f16 v10, v32, v102, v10
	;;#ASMEND
	s_nop 0
	;;#ASMSTART
	v_dot2_f32_f16 v10, v33, v103, v10
	;;#ASMEND
	s_nop 0
	;;#ASMSTART
	v_dot2_f32_f16 v10, v34, v104, v10
	;;#ASMEND
	s_nop 0
	;;#ASMSTART
	v_dot2_f32_f16 v10, v35, v105, v10
	;;#ASMEND
	;;#ASMSTART
	v_dot2_f32_f16 v11, v32, v106, v11
	;;#ASMEND
	s_nop 0
	;;#ASMSTART
	v_dot2_f32_f16 v11, v33, v107, v11
	;;#ASMEND
	s_nop 0
	;; [unrolled: 15-line block ×6, first 2 shown]
	;;#ASMSTART
	v_dot2_f32_f16 v15, v34, v124, v15
	;;#ASMEND
	s_nop 0
	;;#ASMSTART
	v_dot2_f32_f16 v15, v35, v125, v15
	;;#ASMEND
	ds_read_b128 v[98:101], v41 offset:24592
	ds_read_b128 v[32:35], v41 offset:27152
	;; [unrolled: 1-line block ×10, first 2 shown]
	s_waitcnt lgkmcnt(7)
	;;#ASMSTART
	v_dot2_f32_f16 v0, v98, v102, v0
	;;#ASMEND
	s_nop 0
	;;#ASMSTART
	v_dot2_f32_f16 v0, v99, v103, v0
	;;#ASMEND
	s_nop 0
	;;#ASMSTART
	v_dot2_f32_f16 v0, v100, v104, v0
	;;#ASMEND
	s_nop 0
	;;#ASMSTART
	v_dot2_f32_f16 v0, v101, v105, v0
	;;#ASMEND
	s_waitcnt lgkmcnt(6)
	;;#ASMSTART
	v_dot2_f32_f16 v1, v98, v106, v1
	;;#ASMEND
	s_nop 0
	;;#ASMSTART
	v_dot2_f32_f16 v1, v99, v107, v1
	;;#ASMEND
	s_nop 0
	;;#ASMSTART
	v_dot2_f32_f16 v1, v100, v108, v1
	;;#ASMEND
	s_nop 0
	;;#ASMSTART
	v_dot2_f32_f16 v1, v101, v109, v1
	;;#ASMEND
	;; [unrolled: 16-line block ×8, first 2 shown]
	;;#ASMSTART
	v_dot2_f32_f16 v8, v32, v102, v8
	;;#ASMEND
	s_nop 0
	;;#ASMSTART
	v_dot2_f32_f16 v8, v33, v103, v8
	;;#ASMEND
	s_nop 0
	;;#ASMSTART
	v_dot2_f32_f16 v8, v34, v104, v8
	;;#ASMEND
	s_nop 0
	;;#ASMSTART
	v_dot2_f32_f16 v8, v35, v105, v8
	;;#ASMEND
	;;#ASMSTART
	v_dot2_f32_f16 v9, v32, v106, v9
	;;#ASMEND
	s_nop 0
	;;#ASMSTART
	v_dot2_f32_f16 v9, v33, v107, v9
	;;#ASMEND
	s_nop 0
	;;#ASMSTART
	v_dot2_f32_f16 v9, v34, v108, v9
	;;#ASMEND
	s_nop 0
	;;#ASMSTART
	v_dot2_f32_f16 v9, v35, v109, v9
	;;#ASMEND
	;; [unrolled: 15-line block ×8, first 2 shown]
	ds_read_b128 v[98:101], v41 offset:24608
	ds_read_b128 v[32:35], v41 offset:27168
	;; [unrolled: 1-line block ×10, first 2 shown]
	s_waitcnt lgkmcnt(7)
	;;#ASMSTART
	v_dot2_f32_f16 v0, v98, v102, v0
	;;#ASMEND
	s_nop 0
	;;#ASMSTART
	v_dot2_f32_f16 v0, v99, v103, v0
	;;#ASMEND
	s_nop 0
	;;#ASMSTART
	v_dot2_f32_f16 v0, v100, v104, v0
	;;#ASMEND
	s_nop 0
	;;#ASMSTART
	v_dot2_f32_f16 v0, v101, v105, v0
	;;#ASMEND
	s_waitcnt lgkmcnt(6)
	;;#ASMSTART
	v_dot2_f32_f16 v1, v98, v106, v1
	;;#ASMEND
	s_nop 0
	;;#ASMSTART
	v_dot2_f32_f16 v1, v99, v107, v1
	;;#ASMEND
	s_nop 0
	;;#ASMSTART
	v_dot2_f32_f16 v1, v100, v108, v1
	;;#ASMEND
	s_nop 0
	;;#ASMSTART
	v_dot2_f32_f16 v1, v101, v109, v1
	;;#ASMEND
	s_waitcnt lgkmcnt(5)
	;;#ASMSTART
	v_dot2_f32_f16 v2, v98, v110, v2
	;;#ASMEND
	s_nop 0
	;;#ASMSTART
	v_dot2_f32_f16 v2, v99, v111, v2
	;;#ASMEND
	s_nop 0
	;;#ASMSTART
	v_dot2_f32_f16 v2, v100, v112, v2
	;;#ASMEND
	s_nop 0
	;;#ASMSTART
	v_dot2_f32_f16 v2, v101, v113, v2
	;;#ASMEND
	s_waitcnt lgkmcnt(4)
	;;#ASMSTART
	v_dot2_f32_f16 v3, v98, v114, v3
	;;#ASMEND
	s_nop 0
	;;#ASMSTART
	v_dot2_f32_f16 v3, v99, v115, v3
	;;#ASMEND
	s_nop 0
	;;#ASMSTART
	v_dot2_f32_f16 v3, v100, v116, v3
	;;#ASMEND
	s_nop 0
	;;#ASMSTART
	v_dot2_f32_f16 v3, v101, v117, v3
	;;#ASMEND
	s_waitcnt lgkmcnt(3)
	;;#ASMSTART
	v_dot2_f32_f16 v4, v98, v118, v4
	;;#ASMEND
	s_nop 0
	;;#ASMSTART
	v_dot2_f32_f16 v4, v99, v119, v4
	;;#ASMEND
	s_nop 0
	;;#ASMSTART
	v_dot2_f32_f16 v4, v100, v120, v4
	;;#ASMEND
	s_nop 0
	;;#ASMSTART
	v_dot2_f32_f16 v4, v101, v121, v4
	;;#ASMEND
	s_waitcnt lgkmcnt(2)
	;;#ASMSTART
	v_dot2_f32_f16 v5, v98, v122, v5
	;;#ASMEND
	s_nop 0
	;;#ASMSTART
	v_dot2_f32_f16 v5, v99, v123, v5
	;;#ASMEND
	s_nop 0
	;;#ASMSTART
	v_dot2_f32_f16 v5, v100, v124, v5
	;;#ASMEND
	s_nop 0
	;;#ASMSTART
	v_dot2_f32_f16 v5, v101, v125, v5
	;;#ASMEND
	s_waitcnt lgkmcnt(1)
	;;#ASMSTART
	v_dot2_f32_f16 v6, v98, v126, v6
	;;#ASMEND
	s_nop 0
	;;#ASMSTART
	v_dot2_f32_f16 v6, v99, v127, v6
	;;#ASMEND
	s_nop 0
	;;#ASMSTART
	v_dot2_f32_f16 v6, v100, v128, v6
	;;#ASMEND
	s_nop 0
	;;#ASMSTART
	v_dot2_f32_f16 v6, v101, v129, v6
	;;#ASMEND
	s_waitcnt lgkmcnt(0)
	;;#ASMSTART
	v_dot2_f32_f16 v7, v98, v130, v7
	;;#ASMEND
	s_nop 0
	;;#ASMSTART
	v_dot2_f32_f16 v7, v99, v131, v7
	;;#ASMEND
	s_nop 0
	;;#ASMSTART
	v_dot2_f32_f16 v7, v100, v132, v7
	;;#ASMEND
	s_nop 0
	;;#ASMSTART
	v_dot2_f32_f16 v7, v101, v133, v7
	;;#ASMEND
	;;#ASMSTART
	v_dot2_f32_f16 v8, v32, v102, v8
	;;#ASMEND
	s_nop 0
	;;#ASMSTART
	v_dot2_f32_f16 v8, v33, v103, v8
	;;#ASMEND
	s_nop 0
	;;#ASMSTART
	v_dot2_f32_f16 v8, v34, v104, v8
	;;#ASMEND
	s_nop 0
	;;#ASMSTART
	v_dot2_f32_f16 v8, v35, v105, v8
	;;#ASMEND
	;;#ASMSTART
	v_dot2_f32_f16 v9, v32, v106, v9
	;;#ASMEND
	s_nop 0
	;;#ASMSTART
	v_dot2_f32_f16 v9, v33, v107, v9
	;;#ASMEND
	s_nop 0
	;;#ASMSTART
	v_dot2_f32_f16 v9, v34, v108, v9
	;;#ASMEND
	s_nop 0
	;;#ASMSTART
	v_dot2_f32_f16 v9, v35, v109, v9
	;;#ASMEND
	;; [unrolled: 15-line block ×8, first 2 shown]
	ds_read_b128 v[98:101], v41 offset:24624
	ds_read_b128 v[32:35], v41 offset:27184
	;; [unrolled: 1-line block ×10, first 2 shown]
	s_waitcnt lgkmcnt(7)
	;;#ASMSTART
	v_dot2_f32_f16 v0, v98, v102, v0
	;;#ASMEND
	s_nop 0
	;;#ASMSTART
	v_dot2_f32_f16 v0, v99, v103, v0
	;;#ASMEND
	s_nop 0
	;;#ASMSTART
	v_dot2_f32_f16 v0, v100, v104, v0
	;;#ASMEND
	s_nop 0
	;;#ASMSTART
	v_dot2_f32_f16 v0, v101, v105, v0
	;;#ASMEND
	s_waitcnt lgkmcnt(6)
	;;#ASMSTART
	v_dot2_f32_f16 v1, v98, v106, v1
	;;#ASMEND
	s_nop 0
	;;#ASMSTART
	v_dot2_f32_f16 v1, v99, v107, v1
	;;#ASMEND
	s_nop 0
	;;#ASMSTART
	v_dot2_f32_f16 v1, v100, v108, v1
	;;#ASMEND
	s_nop 0
	;;#ASMSTART
	v_dot2_f32_f16 v1, v101, v109, v1
	;;#ASMEND
	;; [unrolled: 16-line block ×8, first 2 shown]
	;;#ASMSTART
	v_dot2_f32_f16 v8, v32, v102, v8
	;;#ASMEND
	s_nop 0
	;;#ASMSTART
	v_dot2_f32_f16 v8, v33, v103, v8
	;;#ASMEND
	s_nop 0
	;;#ASMSTART
	v_dot2_f32_f16 v8, v34, v104, v8
	;;#ASMEND
	s_nop 0
	;;#ASMSTART
	v_dot2_f32_f16 v8, v35, v105, v8
	;;#ASMEND
	;;#ASMSTART
	v_dot2_f32_f16 v9, v32, v106, v9
	;;#ASMEND
	s_nop 0
	;;#ASMSTART
	v_dot2_f32_f16 v9, v33, v107, v9
	;;#ASMEND
	s_nop 0
	;;#ASMSTART
	v_dot2_f32_f16 v9, v34, v108, v9
	;;#ASMEND
	s_nop 0
	;;#ASMSTART
	v_dot2_f32_f16 v9, v35, v109, v9
	;;#ASMEND
	;; [unrolled: 15-line block ×7, first 2 shown]
	;;#ASMSTART
	v_dot2_f32_f16 v15, v32, v130, v15
	;;#ASMEND
	s_nop 0
	;;#ASMSTART
	v_dot2_f32_f16 v15, v33, v131, v15
	;;#ASMEND
	v_lshl_add_u64 v[32:33], v[36:37], 0, 64
	;;#ASMSTART
	v_dot2_f32_f16 v15, v34, v132, v15
	;;#ASMEND
	v_cndmask_b32_e32 v33, v92, v33, vcc
	;;#ASMSTART
	v_dot2_f32_f16 v15, v35, v133, v15
	;;#ASMEND
	v_cndmask_b32_e32 v32, v93, v32, vcc
	s_barrier
	scratch_store_dword off, v47, off
	scratch_store_dwordx3 off, v[94:96], off offset:4
	flat_load_dwordx4 v[32:35], v[32:33]
	s_waitcnt vmcnt(0) lgkmcnt(0)
	ds_write_b128 v46, v[32:35] offset:24576
	s_waitcnt lgkmcnt(0)
	s_barrier
	ds_read_b128 v[98:101], v41 offset:24576
	ds_read_b128 v[32:35], v41 offset:27136
	;; [unrolled: 1-line block ×10, first 2 shown]
	s_waitcnt lgkmcnt(7)
	;;#ASMSTART
	v_dot2_f32_f16 v0, v98, v102, v0
	;;#ASMEND
	s_nop 0
	;;#ASMSTART
	v_dot2_f32_f16 v0, v99, v103, v0
	;;#ASMEND
	s_nop 0
	;;#ASMSTART
	v_dot2_f32_f16 v0, v100, v104, v0
	;;#ASMEND
	s_nop 0
	;;#ASMSTART
	v_dot2_f32_f16 v0, v101, v105, v0
	;;#ASMEND
	s_waitcnt lgkmcnt(6)
	;;#ASMSTART
	v_dot2_f32_f16 v1, v98, v106, v1
	;;#ASMEND
	s_nop 0
	;;#ASMSTART
	v_dot2_f32_f16 v1, v99, v107, v1
	;;#ASMEND
	s_nop 0
	;;#ASMSTART
	v_dot2_f32_f16 v1, v100, v108, v1
	;;#ASMEND
	s_nop 0
	;;#ASMSTART
	v_dot2_f32_f16 v1, v101, v109, v1
	;;#ASMEND
	;; [unrolled: 16-line block ×8, first 2 shown]
	;;#ASMSTART
	v_dot2_f32_f16 v8, v32, v102, v8
	;;#ASMEND
	s_nop 0
	;;#ASMSTART
	v_dot2_f32_f16 v8, v33, v103, v8
	;;#ASMEND
	s_nop 0
	;;#ASMSTART
	v_dot2_f32_f16 v8, v34, v104, v8
	;;#ASMEND
	s_nop 0
	;;#ASMSTART
	v_dot2_f32_f16 v8, v35, v105, v8
	;;#ASMEND
	;;#ASMSTART
	v_dot2_f32_f16 v9, v32, v106, v9
	;;#ASMEND
	s_nop 0
	;;#ASMSTART
	v_dot2_f32_f16 v9, v33, v107, v9
	;;#ASMEND
	s_nop 0
	;;#ASMSTART
	v_dot2_f32_f16 v9, v34, v108, v9
	;;#ASMEND
	s_nop 0
	;;#ASMSTART
	v_dot2_f32_f16 v9, v35, v109, v9
	;;#ASMEND
	;;#ASMSTART
	v_dot2_f32_f16 v10, v32, v110, v10
	;;#ASMEND
	s_nop 0
	;;#ASMSTART
	v_dot2_f32_f16 v10, v33, v111, v10
	;;#ASMEND
	s_nop 0
	;;#ASMSTART
	v_dot2_f32_f16 v10, v34, v112, v10
	;;#ASMEND
	s_nop 0
	;;#ASMSTART
	v_dot2_f32_f16 v10, v35, v113, v10
	;;#ASMEND
	;;#ASMSTART
	v_dot2_f32_f16 v11, v32, v114, v11
	;;#ASMEND
	s_nop 0
	;;#ASMSTART
	v_dot2_f32_f16 v11, v33, v115, v11
	;;#ASMEND
	s_nop 0
	;;#ASMSTART
	v_dot2_f32_f16 v11, v34, v116, v11
	;;#ASMEND
	s_nop 0
	;;#ASMSTART
	v_dot2_f32_f16 v11, v35, v117, v11
	;;#ASMEND
	;;#ASMSTART
	v_dot2_f32_f16 v12, v32, v118, v12
	;;#ASMEND
	s_nop 0
	;;#ASMSTART
	v_dot2_f32_f16 v12, v33, v119, v12
	;;#ASMEND
	s_nop 0
	;;#ASMSTART
	v_dot2_f32_f16 v12, v34, v120, v12
	;;#ASMEND
	s_nop 0
	;;#ASMSTART
	v_dot2_f32_f16 v12, v35, v121, v12
	;;#ASMEND
	;;#ASMSTART
	v_dot2_f32_f16 v13, v32, v122, v13
	;;#ASMEND
	s_nop 0
	;;#ASMSTART
	v_dot2_f32_f16 v13, v33, v123, v13
	;;#ASMEND
	s_nop 0
	;;#ASMSTART
	v_dot2_f32_f16 v13, v34, v124, v13
	;;#ASMEND
	s_nop 0
	;;#ASMSTART
	v_dot2_f32_f16 v13, v35, v125, v13
	;;#ASMEND
	;;#ASMSTART
	v_dot2_f32_f16 v14, v32, v126, v14
	;;#ASMEND
	s_nop 0
	;;#ASMSTART
	v_dot2_f32_f16 v14, v33, v127, v14
	;;#ASMEND
	s_nop 0
	;;#ASMSTART
	v_dot2_f32_f16 v14, v34, v128, v14
	;;#ASMEND
	s_nop 0
	;;#ASMSTART
	v_dot2_f32_f16 v14, v35, v129, v14
	;;#ASMEND
	;;#ASMSTART
	v_dot2_f32_f16 v15, v32, v130, v15
	;;#ASMEND
	s_nop 0
	;;#ASMSTART
	v_dot2_f32_f16 v15, v33, v131, v15
	;;#ASMEND
	s_nop 0
	;;#ASMSTART
	v_dot2_f32_f16 v15, v34, v132, v15
	;;#ASMEND
	s_nop 0
	;;#ASMSTART
	v_dot2_f32_f16 v15, v35, v133, v15
	;;#ASMEND
	ds_read_b128 v[98:101], v41 offset:24592
	ds_read_b128 v[32:35], v41 offset:27152
	;; [unrolled: 1-line block ×10, first 2 shown]
	s_waitcnt lgkmcnt(7)
	;;#ASMSTART
	v_dot2_f32_f16 v0, v98, v102, v0
	;;#ASMEND
	s_nop 0
	;;#ASMSTART
	v_dot2_f32_f16 v0, v99, v103, v0
	;;#ASMEND
	s_nop 0
	;;#ASMSTART
	v_dot2_f32_f16 v0, v100, v104, v0
	;;#ASMEND
	s_nop 0
	;;#ASMSTART
	v_dot2_f32_f16 v0, v101, v105, v0
	;;#ASMEND
	s_waitcnt lgkmcnt(6)
	;;#ASMSTART
	v_dot2_f32_f16 v1, v98, v106, v1
	;;#ASMEND
	s_nop 0
	;;#ASMSTART
	v_dot2_f32_f16 v1, v99, v107, v1
	;;#ASMEND
	s_nop 0
	;;#ASMSTART
	v_dot2_f32_f16 v1, v100, v108, v1
	;;#ASMEND
	s_nop 0
	;;#ASMSTART
	v_dot2_f32_f16 v1, v101, v109, v1
	;;#ASMEND
	;; [unrolled: 16-line block ×8, first 2 shown]
	;;#ASMSTART
	v_dot2_f32_f16 v8, v32, v102, v8
	;;#ASMEND
	s_nop 0
	;;#ASMSTART
	v_dot2_f32_f16 v8, v33, v103, v8
	;;#ASMEND
	s_nop 0
	;;#ASMSTART
	v_dot2_f32_f16 v8, v34, v104, v8
	;;#ASMEND
	s_nop 0
	;;#ASMSTART
	v_dot2_f32_f16 v8, v35, v105, v8
	;;#ASMEND
	;;#ASMSTART
	v_dot2_f32_f16 v9, v32, v106, v9
	;;#ASMEND
	s_nop 0
	;;#ASMSTART
	v_dot2_f32_f16 v9, v33, v107, v9
	;;#ASMEND
	s_nop 0
	;;#ASMSTART
	v_dot2_f32_f16 v9, v34, v108, v9
	;;#ASMEND
	s_nop 0
	;;#ASMSTART
	v_dot2_f32_f16 v9, v35, v109, v9
	;;#ASMEND
	;; [unrolled: 15-line block ×8, first 2 shown]
	ds_read_b128 v[98:101], v41 offset:24608
	ds_read_b128 v[32:35], v41 offset:27168
	;; [unrolled: 1-line block ×10, first 2 shown]
	s_waitcnt lgkmcnt(7)
	;;#ASMSTART
	v_dot2_f32_f16 v0, v98, v102, v0
	;;#ASMEND
	s_nop 0
	;;#ASMSTART
	v_dot2_f32_f16 v0, v99, v103, v0
	;;#ASMEND
	s_nop 0
	;;#ASMSTART
	v_dot2_f32_f16 v0, v100, v104, v0
	;;#ASMEND
	s_nop 0
	;;#ASMSTART
	v_dot2_f32_f16 v0, v101, v105, v0
	;;#ASMEND
	s_waitcnt lgkmcnt(6)
	;;#ASMSTART
	v_dot2_f32_f16 v1, v98, v106, v1
	;;#ASMEND
	s_nop 0
	;;#ASMSTART
	v_dot2_f32_f16 v1, v99, v107, v1
	;;#ASMEND
	s_nop 0
	;;#ASMSTART
	v_dot2_f32_f16 v1, v100, v108, v1
	;;#ASMEND
	s_nop 0
	;;#ASMSTART
	v_dot2_f32_f16 v1, v101, v109, v1
	;;#ASMEND
	;; [unrolled: 16-line block ×8, first 2 shown]
	;;#ASMSTART
	v_dot2_f32_f16 v8, v32, v102, v8
	;;#ASMEND
	s_nop 0
	;;#ASMSTART
	v_dot2_f32_f16 v8, v33, v103, v8
	;;#ASMEND
	s_nop 0
	;;#ASMSTART
	v_dot2_f32_f16 v8, v34, v104, v8
	;;#ASMEND
	s_nop 0
	;;#ASMSTART
	v_dot2_f32_f16 v8, v35, v105, v8
	;;#ASMEND
	;;#ASMSTART
	v_dot2_f32_f16 v9, v32, v106, v9
	;;#ASMEND
	s_nop 0
	;;#ASMSTART
	v_dot2_f32_f16 v9, v33, v107, v9
	;;#ASMEND
	s_nop 0
	;;#ASMSTART
	v_dot2_f32_f16 v9, v34, v108, v9
	;;#ASMEND
	s_nop 0
	;;#ASMSTART
	v_dot2_f32_f16 v9, v35, v109, v9
	;;#ASMEND
	;; [unrolled: 15-line block ×8, first 2 shown]
	ds_read_b128 v[98:101], v41 offset:24624
	ds_read_b128 v[32:35], v41 offset:27184
	;; [unrolled: 1-line block ×10, first 2 shown]
	s_waitcnt lgkmcnt(7)
	;;#ASMSTART
	v_dot2_f32_f16 v0, v98, v102, v0
	;;#ASMEND
	s_nop 0
	;;#ASMSTART
	v_dot2_f32_f16 v0, v99, v103, v0
	;;#ASMEND
	s_nop 0
	;;#ASMSTART
	v_dot2_f32_f16 v0, v100, v104, v0
	;;#ASMEND
	s_nop 0
	;;#ASMSTART
	v_dot2_f32_f16 v0, v101, v105, v0
	;;#ASMEND
	s_waitcnt lgkmcnt(6)
	;;#ASMSTART
	v_dot2_f32_f16 v1, v98, v106, v1
	;;#ASMEND
	s_nop 0
	;;#ASMSTART
	v_dot2_f32_f16 v1, v99, v107, v1
	;;#ASMEND
	s_nop 0
	;;#ASMSTART
	v_dot2_f32_f16 v1, v100, v108, v1
	;;#ASMEND
	s_nop 0
	;;#ASMSTART
	v_dot2_f32_f16 v1, v101, v109, v1
	;;#ASMEND
	;; [unrolled: 16-line block ×8, first 2 shown]
	;;#ASMSTART
	v_dot2_f32_f16 v8, v32, v102, v8
	;;#ASMEND
	s_nop 0
	;;#ASMSTART
	v_dot2_f32_f16 v8, v33, v103, v8
	;;#ASMEND
	s_nop 0
	;;#ASMSTART
	v_dot2_f32_f16 v8, v34, v104, v8
	;;#ASMEND
	s_nop 0
	;;#ASMSTART
	v_dot2_f32_f16 v8, v35, v105, v8
	;;#ASMEND
	;;#ASMSTART
	v_dot2_f32_f16 v9, v32, v106, v9
	;;#ASMEND
	s_nop 0
	;;#ASMSTART
	v_dot2_f32_f16 v9, v33, v107, v9
	;;#ASMEND
	s_nop 0
	;;#ASMSTART
	v_dot2_f32_f16 v9, v34, v108, v9
	;;#ASMEND
	s_nop 0
	;;#ASMSTART
	v_dot2_f32_f16 v9, v35, v109, v9
	;;#ASMEND
	;; [unrolled: 15-line block ×7, first 2 shown]
	;;#ASMSTART
	v_dot2_f32_f16 v15, v32, v130, v15
	;;#ASMEND
	s_nop 0
	;;#ASMSTART
	v_dot2_f32_f16 v15, v33, v131, v15
	;;#ASMEND
	v_lshl_add_u64 v[32:33], v[36:37], 0, s[4:5]
	;;#ASMSTART
	v_dot2_f32_f16 v15, v34, v132, v15
	;;#ASMEND
	v_cndmask_b32_e32 v33, v92, v33, vcc
	;;#ASMSTART
	v_dot2_f32_f16 v15, v35, v133, v15
	;;#ASMEND
	v_cndmask_b32_e32 v32, v93, v32, vcc
	s_barrier
	scratch_store_dword off, v47, off
	scratch_store_dwordx3 off, v[94:96], off offset:4
	flat_load_dwordx4 v[32:35], v[32:33]
	s_mov_b64 s[4:5], 0xc0
	s_waitcnt vmcnt(0) lgkmcnt(0)
	ds_write_b128 v46, v[32:35] offset:24576
	s_waitcnt lgkmcnt(0)
	s_barrier
	ds_read_b128 v[98:101], v41 offset:24576
	ds_read_b128 v[32:35], v41 offset:27136
	;; [unrolled: 1-line block ×10, first 2 shown]
	s_waitcnt lgkmcnt(7)
	;;#ASMSTART
	v_dot2_f32_f16 v0, v98, v102, v0
	;;#ASMEND
	s_nop 0
	;;#ASMSTART
	v_dot2_f32_f16 v0, v99, v103, v0
	;;#ASMEND
	s_nop 0
	;;#ASMSTART
	v_dot2_f32_f16 v0, v100, v104, v0
	;;#ASMEND
	s_nop 0
	;;#ASMSTART
	v_dot2_f32_f16 v0, v101, v105, v0
	;;#ASMEND
	s_waitcnt lgkmcnt(6)
	;;#ASMSTART
	v_dot2_f32_f16 v1, v98, v106, v1
	;;#ASMEND
	s_nop 0
	;;#ASMSTART
	v_dot2_f32_f16 v1, v99, v107, v1
	;;#ASMEND
	s_nop 0
	;;#ASMSTART
	v_dot2_f32_f16 v1, v100, v108, v1
	;;#ASMEND
	s_nop 0
	;;#ASMSTART
	v_dot2_f32_f16 v1, v101, v109, v1
	;;#ASMEND
	;; [unrolled: 16-line block ×8, first 2 shown]
	;;#ASMSTART
	v_dot2_f32_f16 v8, v32, v102, v8
	;;#ASMEND
	s_nop 0
	;;#ASMSTART
	v_dot2_f32_f16 v8, v33, v103, v8
	;;#ASMEND
	s_nop 0
	;;#ASMSTART
	v_dot2_f32_f16 v8, v34, v104, v8
	;;#ASMEND
	s_nop 0
	;;#ASMSTART
	v_dot2_f32_f16 v8, v35, v105, v8
	;;#ASMEND
	;;#ASMSTART
	v_dot2_f32_f16 v9, v32, v106, v9
	;;#ASMEND
	s_nop 0
	;;#ASMSTART
	v_dot2_f32_f16 v9, v33, v107, v9
	;;#ASMEND
	s_nop 0
	;;#ASMSTART
	v_dot2_f32_f16 v9, v34, v108, v9
	;;#ASMEND
	s_nop 0
	;;#ASMSTART
	v_dot2_f32_f16 v9, v35, v109, v9
	;;#ASMEND
	;; [unrolled: 15-line block ×8, first 2 shown]
	ds_read_b128 v[98:101], v41 offset:24592
	ds_read_b128 v[32:35], v41 offset:27152
	;; [unrolled: 1-line block ×10, first 2 shown]
	s_waitcnt lgkmcnt(7)
	;;#ASMSTART
	v_dot2_f32_f16 v0, v98, v102, v0
	;;#ASMEND
	s_nop 0
	;;#ASMSTART
	v_dot2_f32_f16 v0, v99, v103, v0
	;;#ASMEND
	s_nop 0
	;;#ASMSTART
	v_dot2_f32_f16 v0, v100, v104, v0
	;;#ASMEND
	s_nop 0
	;;#ASMSTART
	v_dot2_f32_f16 v0, v101, v105, v0
	;;#ASMEND
	s_waitcnt lgkmcnt(6)
	;;#ASMSTART
	v_dot2_f32_f16 v1, v98, v106, v1
	;;#ASMEND
	s_nop 0
	;;#ASMSTART
	v_dot2_f32_f16 v1, v99, v107, v1
	;;#ASMEND
	s_nop 0
	;;#ASMSTART
	v_dot2_f32_f16 v1, v100, v108, v1
	;;#ASMEND
	s_nop 0
	;;#ASMSTART
	v_dot2_f32_f16 v1, v101, v109, v1
	;;#ASMEND
	;; [unrolled: 16-line block ×8, first 2 shown]
	;;#ASMSTART
	v_dot2_f32_f16 v8, v32, v102, v8
	;;#ASMEND
	s_nop 0
	;;#ASMSTART
	v_dot2_f32_f16 v8, v33, v103, v8
	;;#ASMEND
	s_nop 0
	;;#ASMSTART
	v_dot2_f32_f16 v8, v34, v104, v8
	;;#ASMEND
	s_nop 0
	;;#ASMSTART
	v_dot2_f32_f16 v8, v35, v105, v8
	;;#ASMEND
	;;#ASMSTART
	v_dot2_f32_f16 v9, v32, v106, v9
	;;#ASMEND
	s_nop 0
	;;#ASMSTART
	v_dot2_f32_f16 v9, v33, v107, v9
	;;#ASMEND
	s_nop 0
	;;#ASMSTART
	v_dot2_f32_f16 v9, v34, v108, v9
	;;#ASMEND
	s_nop 0
	;;#ASMSTART
	v_dot2_f32_f16 v9, v35, v109, v9
	;;#ASMEND
	;; [unrolled: 15-line block ×8, first 2 shown]
	ds_read_b128 v[98:101], v41 offset:24608
	ds_read_b128 v[32:35], v41 offset:27168
	;; [unrolled: 1-line block ×10, first 2 shown]
	s_waitcnt lgkmcnt(7)
	;;#ASMSTART
	v_dot2_f32_f16 v0, v98, v102, v0
	;;#ASMEND
	s_nop 0
	;;#ASMSTART
	v_dot2_f32_f16 v0, v99, v103, v0
	;;#ASMEND
	s_nop 0
	;;#ASMSTART
	v_dot2_f32_f16 v0, v100, v104, v0
	;;#ASMEND
	s_nop 0
	;;#ASMSTART
	v_dot2_f32_f16 v0, v101, v105, v0
	;;#ASMEND
	s_waitcnt lgkmcnt(6)
	;;#ASMSTART
	v_dot2_f32_f16 v1, v98, v106, v1
	;;#ASMEND
	s_nop 0
	;;#ASMSTART
	v_dot2_f32_f16 v1, v99, v107, v1
	;;#ASMEND
	s_nop 0
	;;#ASMSTART
	v_dot2_f32_f16 v1, v100, v108, v1
	;;#ASMEND
	s_nop 0
	;;#ASMSTART
	v_dot2_f32_f16 v1, v101, v109, v1
	;;#ASMEND
	;; [unrolled: 16-line block ×8, first 2 shown]
	;;#ASMSTART
	v_dot2_f32_f16 v8, v32, v102, v8
	;;#ASMEND
	s_nop 0
	;;#ASMSTART
	v_dot2_f32_f16 v8, v33, v103, v8
	;;#ASMEND
	s_nop 0
	;;#ASMSTART
	v_dot2_f32_f16 v8, v34, v104, v8
	;;#ASMEND
	s_nop 0
	;;#ASMSTART
	v_dot2_f32_f16 v8, v35, v105, v8
	;;#ASMEND
	;;#ASMSTART
	v_dot2_f32_f16 v9, v32, v106, v9
	;;#ASMEND
	s_nop 0
	;;#ASMSTART
	v_dot2_f32_f16 v9, v33, v107, v9
	;;#ASMEND
	s_nop 0
	;;#ASMSTART
	v_dot2_f32_f16 v9, v34, v108, v9
	;;#ASMEND
	s_nop 0
	;;#ASMSTART
	v_dot2_f32_f16 v9, v35, v109, v9
	;;#ASMEND
	;; [unrolled: 15-line block ×8, first 2 shown]
	ds_read_b128 v[98:101], v41 offset:24624
	ds_read_b128 v[32:35], v41 offset:27184
	;; [unrolled: 1-line block ×10, first 2 shown]
	s_waitcnt lgkmcnt(7)
	;;#ASMSTART
	v_dot2_f32_f16 v0, v98, v102, v0
	;;#ASMEND
	s_nop 0
	;;#ASMSTART
	v_dot2_f32_f16 v0, v99, v103, v0
	;;#ASMEND
	s_nop 0
	;;#ASMSTART
	v_dot2_f32_f16 v0, v100, v104, v0
	;;#ASMEND
	s_nop 0
	;;#ASMSTART
	v_dot2_f32_f16 v0, v101, v105, v0
	;;#ASMEND
	s_waitcnt lgkmcnt(6)
	;;#ASMSTART
	v_dot2_f32_f16 v1, v98, v106, v1
	;;#ASMEND
	s_nop 0
	;;#ASMSTART
	v_dot2_f32_f16 v1, v99, v107, v1
	;;#ASMEND
	s_nop 0
	;;#ASMSTART
	v_dot2_f32_f16 v1, v100, v108, v1
	;;#ASMEND
	s_nop 0
	;;#ASMSTART
	v_dot2_f32_f16 v1, v101, v109, v1
	;;#ASMEND
	;; [unrolled: 16-line block ×8, first 2 shown]
	;;#ASMSTART
	v_dot2_f32_f16 v8, v32, v102, v8
	;;#ASMEND
	s_nop 0
	;;#ASMSTART
	v_dot2_f32_f16 v8, v33, v103, v8
	;;#ASMEND
	s_nop 0
	;;#ASMSTART
	v_dot2_f32_f16 v8, v34, v104, v8
	;;#ASMEND
	s_nop 0
	;;#ASMSTART
	v_dot2_f32_f16 v8, v35, v105, v8
	;;#ASMEND
	;;#ASMSTART
	v_dot2_f32_f16 v9, v32, v106, v9
	;;#ASMEND
	s_nop 0
	;;#ASMSTART
	v_dot2_f32_f16 v9, v33, v107, v9
	;;#ASMEND
	s_nop 0
	;;#ASMSTART
	v_dot2_f32_f16 v9, v34, v108, v9
	;;#ASMEND
	s_nop 0
	;;#ASMSTART
	v_dot2_f32_f16 v9, v35, v109, v9
	;;#ASMEND
	;; [unrolled: 15-line block ×7, first 2 shown]
	;;#ASMSTART
	v_dot2_f32_f16 v15, v32, v130, v15
	;;#ASMEND
	s_nop 0
	;;#ASMSTART
	v_dot2_f32_f16 v15, v33, v131, v15
	;;#ASMEND
	v_lshl_add_u64 v[32:33], v[36:37], 0, s[4:5]
	;;#ASMSTART
	v_dot2_f32_f16 v15, v34, v132, v15
	;;#ASMEND
	v_cndmask_b32_e32 v33, v92, v33, vcc
	;;#ASMSTART
	v_dot2_f32_f16 v15, v35, v133, v15
	;;#ASMEND
	v_cndmask_b32_e32 v32, v93, v32, vcc
	s_barrier
	scratch_store_dword off, v47, off
	scratch_store_dwordx3 off, v[94:96], off offset:4
	flat_load_dwordx4 v[32:35], v[32:33]
	v_cmp_ne_u64_e32 vcc, 0, v[42:43]
	v_cmp_gt_i32_e64 s[4:5], s28, v40
	s_waitcnt vmcnt(0) lgkmcnt(0)
	ds_write_b128 v46, v[32:35] offset:24576
	s_waitcnt lgkmcnt(0)
	s_barrier
	ds_read_b128 v[92:95], v41 offset:24576
	ds_read_b128 v[32:35], v41 offset:27136
	;; [unrolled: 1-line block ×10, first 2 shown]
	s_waitcnt lgkmcnt(7)
	;;#ASMSTART
	v_dot2_f32_f16 v0, v92, v96, v0
	;;#ASMEND
	v_add_u32_e32 v46, s15, v39
	;;#ASMSTART
	v_dot2_f32_f16 v0, v93, v97, v0
	;;#ASMEND
	s_nop 0
	;;#ASMSTART
	v_dot2_f32_f16 v0, v94, v98, v0
	;;#ASMEND
	s_nop 0
	;;#ASMSTART
	v_dot2_f32_f16 v0, v95, v99, v0
	;;#ASMEND
	s_waitcnt lgkmcnt(6)
	;;#ASMSTART
	v_dot2_f32_f16 v1, v92, v100, v1
	;;#ASMEND
	s_nop 0
	;;#ASMSTART
	v_dot2_f32_f16 v1, v93, v101, v1
	;;#ASMEND
	s_nop 0
	;;#ASMSTART
	v_dot2_f32_f16 v1, v94, v102, v1
	;;#ASMEND
	s_nop 0
	;;#ASMSTART
	v_dot2_f32_f16 v1, v95, v103, v1
	;;#ASMEND
	s_waitcnt lgkmcnt(5)
	;;#ASMSTART
	v_dot2_f32_f16 v2, v92, v104, v2
	;;#ASMEND
	s_nop 0
	;;#ASMSTART
	v_dot2_f32_f16 v2, v93, v105, v2
	;;#ASMEND
	s_nop 0
	;;#ASMSTART
	v_dot2_f32_f16 v2, v94, v106, v2
	;;#ASMEND
	s_nop 0
	;;#ASMSTART
	v_dot2_f32_f16 v2, v95, v107, v2
	;;#ASMEND
	s_waitcnt lgkmcnt(4)
	;;#ASMSTART
	v_dot2_f32_f16 v3, v92, v108, v3
	;;#ASMEND
	s_nop 0
	;;#ASMSTART
	v_dot2_f32_f16 v3, v93, v109, v3
	;;#ASMEND
	s_nop 0
	;;#ASMSTART
	v_dot2_f32_f16 v3, v94, v110, v3
	;;#ASMEND
	s_nop 0
	;;#ASMSTART
	v_dot2_f32_f16 v3, v95, v111, v3
	;;#ASMEND
	s_waitcnt lgkmcnt(3)
	;;#ASMSTART
	v_dot2_f32_f16 v4, v92, v112, v4
	;;#ASMEND
	s_nop 0
	;;#ASMSTART
	v_dot2_f32_f16 v4, v93, v113, v4
	;;#ASMEND
	s_nop 0
	;;#ASMSTART
	v_dot2_f32_f16 v4, v94, v114, v4
	;;#ASMEND
	s_nop 0
	;;#ASMSTART
	v_dot2_f32_f16 v4, v95, v115, v4
	;;#ASMEND
	s_waitcnt lgkmcnt(2)
	;;#ASMSTART
	v_dot2_f32_f16 v5, v92, v116, v5
	;;#ASMEND
	s_nop 0
	;;#ASMSTART
	v_dot2_f32_f16 v5, v93, v117, v5
	;;#ASMEND
	s_nop 0
	;;#ASMSTART
	v_dot2_f32_f16 v5, v94, v118, v5
	;;#ASMEND
	s_nop 0
	;;#ASMSTART
	v_dot2_f32_f16 v5, v95, v119, v5
	;;#ASMEND
	s_waitcnt lgkmcnt(1)
	;;#ASMSTART
	v_dot2_f32_f16 v6, v92, v120, v6
	;;#ASMEND
	s_nop 0
	;;#ASMSTART
	v_dot2_f32_f16 v6, v93, v121, v6
	;;#ASMEND
	s_nop 0
	;;#ASMSTART
	v_dot2_f32_f16 v6, v94, v122, v6
	;;#ASMEND
	s_nop 0
	;;#ASMSTART
	v_dot2_f32_f16 v6, v95, v123, v6
	;;#ASMEND
	s_waitcnt lgkmcnt(0)
	;;#ASMSTART
	v_dot2_f32_f16 v7, v92, v124, v7
	;;#ASMEND
	s_nop 0
	;;#ASMSTART
	v_dot2_f32_f16 v7, v93, v125, v7
	;;#ASMEND
	s_nop 0
	;;#ASMSTART
	v_dot2_f32_f16 v7, v94, v126, v7
	;;#ASMEND
	s_nop 0
	;;#ASMSTART
	v_dot2_f32_f16 v7, v95, v127, v7
	;;#ASMEND
	;;#ASMSTART
	v_dot2_f32_f16 v8, v32, v96, v8
	;;#ASMEND
	s_nop 0
	;;#ASMSTART
	v_dot2_f32_f16 v8, v33, v97, v8
	;;#ASMEND
	s_nop 0
	;;#ASMSTART
	v_dot2_f32_f16 v8, v34, v98, v8
	;;#ASMEND
	s_nop 0
	;;#ASMSTART
	v_dot2_f32_f16 v8, v35, v99, v8
	;;#ASMEND
	;;#ASMSTART
	v_dot2_f32_f16 v9, v32, v100, v9
	;;#ASMEND
	s_nop 0
	;; [unrolled: 15-line block ×8, first 2 shown]
	;;#ASMSTART
	v_dot2_f32_f16 v15, v33, v125, v15
	;;#ASMEND
	s_nop 0
	;;#ASMSTART
	v_dot2_f32_f16 v15, v34, v126, v15
	;;#ASMEND
	s_nop 0
	;;#ASMSTART
	v_dot2_f32_f16 v15, v35, v127, v15
	;;#ASMEND
	ds_read_b128 v[92:95], v41 offset:24592
	ds_read_b128 v[32:35], v41 offset:27152
	;; [unrolled: 1-line block ×10, first 2 shown]
	s_waitcnt lgkmcnt(7)
	;;#ASMSTART
	v_dot2_f32_f16 v0, v92, v96, v0
	;;#ASMEND
	s_nop 0
	;;#ASMSTART
	v_dot2_f32_f16 v0, v93, v97, v0
	;;#ASMEND
	s_nop 0
	;;#ASMSTART
	v_dot2_f32_f16 v0, v94, v98, v0
	;;#ASMEND
	s_nop 0
	;;#ASMSTART
	v_dot2_f32_f16 v0, v95, v99, v0
	;;#ASMEND
	s_waitcnt lgkmcnt(6)
	;;#ASMSTART
	v_dot2_f32_f16 v1, v92, v100, v1
	;;#ASMEND
	s_nop 0
	;;#ASMSTART
	v_dot2_f32_f16 v1, v93, v101, v1
	;;#ASMEND
	s_nop 0
	;;#ASMSTART
	v_dot2_f32_f16 v1, v94, v102, v1
	;;#ASMEND
	s_nop 0
	;;#ASMSTART
	v_dot2_f32_f16 v1, v95, v103, v1
	;;#ASMEND
	;; [unrolled: 16-line block ×8, first 2 shown]
	;;#ASMSTART
	v_dot2_f32_f16 v8, v32, v96, v8
	;;#ASMEND
	s_nop 0
	;;#ASMSTART
	v_dot2_f32_f16 v8, v33, v97, v8
	;;#ASMEND
	s_nop 0
	;;#ASMSTART
	v_dot2_f32_f16 v8, v34, v98, v8
	;;#ASMEND
	s_nop 0
	;;#ASMSTART
	v_dot2_f32_f16 v8, v35, v99, v8
	;;#ASMEND
	;;#ASMSTART
	v_dot2_f32_f16 v9, v32, v100, v9
	;;#ASMEND
	s_nop 0
	;;#ASMSTART
	v_dot2_f32_f16 v9, v33, v101, v9
	;;#ASMEND
	s_nop 0
	;;#ASMSTART
	v_dot2_f32_f16 v9, v34, v102, v9
	;;#ASMEND
	s_nop 0
	;;#ASMSTART
	v_dot2_f32_f16 v9, v35, v103, v9
	;;#ASMEND
	;; [unrolled: 15-line block ×8, first 2 shown]
	ds_read_b128 v[92:95], v41 offset:24608
	ds_read_b128 v[32:35], v41 offset:27168
	;; [unrolled: 1-line block ×10, first 2 shown]
	s_waitcnt lgkmcnt(7)
	;;#ASMSTART
	v_dot2_f32_f16 v0, v92, v96, v0
	;;#ASMEND
	s_nop 0
	;;#ASMSTART
	v_dot2_f32_f16 v0, v93, v97, v0
	;;#ASMEND
	s_nop 0
	;;#ASMSTART
	v_dot2_f32_f16 v0, v94, v98, v0
	;;#ASMEND
	s_nop 0
	;;#ASMSTART
	v_dot2_f32_f16 v0, v95, v99, v0
	;;#ASMEND
	s_waitcnt lgkmcnt(6)
	;;#ASMSTART
	v_dot2_f32_f16 v1, v92, v100, v1
	;;#ASMEND
	s_nop 0
	;;#ASMSTART
	v_dot2_f32_f16 v1, v93, v101, v1
	;;#ASMEND
	s_nop 0
	;;#ASMSTART
	v_dot2_f32_f16 v1, v94, v102, v1
	;;#ASMEND
	s_nop 0
	;;#ASMSTART
	v_dot2_f32_f16 v1, v95, v103, v1
	;;#ASMEND
	;; [unrolled: 16-line block ×8, first 2 shown]
	;;#ASMSTART
	v_dot2_f32_f16 v8, v32, v96, v8
	;;#ASMEND
	s_nop 0
	;;#ASMSTART
	v_dot2_f32_f16 v8, v33, v97, v8
	;;#ASMEND
	s_nop 0
	;;#ASMSTART
	v_dot2_f32_f16 v8, v34, v98, v8
	;;#ASMEND
	s_nop 0
	;;#ASMSTART
	v_dot2_f32_f16 v8, v35, v99, v8
	;;#ASMEND
	;;#ASMSTART
	v_dot2_f32_f16 v9, v32, v100, v9
	;;#ASMEND
	s_nop 0
	;;#ASMSTART
	v_dot2_f32_f16 v9, v33, v101, v9
	;;#ASMEND
	s_nop 0
	;;#ASMSTART
	v_dot2_f32_f16 v9, v34, v102, v9
	;;#ASMEND
	s_nop 0
	;;#ASMSTART
	v_dot2_f32_f16 v9, v35, v103, v9
	;;#ASMEND
	;; [unrolled: 15-line block ×8, first 2 shown]
	ds_read_b128 v[92:95], v41 offset:24624
	ds_read_b128 v[32:35], v41 offset:27184
	;; [unrolled: 1-line block ×10, first 2 shown]
	s_waitcnt lgkmcnt(7)
	;;#ASMSTART
	v_dot2_f32_f16 v0, v92, v96, v0
	;;#ASMEND
	s_nop 0
	;;#ASMSTART
	v_dot2_f32_f16 v0, v93, v97, v0
	;;#ASMEND
	s_nop 0
	;;#ASMSTART
	v_dot2_f32_f16 v0, v94, v98, v0
	;;#ASMEND
	s_nop 0
	;;#ASMSTART
	v_dot2_f32_f16 v0, v95, v99, v0
	;;#ASMEND
	s_waitcnt lgkmcnt(6)
	;;#ASMSTART
	v_dot2_f32_f16 v1, v92, v100, v1
	;;#ASMEND
	s_nop 0
	;;#ASMSTART
	v_dot2_f32_f16 v1, v93, v101, v1
	;;#ASMEND
	s_nop 0
	;;#ASMSTART
	v_dot2_f32_f16 v1, v94, v102, v1
	;;#ASMEND
	s_nop 0
	;;#ASMSTART
	v_dot2_f32_f16 v1, v95, v103, v1
	;;#ASMEND
	;; [unrolled: 16-line block ×8, first 2 shown]
	;;#ASMSTART
	v_dot2_f32_f16 v8, v32, v96, v8
	;;#ASMEND
	s_nop 0
	;;#ASMSTART
	v_dot2_f32_f16 v8, v33, v97, v8
	;;#ASMEND
	s_nop 0
	;;#ASMSTART
	v_dot2_f32_f16 v8, v34, v98, v8
	;;#ASMEND
	s_nop 0
	;;#ASMSTART
	v_dot2_f32_f16 v8, v35, v99, v8
	;;#ASMEND
	;;#ASMSTART
	v_dot2_f32_f16 v9, v32, v100, v9
	;;#ASMEND
	s_nop 0
	;;#ASMSTART
	v_dot2_f32_f16 v9, v33, v101, v9
	;;#ASMEND
	s_nop 0
	;;#ASMSTART
	v_dot2_f32_f16 v9, v34, v102, v9
	;;#ASMEND
	s_nop 0
	;;#ASMSTART
	v_dot2_f32_f16 v9, v35, v103, v9
	;;#ASMEND
	;; [unrolled: 15-line block ×7, first 2 shown]
	;;#ASMSTART
	v_dot2_f32_f16 v15, v32, v124, v15
	;;#ASMEND
	v_cndmask_b32_e64 v32, 0, 1, vcc
	;;#ASMSTART
	v_dot2_f32_f16 v15, v33, v125, v15
	;;#ASMEND
	v_cmp_ne_u32_e64 s[8:9], 1, v32
	;;#ASMSTART
	v_dot2_f32_f16 v15, v34, v126, v15
	;;#ASMEND
	s_nop 0
	;;#ASMSTART
	v_dot2_f32_f16 v15, v35, v127, v15
	;;#ASMEND
	v_mov_b64_e32 v[38:39], v[30:31]
	v_mov_b64_e32 v[36:37], v[28:29]
	;; [unrolled: 1-line block ×4, first 2 shown]
	s_and_saveexec_b64 s[6:7], s[4:5]
	s_cbranch_execz .LBB52_52
; %bb.49:
	s_and_b64 vcc, exec, s[8:9]
	s_cbranch_vccnz .LBB52_51
; %bb.50:
	v_add_u32_e32 v32, v46, v40
	v_ashrrev_i32_e32 v33, 31, v32
	v_lshl_add_u64 v[32:33], v[32:33], 1, v[42:43]
	global_load_ushort v32, v[32:33], off
	s_waitcnt vmcnt(0)
	v_cvt_f32_f16_e32 v32, v32
	v_mul_f32_e32 v47, v69, v32
.LBB52_51:
	v_add_f32_e32 v0, v0, v47
	v_add_f32_e32 v32, 0x40051340, v0
	v_max_f32_e32 v33, v24, v24
	v_max_f32_e32 v41, v33, v32
	v_mov_b64_e32 v[38:39], v[30:31]
	v_mov_b64_e32 v[32:33], v[24:25]
	;; [unrolled: 1-line block ×4, first 2 shown]
	v_mov_b32_e32 v32, v41
.LBB52_52:
	s_or_b64 exec, exec, s[6:7]
	v_add_u32_e32 v99, 32, v40
	v_cmp_gt_i32_e64 s[6:7], s28, v99
	s_and_saveexec_b64 s[12:13], s[6:7]
	s_cbranch_execz .LBB52_57
; %bb.53:
	s_and_b64 vcc, exec, s[8:9]
	s_cbranch_vccnz .LBB52_55
; %bb.54:
	v_ashrrev_i32_e32 v47, 31, v46
	v_mov_b32_e32 v41, 0
	v_lshl_add_u64 v[46:47], v[46:47], 0, v[40:41]
	v_lshl_add_u64 v[46:47], v[46:47], 1, v[42:43]
	global_load_ushort v41, v[46:47], off offset:64
	s_waitcnt vmcnt(0)
	v_cvt_f32_f16_e32 v41, v41
	v_mul_f32_e32 v41, v69, v41
	s_branch .LBB52_56
.LBB52_55:
	v_mov_b32_e32 v41, 0
.LBB52_56:
	v_add_f32_e32 v8, v8, v41
	v_add_f32_e32 v41, 0x40051340, v8
	v_max_f32_e32 v32, v32, v32
	v_max_f32_e32 v32, v32, v41
.LBB52_57:
	s_or_b64 exec, exec, s[12:13]
	v_mbcnt_hi_u32_b32 v92, -1, v81
	v_and_b32_e32 v41, 0x60, v92
	v_add_u32_e32 v93, 32, v41
	v_xor_b32_e32 v95, 16, v92
	v_cmp_lt_i32_e32 vcc, v95, v93
	v_xor_b32_e32 v98, 8, v92
	v_xor_b32_e32 v96, 4, v92
	v_cndmask_b32_e32 v41, v92, v95, vcc
	v_lshlrev_b32_e32 v81, 2, v41
	ds_bpermute_b32 v41, v81, v32
	v_cmp_lt_i32_e32 vcc, v98, v93
	v_max_f32_e32 v32, v32, v32
	v_xor_b32_e32 v97, 2, v92
	v_cndmask_b32_e32 v46, v92, v98, vcc
	s_waitcnt lgkmcnt(0)
	v_max_f32_e32 v41, v41, v41
	v_lshlrev_b32_e32 v100, 2, v46
	v_max_f32_e32 v32, v32, v41
	ds_bpermute_b32 v41, v100, v32
	v_cmp_lt_i32_e32 vcc, v96, v93
	v_xor_b32_e32 v94, 1, v92
	s_waitcnt lgkmcnt(0)
	v_max_f32_e32 v41, v41, v41
	v_cndmask_b32_e32 v46, v92, v96, vcc
	v_lshlrev_b32_e32 v101, 2, v46
	v_max_f32_e32 v32, v32, v41
	ds_bpermute_b32 v41, v101, v32
	v_cmp_lt_i32_e32 vcc, v97, v93
	s_waitcnt lgkmcnt(0)
	v_max_f32_e32 v41, v41, v41
	v_cndmask_b32_e32 v46, v92, v97, vcc
	v_lshlrev_b32_e32 v102, 2, v46
	v_max_f32_e32 v32, v32, v41
	ds_bpermute_b32 v41, v102, v32
	v_cmp_lt_i32_e32 vcc, v94, v93
	s_waitcnt lgkmcnt(0)
	v_max_f32_e32 v41, v41, v41
	v_cndmask_b32_e32 v46, v92, v94, vcc
	v_lshlrev_b32_e32 v103, 2, v46
	v_max_f32_e32 v32, v32, v41
	ds_bpermute_b32 v41, v103, v32
	v_mul_hi_u32 v46, s24, v80
	s_waitcnt lgkmcnt(0)
	v_max_f32_e32 v41, v41, v41
	v_max_f32_e32 v32, v32, v41
	v_add_u32_e32 v41, v80, v46
	v_lshrrev_b32_e32 v41, s25, v41
	v_mul_lo_u32 v41, v41, s26
	v_sub_u32_e32 v41, v80, v41
	v_mul_lo_u32 v41, v41, s18
	v_add_u32_e32 v46, s15, v41
	s_and_saveexec_b64 s[12:13], s[4:5]
	s_cbranch_execz .LBB52_62
; %bb.58:
	s_and_b64 vcc, exec, s[8:9]
	s_cbranch_vccnz .LBB52_60
; %bb.59:
	v_add_u32_e32 v104, v46, v40
	v_ashrrev_i32_e32 v105, 31, v104
	v_lshl_add_u64 v[104:105], v[104:105], 1, v[42:43]
	global_load_ushort v41, v[104:105], off
	s_waitcnt vmcnt(0)
	v_cvt_f32_f16_e32 v41, v41
	v_mul_f32_e32 v41, v69, v41
	s_branch .LBB52_61
.LBB52_60:
	v_mov_b32_e32 v41, 0
.LBB52_61:
	v_add_f32_e32 v1, v1, v41
	v_add_f32_e32 v41, 0x40051340, v1
	v_max_f32_e32 v33, v33, v33
	v_max_f32_e32 v33, v33, v41
.LBB52_62:
	s_or_b64 exec, exec, s[12:13]
	s_and_saveexec_b64 s[12:13], s[6:7]
	s_cbranch_execz .LBB52_67
; %bb.63:
	s_and_b64 vcc, exec, s[8:9]
	s_cbranch_vccnz .LBB52_65
; %bb.64:
	v_ashrrev_i32_e32 v47, 31, v46
	v_mov_b32_e32 v41, 0
	v_lshl_add_u64 v[46:47], v[46:47], 0, v[40:41]
	v_lshl_add_u64 v[46:47], v[46:47], 1, v[42:43]
	global_load_ushort v41, v[46:47], off offset:64
	s_waitcnt vmcnt(0)
	v_cvt_f32_f16_e32 v41, v41
	v_mul_f32_e32 v41, v69, v41
	s_branch .LBB52_66
.LBB52_65:
	v_mov_b32_e32 v41, 0
.LBB52_66:
	v_add_f32_e32 v9, v9, v41
	v_add_f32_e32 v41, 0x40051340, v9
	v_max_f32_e32 v33, v33, v33
	v_max_f32_e32 v33, v33, v41
.LBB52_67:
	s_or_b64 exec, exec, s[12:13]
	ds_bpermute_b32 v41, v81, v33
	v_max_f32_e32 v33, v33, v33
	v_mul_hi_u32 v46, s24, v77
	v_add_u32_e32 v46, v77, v46
	v_lshrrev_b32_e32 v46, s25, v46
	s_waitcnt lgkmcnt(0)
	v_max_f32_e32 v41, v41, v41
	v_max_f32_e32 v33, v33, v41
	ds_bpermute_b32 v41, v100, v33
	v_mul_lo_u32 v46, v46, s26
	v_sub_u32_e32 v46, v77, v46
	v_mul_lo_u32 v46, v46, s18
	v_add_u32_e32 v46, s15, v46
	s_waitcnt lgkmcnt(0)
	v_max_f32_e32 v41, v41, v41
	v_max_f32_e32 v33, v33, v41
	ds_bpermute_b32 v41, v101, v33
	s_waitcnt lgkmcnt(0)
	v_max_f32_e32 v41, v41, v41
	v_max_f32_e32 v33, v33, v41
	ds_bpermute_b32 v41, v102, v33
	;; [unrolled: 4-line block ×3, first 2 shown]
	s_waitcnt lgkmcnt(0)
	v_max_f32_e32 v41, v41, v41
	v_max_f32_e32 v33, v33, v41
	s_and_saveexec_b64 s[12:13], s[4:5]
	s_cbranch_execz .LBB52_72
; %bb.68:
	s_and_b64 vcc, exec, s[8:9]
	s_cbranch_vccnz .LBB52_70
; %bb.69:
	v_add_u32_e32 v104, v46, v40
	v_ashrrev_i32_e32 v105, 31, v104
	v_lshl_add_u64 v[104:105], v[104:105], 1, v[42:43]
	global_load_ushort v41, v[104:105], off
	s_waitcnt vmcnt(0)
	v_cvt_f32_f16_e32 v41, v41
	v_mul_f32_e32 v41, v69, v41
	s_branch .LBB52_71
.LBB52_70:
	v_mov_b32_e32 v41, 0
.LBB52_71:
	v_add_f32_e32 v2, v2, v41
	v_add_f32_e32 v41, 0x40051340, v2
	v_max_f32_e32 v34, v34, v34
	v_max_f32_e32 v34, v34, v41
.LBB52_72:
	s_or_b64 exec, exec, s[12:13]
	s_and_saveexec_b64 s[12:13], s[6:7]
	s_cbranch_execz .LBB52_77
; %bb.73:
	s_and_b64 vcc, exec, s[8:9]
	s_cbranch_vccnz .LBB52_75
; %bb.74:
	v_ashrrev_i32_e32 v47, 31, v46
	v_mov_b32_e32 v41, 0
	v_lshl_add_u64 v[46:47], v[46:47], 0, v[40:41]
	v_lshl_add_u64 v[46:47], v[46:47], 1, v[42:43]
	global_load_ushort v41, v[46:47], off offset:64
	s_waitcnt vmcnt(0)
	v_cvt_f32_f16_e32 v41, v41
	v_mul_f32_e32 v41, v69, v41
	s_branch .LBB52_76
.LBB52_75:
	v_mov_b32_e32 v41, 0
.LBB52_76:
	v_add_f32_e32 v10, v10, v41
	v_add_f32_e32 v41, 0x40051340, v10
	v_max_f32_e32 v34, v34, v34
	v_max_f32_e32 v34, v34, v41
.LBB52_77:
	s_or_b64 exec, exec, s[12:13]
	ds_bpermute_b32 v41, v81, v34
	v_max_f32_e32 v34, v34, v34
	v_mul_hi_u32 v46, s24, v76
	v_add_u32_e32 v46, v76, v46
	v_lshrrev_b32_e32 v46, s25, v46
	s_waitcnt lgkmcnt(0)
	v_max_f32_e32 v41, v41, v41
	v_max_f32_e32 v34, v34, v41
	ds_bpermute_b32 v41, v100, v34
	v_mul_lo_u32 v46, v46, s26
	v_sub_u32_e32 v46, v76, v46
	v_mul_lo_u32 v46, v46, s18
	v_add_u32_e32 v46, s15, v46
	s_waitcnt lgkmcnt(0)
	v_max_f32_e32 v41, v41, v41
	v_max_f32_e32 v34, v34, v41
	ds_bpermute_b32 v41, v101, v34
	s_waitcnt lgkmcnt(0)
	v_max_f32_e32 v41, v41, v41
	v_max_f32_e32 v34, v34, v41
	ds_bpermute_b32 v41, v102, v34
	;; [unrolled: 4-line block ×3, first 2 shown]
	s_waitcnt lgkmcnt(0)
	v_max_f32_e32 v41, v41, v41
	v_max_f32_e32 v34, v34, v41
	s_and_saveexec_b64 s[12:13], s[4:5]
	s_cbranch_execz .LBB52_82
; %bb.78:
	s_and_b64 vcc, exec, s[8:9]
	s_cbranch_vccnz .LBB52_80
; %bb.79:
	v_add_u32_e32 v76, v46, v40
	v_ashrrev_i32_e32 v77, 31, v76
	v_lshl_add_u64 v[76:77], v[76:77], 1, v[42:43]
	global_load_ushort v41, v[76:77], off
	s_waitcnt vmcnt(0)
	v_cvt_f32_f16_e32 v41, v41
	v_mul_f32_e32 v41, v69, v41
	s_branch .LBB52_81
.LBB52_80:
	v_mov_b32_e32 v41, 0
.LBB52_81:
	v_add_f32_e32 v3, v3, v41
	v_add_f32_e32 v41, 0x40051340, v3
	v_max_f32_e32 v35, v35, v35
	v_max_f32_e32 v35, v35, v41
.LBB52_82:
	s_or_b64 exec, exec, s[12:13]
	s_and_saveexec_b64 s[12:13], s[6:7]
	s_cbranch_execz .LBB52_87
; %bb.83:
	s_and_b64 vcc, exec, s[8:9]
	s_cbranch_vccnz .LBB52_85
; %bb.84:
	v_ashrrev_i32_e32 v47, 31, v46
	v_mov_b32_e32 v41, 0
	v_lshl_add_u64 v[46:47], v[46:47], 0, v[40:41]
	v_lshl_add_u64 v[46:47], v[46:47], 1, v[42:43]
	global_load_ushort v41, v[46:47], off offset:64
	s_waitcnt vmcnt(0)
	v_cvt_f32_f16_e32 v41, v41
	v_mul_f32_e32 v41, v69, v41
	s_branch .LBB52_86
.LBB52_85:
	v_mov_b32_e32 v41, 0
.LBB52_86:
	v_add_f32_e32 v11, v11, v41
	v_add_f32_e32 v41, 0x40051340, v11
	v_max_f32_e32 v35, v35, v35
	v_max_f32_e32 v35, v35, v41
.LBB52_87:
	s_or_b64 exec, exec, s[12:13]
	ds_bpermute_b32 v41, v81, v35
	v_max_f32_e32 v35, v35, v35
	v_mul_hi_u32 v46, s24, v73
	v_add_u32_e32 v46, v73, v46
	v_lshrrev_b32_e32 v46, s25, v46
	s_waitcnt lgkmcnt(0)
	v_max_f32_e32 v41, v41, v41
	v_max_f32_e32 v35, v35, v41
	ds_bpermute_b32 v41, v100, v35
	v_mul_lo_u32 v46, v46, s26
	v_sub_u32_e32 v46, v73, v46
	v_mul_lo_u32 v46, v46, s18
	v_add_u32_e32 v46, s15, v46
	s_waitcnt lgkmcnt(0)
	v_max_f32_e32 v41, v41, v41
	v_max_f32_e32 v35, v35, v41
	ds_bpermute_b32 v41, v101, v35
	s_waitcnt lgkmcnt(0)
	v_max_f32_e32 v41, v41, v41
	v_max_f32_e32 v35, v35, v41
	ds_bpermute_b32 v41, v102, v35
	;; [unrolled: 4-line block ×3, first 2 shown]
	s_waitcnt lgkmcnt(0)
	v_max_f32_e32 v41, v41, v41
	v_max_f32_e32 v35, v35, v41
	s_and_saveexec_b64 s[12:13], s[4:5]
	s_cbranch_execz .LBB52_92
; %bb.88:
	s_and_b64 vcc, exec, s[8:9]
	s_cbranch_vccnz .LBB52_90
; %bb.89:
	v_add_u32_e32 v76, v46, v40
	v_ashrrev_i32_e32 v77, 31, v76
	v_lshl_add_u64 v[76:77], v[76:77], 1, v[42:43]
	global_load_ushort v41, v[76:77], off
	s_waitcnt vmcnt(0)
	v_cvt_f32_f16_e32 v41, v41
	v_mul_f32_e32 v41, v69, v41
	s_branch .LBB52_91
.LBB52_90:
	v_mov_b32_e32 v41, 0
.LBB52_91:
	v_add_f32_e32 v4, v4, v41
	v_add_f32_e32 v41, 0x40051340, v4
	v_max_f32_e32 v36, v36, v36
	v_max_f32_e32 v36, v36, v41
.LBB52_92:
	s_or_b64 exec, exec, s[12:13]
	s_and_saveexec_b64 s[12:13], s[6:7]
	s_cbranch_execz .LBB52_97
; %bb.93:
	s_and_b64 vcc, exec, s[8:9]
	s_cbranch_vccnz .LBB52_95
; %bb.94:
	v_ashrrev_i32_e32 v47, 31, v46
	v_mov_b32_e32 v41, 0
	v_lshl_add_u64 v[46:47], v[46:47], 0, v[40:41]
	v_lshl_add_u64 v[46:47], v[46:47], 1, v[42:43]
	global_load_ushort v41, v[46:47], off offset:64
	s_waitcnt vmcnt(0)
	v_cvt_f32_f16_e32 v41, v41
	v_mul_f32_e32 v41, v69, v41
	s_branch .LBB52_96
.LBB52_95:
	v_mov_b32_e32 v41, 0
.LBB52_96:
	v_add_f32_e32 v12, v12, v41
	v_add_f32_e32 v41, 0x40051340, v12
	v_max_f32_e32 v36, v36, v36
	v_max_f32_e32 v36, v36, v41
.LBB52_97:
	s_or_b64 exec, exec, s[12:13]
	ds_bpermute_b32 v41, v81, v36
	v_max_f32_e32 v36, v36, v36
	v_mul_hi_u32 v46, s24, v72
	v_add_u32_e32 v46, v72, v46
	v_lshrrev_b32_e32 v46, s25, v46
	s_waitcnt lgkmcnt(0)
	v_max_f32_e32 v41, v41, v41
	v_max_f32_e32 v36, v36, v41
	ds_bpermute_b32 v41, v100, v36
	v_mul_lo_u32 v46, v46, s26
	v_sub_u32_e32 v46, v72, v46
	v_mul_lo_u32 v46, v46, s18
	v_add_u32_e32 v46, s15, v46
	s_waitcnt lgkmcnt(0)
	v_max_f32_e32 v41, v41, v41
	v_max_f32_e32 v36, v36, v41
	ds_bpermute_b32 v41, v101, v36
	s_waitcnt lgkmcnt(0)
	v_max_f32_e32 v41, v41, v41
	v_max_f32_e32 v36, v36, v41
	ds_bpermute_b32 v41, v102, v36
	;; [unrolled: 4-line block ×3, first 2 shown]
	s_waitcnt lgkmcnt(0)
	v_max_f32_e32 v41, v41, v41
	v_max_f32_e32 v36, v36, v41
	s_and_saveexec_b64 s[12:13], s[4:5]
	s_cbranch_execz .LBB52_102
; %bb.98:
	s_and_b64 vcc, exec, s[8:9]
	s_cbranch_vccnz .LBB52_100
; %bb.99:
	v_add_u32_e32 v72, v46, v40
	v_ashrrev_i32_e32 v73, 31, v72
	v_lshl_add_u64 v[72:73], v[72:73], 1, v[42:43]
	global_load_ushort v41, v[72:73], off
	s_waitcnt vmcnt(0)
	v_cvt_f32_f16_e32 v41, v41
	v_mul_f32_e32 v41, v69, v41
	s_branch .LBB52_101
.LBB52_100:
	v_mov_b32_e32 v41, 0
.LBB52_101:
	v_add_f32_e32 v5, v5, v41
	v_add_f32_e32 v41, 0x40051340, v5
	v_max_f32_e32 v37, v37, v37
	v_max_f32_e32 v37, v37, v41
.LBB52_102:
	s_or_b64 exec, exec, s[12:13]
	s_and_saveexec_b64 s[12:13], s[6:7]
	s_cbranch_execz .LBB52_107
; %bb.103:
	s_and_b64 vcc, exec, s[8:9]
	s_cbranch_vccnz .LBB52_105
; %bb.104:
	v_ashrrev_i32_e32 v47, 31, v46
	v_mov_b32_e32 v41, 0
	v_lshl_add_u64 v[46:47], v[46:47], 0, v[40:41]
	v_lshl_add_u64 v[46:47], v[46:47], 1, v[42:43]
	global_load_ushort v41, v[46:47], off offset:64
	s_waitcnt vmcnt(0)
	v_cvt_f32_f16_e32 v41, v41
	v_mul_f32_e32 v41, v69, v41
	s_branch .LBB52_106
.LBB52_105:
	v_mov_b32_e32 v41, 0
.LBB52_106:
	v_add_f32_e32 v13, v13, v41
	v_add_f32_e32 v41, 0x40051340, v13
	v_max_f32_e32 v37, v37, v37
	v_max_f32_e32 v37, v37, v41
.LBB52_107:
	s_or_b64 exec, exec, s[12:13]
	ds_bpermute_b32 v41, v81, v37
	v_max_f32_e32 v37, v37, v37
	v_mul_hi_u32 v46, s24, v71
	v_add_u32_e32 v46, v71, v46
	v_lshrrev_b32_e32 v46, s25, v46
	s_waitcnt lgkmcnt(0)
	v_max_f32_e32 v41, v41, v41
	v_max_f32_e32 v37, v37, v41
	ds_bpermute_b32 v41, v100, v37
	v_mul_lo_u32 v46, v46, s26
	v_sub_u32_e32 v46, v71, v46
	v_mul_lo_u32 v46, v46, s18
	v_add_u32_e32 v46, s15, v46
	s_waitcnt lgkmcnt(0)
	v_max_f32_e32 v41, v41, v41
	v_max_f32_e32 v37, v37, v41
	ds_bpermute_b32 v41, v101, v37
	s_waitcnt lgkmcnt(0)
	v_max_f32_e32 v41, v41, v41
	v_max_f32_e32 v37, v37, v41
	ds_bpermute_b32 v41, v102, v37
	;; [unrolled: 4-line block ×3, first 2 shown]
	s_waitcnt lgkmcnt(0)
	v_max_f32_e32 v41, v41, v41
	v_max_f32_e32 v37, v37, v41
	s_and_saveexec_b64 s[12:13], s[4:5]
	s_cbranch_execz .LBB52_112
; %bb.108:
	s_and_b64 vcc, exec, s[8:9]
	s_cbranch_vccnz .LBB52_110
; %bb.109:
	v_add_u32_e32 v72, v46, v40
	v_ashrrev_i32_e32 v73, 31, v72
	v_lshl_add_u64 v[72:73], v[72:73], 1, v[42:43]
	global_load_ushort v41, v[72:73], off
	s_waitcnt vmcnt(0)
	v_cvt_f32_f16_e32 v41, v41
	v_mul_f32_e32 v41, v69, v41
	s_branch .LBB52_111
.LBB52_110:
	v_mov_b32_e32 v41, 0
.LBB52_111:
	v_add_f32_e32 v6, v6, v41
	v_add_f32_e32 v41, 0x40051340, v6
	v_max_f32_e32 v38, v38, v38
	v_max_f32_e32 v38, v38, v41
.LBB52_112:
	s_or_b64 exec, exec, s[12:13]
	s_and_saveexec_b64 s[12:13], s[6:7]
	s_cbranch_execz .LBB52_117
; %bb.113:
	s_and_b64 vcc, exec, s[8:9]
	s_cbranch_vccnz .LBB52_115
; %bb.114:
	v_ashrrev_i32_e32 v47, 31, v46
	v_mov_b32_e32 v41, 0
	v_lshl_add_u64 v[46:47], v[46:47], 0, v[40:41]
	v_lshl_add_u64 v[46:47], v[46:47], 1, v[42:43]
	global_load_ushort v41, v[46:47], off offset:64
	s_waitcnt vmcnt(0)
	v_cvt_f32_f16_e32 v41, v41
	v_mul_f32_e32 v41, v69, v41
	s_branch .LBB52_116
.LBB52_115:
	v_mov_b32_e32 v41, 0
.LBB52_116:
	v_add_f32_e32 v14, v14, v41
	v_add_f32_e32 v41, 0x40051340, v14
	v_max_f32_e32 v38, v38, v38
	v_max_f32_e32 v38, v38, v41
.LBB52_117:
	s_or_b64 exec, exec, s[12:13]
	ds_bpermute_b32 v41, v81, v38
	v_max_f32_e32 v38, v38, v38
	v_mul_hi_u32 v46, s24, v70
	v_add_u32_e32 v46, v70, v46
	v_lshrrev_b32_e32 v46, s25, v46
	s_waitcnt lgkmcnt(0)
	v_max_f32_e32 v41, v41, v41
	v_max_f32_e32 v38, v38, v41
	ds_bpermute_b32 v41, v100, v38
	v_mul_lo_u32 v46, v46, s26
	v_sub_u32_e32 v46, v70, v46
	v_mul_lo_u32 v46, v46, s18
	v_add_u32_e32 v46, s15, v46
	s_waitcnt lgkmcnt(0)
	v_max_f32_e32 v41, v41, v41
	v_max_f32_e32 v38, v38, v41
	ds_bpermute_b32 v41, v101, v38
	s_waitcnt lgkmcnt(0)
	v_max_f32_e32 v41, v41, v41
	v_max_f32_e32 v38, v38, v41
	ds_bpermute_b32 v41, v102, v38
	;; [unrolled: 4-line block ×3, first 2 shown]
	s_waitcnt lgkmcnt(0)
	v_max_f32_e32 v41, v41, v41
	v_max_f32_e32 v38, v38, v41
	s_and_saveexec_b64 s[12:13], s[4:5]
	s_cbranch_execz .LBB52_122
; %bb.118:
	s_and_b64 vcc, exec, s[8:9]
	s_cbranch_vccnz .LBB52_120
; %bb.119:
	v_add_u32_e32 v70, v46, v40
	v_ashrrev_i32_e32 v71, 31, v70
	v_lshl_add_u64 v[70:71], v[70:71], 1, v[42:43]
	global_load_ushort v41, v[70:71], off
	s_waitcnt vmcnt(0)
	v_cvt_f32_f16_e32 v41, v41
	v_mul_f32_e32 v41, v69, v41
	s_branch .LBB52_121
.LBB52_120:
	v_mov_b32_e32 v41, 0
.LBB52_121:
	v_add_f32_e32 v7, v7, v41
	v_add_f32_e32 v41, 0x40051340, v7
	v_max_f32_e32 v39, v39, v39
	v_max_f32_e32 v39, v39, v41
.LBB52_122:
	s_or_b64 exec, exec, s[12:13]
	s_and_saveexec_b64 s[4:5], s[6:7]
	s_cbranch_execz .LBB52_127
; %bb.123:
	s_and_b64 vcc, exec, s[8:9]
	s_cbranch_vccnz .LBB52_125
; %bb.124:
	v_ashrrev_i32_e32 v47, 31, v46
	v_mov_b32_e32 v41, 0
	v_lshl_add_u64 v[46:47], v[46:47], 0, v[40:41]
	v_lshl_add_u64 v[42:43], v[46:47], 1, v[42:43]
	global_load_ushort v41, v[42:43], off offset:64
	s_waitcnt vmcnt(0)
	v_cvt_f32_f16_e32 v41, v41
	v_mul_f32_e32 v41, v69, v41
	s_branch .LBB52_126
.LBB52_125:
	v_mov_b32_e32 v41, 0
.LBB52_126:
	v_add_f32_e32 v15, v15, v41
	v_add_f32_e32 v41, 0x40051340, v15
	v_max_f32_e32 v39, v39, v39
	v_max_f32_e32 v39, v39, v41
.LBB52_127:
	s_or_b64 exec, exec, s[4:5]
	v_sub_f32_e32 v42, v12, v36
	ds_bpermute_b32 v12, v81, v39
	v_max_f32_e32 v39, v39, v39
	v_sub_f32_e32 v0, v0, v32
	s_mov_b32 s12, 0x3fb8aa3b
	v_mul_f32_e32 v41, 0x3fb8aa3b, v0
	s_waitcnt lgkmcnt(0)
	v_max_f32_e32 v12, v12, v12
	v_max_f32_e32 v12, v39, v12
	ds_bpermute_b32 v39, v100, v12
	v_fma_f32 v43, v0, s12, -v41
	v_rndne_f32_e32 v46, v41
	v_fmac_f32_e32 v43, 0x32a5705f, v0
	v_sub_f32_e32 v41, v41, v46
	s_waitcnt lgkmcnt(0)
	v_max_f32_e32 v39, v39, v39
	v_max_f32_e32 v12, v12, v39
	ds_bpermute_b32 v39, v101, v12
	v_sub_f32_e32 v8, v8, v32
	s_mov_b32 s13, 0xc2ce8ed0
	v_cmp_ngt_f32_e32 vcc, s13, v0
	s_mov_b32 s18, 0x42b17218
	s_waitcnt lgkmcnt(0)
	v_max_f32_e32 v39, v39, v39
	v_max_f32_e32 v12, v12, v39
	ds_bpermute_b32 v39, v102, v12
	v_cmp_ngt_f32_e64 s[4:5], s13, v8
	v_sub_f32_e32 v1, v1, v33
	v_sub_f32_e32 v9, v9, v33
	;; [unrolled: 1-line block ×3, first 2 shown]
	s_waitcnt lgkmcnt(0)
	v_max_f32_e32 v39, v39, v39
	v_max_f32_e32 v12, v12, v39
	ds_bpermute_b32 v39, v103, v12
	v_sub_f32_e32 v10, v10, v34
	v_sub_f32_e32 v3, v3, v35
	;; [unrolled: 1-line block ×4, first 2 shown]
	s_waitcnt lgkmcnt(0)
	v_max_f32_e32 v39, v39, v39
	v_max_f32_e32 v39, v12, v39
	v_add_f32_e32 v12, v41, v43
	v_exp_f32_e32 v41, v12
	v_cvt_i32_f32_e32 v43, v46
	v_sub_f32_e32 v46, v24, v32
	v_cmp_ngt_f32_e64 s[6:7], s13, v46
	v_sub_f32_e32 v5, v5, v37
	v_ldexp_f32 v24, v41, v43
	v_mul_f32_e32 v43, 0x3fb8aa3b, v8
	v_fma_f32 v47, v8, s12, -v43
	v_rndne_f32_e32 v69, v43
	v_fmac_f32_e32 v47, 0x32a5705f, v8
	v_sub_f32_e32 v43, v43, v69
	v_add_f32_e32 v43, v43, v47
	v_exp_f32_e32 v43, v43
	v_cvt_i32_f32_e32 v47, v69
	v_cndmask_b32_e32 v41, 0, v24, vcc
	v_mov_b32_e32 v24, 0x7f800000
	v_cmp_nlt_f32_e32 vcc, s18, v0
	v_lshlrev_b32_e32 v12, 10, v66
	s_nop 0
	v_cndmask_b32_e32 v0, v24, v41, vcc
	v_cmp_gt_u32_e32 vcc, s28, v40
	v_mul_f32_e32 v41, 0x3fb8aa3b, v46
	s_barrier
	v_cndmask_b32_e32 v69, 0, v0, vcc
	v_ldexp_f32 v0, v43, v47
	v_fma_f32 v43, v46, s12, -v41
	v_rndne_f32_e32 v47, v41
	v_fmac_f32_e32 v43, 0x32a5705f, v46
	v_sub_f32_e32 v41, v41, v47
	v_add_f32_e32 v41, v41, v43
	v_exp_f32_e32 v41, v41
	v_cvt_i32_f32_e32 v43, v47
	v_cndmask_b32_e64 v0, 0, v0, s[4:5]
	v_cmp_nlt_f32_e64 s[4:5], s18, v8
	s_mov_b64 s[8:9], src_private_base
	s_nop 0
	v_cndmask_b32_e64 v0, v24, v0, s[4:5]
	v_cmp_gt_u32_e64 s[4:5], s28, v99
	s_mov_b32 s8, 0x10001
	s_nop 0
	v_cndmask_b32_e64 v8, 0, v0, s[4:5]
	v_ldexp_f32 v0, v41, v43
	v_cndmask_b32_e64 v0, 0, v0, s[6:7]
	v_cmp_nlt_f32_e64 s[6:7], s18, v46
	s_nop 1
	v_cndmask_b32_e64 v41, v24, v0, s[6:7]
	v_cvt_f16_f32_e32 v43, v41
	v_add_f32_e32 v0, v69, v8
	v_fmac_f32_e32 v0, v16, v41
	v_mul_f32_e32 v41, 0x3fb8aa3b, v1
	v_mul_u32_u24_e32 v16, 0x10001, v43
	v_fma_f32 v43, v1, s12, -v41
	v_rndne_f32_e32 v46, v41
	v_fmac_f32_e32 v43, 0x32a5705f, v1
	v_sub_f32_e32 v41, v41, v46
	v_add_f32_e32 v41, v41, v43
	v_exp_f32_e32 v43, v41
	v_cvt_i32_f32_e32 v46, v46
	v_pk_mul_f16 v47, v90, v16
	v_pk_mul_f16 v41, v91, v16
	v_sub_f32_e32 v16, v25, v33
	v_ldexp_f32 v25, v43, v46
	v_mul_f32_e32 v43, 0x3fb8aa3b, v9
	v_fma_f32 v46, v9, s12, -v43
	v_rndne_f32_e32 v70, v43
	v_fmac_f32_e32 v46, 0x32a5705f, v9
	v_sub_f32_e32 v43, v43, v70
	v_add_f32_e32 v43, v43, v46
	v_exp_f32_e32 v43, v43
	v_cvt_i32_f32_e32 v46, v70
	v_cmp_ngt_f32_e64 s[6:7], s13, v1
	s_nop 1
	v_cndmask_b32_e64 v25, 0, v25, s[6:7]
	v_cmp_nlt_f32_e64 s[6:7], s18, v1
	s_nop 1
	v_cndmask_b32_e64 v1, v24, v25, s[6:7]
	v_cndmask_b32_e32 v25, 0, v1, vcc
	v_ldexp_f32 v1, v43, v46
	v_mul_f32_e32 v43, 0x3fb8aa3b, v16
	v_fma_f32 v46, v16, s12, -v43
	v_rndne_f32_e32 v70, v43
	v_fmac_f32_e32 v46, 0x32a5705f, v16
	v_sub_f32_e32 v43, v43, v70
	v_add_f32_e32 v43, v43, v46
	v_exp_f32_e32 v43, v43
	v_cvt_i32_f32_e32 v46, v70
	v_cmp_ngt_f32_e64 s[6:7], s13, v9
	s_nop 1
	v_cndmask_b32_e64 v1, 0, v1, s[6:7]
	v_cmp_nlt_f32_e64 s[6:7], s18, v9
	v_ldexp_f32 v9, v43, v46
	s_nop 0
	v_cndmask_b32_e64 v1, v24, v1, s[6:7]
	v_cmp_ngt_f32_e64 s[6:7], s13, v16
	v_cndmask_b32_e64 v43, 0, v1, s[4:5]
	v_add_f32_e32 v1, v25, v43
	v_cndmask_b32_e64 v9, 0, v9, s[6:7]
	v_cmp_nlt_f32_e64 s[6:7], s18, v16
	s_nop 1
	v_cndmask_b32_e64 v9, v24, v9, s[6:7]
	v_cvt_f16_f32_e32 v16, v9
	v_fmac_f32_e32 v1, v17, v9
	v_cmp_ngt_f32_e64 s[6:7], s13, v2
	v_mul_u32_u24_e32 v9, 0x10001, v16
	v_mul_f32_e32 v16, 0x3fb8aa3b, v2
	v_fma_f32 v17, v2, s12, -v16
	v_rndne_f32_e32 v46, v16
	v_fmac_f32_e32 v17, 0x32a5705f, v2
	v_sub_f32_e32 v16, v16, v46
	v_add_f32_e32 v16, v16, v17
	v_exp_f32_e32 v16, v16
	v_cvt_i32_f32_e32 v17, v46
	v_pk_mul_f16 v46, v88, v9
	v_pk_mul_f16 v76, v89, v9
	v_sub_f32_e32 v9, v26, v34
	v_ldexp_f32 v16, v16, v17
	v_mul_f32_e32 v17, 0x3fb8aa3b, v10
	v_fma_f32 v26, v10, s12, -v17
	v_rndne_f32_e32 v70, v17
	v_fmac_f32_e32 v26, 0x32a5705f, v10
	v_sub_f32_e32 v17, v17, v70
	v_add_f32_e32 v17, v17, v26
	v_exp_f32_e32 v17, v17
	v_cvt_i32_f32_e32 v26, v70
	v_cndmask_b32_e64 v16, 0, v16, s[6:7]
	v_cmp_nlt_f32_e64 s[6:7], s18, v2
	s_nop 1
	v_cndmask_b32_e64 v2, v24, v16, s[6:7]
	v_cndmask_b32_e32 v16, 0, v2, vcc
	v_ldexp_f32 v2, v17, v26
	v_mul_f32_e32 v17, 0x3fb8aa3b, v9
	v_fma_f32 v26, v9, s12, -v17
	v_rndne_f32_e32 v70, v17
	v_fmac_f32_e32 v26, 0x32a5705f, v9
	v_sub_f32_e32 v17, v17, v70
	v_add_f32_e32 v17, v17, v26
	v_exp_f32_e32 v17, v17
	v_cvt_i32_f32_e32 v26, v70
	v_cmp_ngt_f32_e64 s[6:7], s13, v10
	s_nop 1
	v_cndmask_b32_e64 v2, 0, v2, s[6:7]
	v_cmp_nlt_f32_e64 s[6:7], s18, v10
	v_ldexp_f32 v10, v17, v26
	s_nop 0
	v_cndmask_b32_e64 v2, v24, v2, s[6:7]
	v_cmp_ngt_f32_e64 s[6:7], s13, v9
	v_cndmask_b32_e64 v17, 0, v2, s[4:5]
	v_add_f32_e32 v2, v16, v17
	v_cndmask_b32_e64 v10, 0, v10, s[6:7]
	v_cmp_nlt_f32_e64 s[6:7], s18, v9
	s_nop 1
	v_cndmask_b32_e64 v9, v24, v10, s[6:7]
	v_cvt_f16_f32_e32 v10, v9
	v_fmac_f32_e32 v2, v18, v9
	v_cmp_ngt_f32_e64 s[6:7], s13, v3
	v_mul_u32_u24_e32 v9, 0x10001, v10
	v_mul_f32_e32 v10, 0x3fb8aa3b, v3
	v_fma_f32 v18, v3, s12, -v10
	v_rndne_f32_e32 v26, v10
	v_fmac_f32_e32 v18, 0x32a5705f, v3
	v_sub_f32_e32 v10, v10, v26
	v_add_f32_e32 v10, v10, v18
	v_exp_f32_e32 v10, v10
	v_cvt_i32_f32_e32 v18, v26
	v_pk_mul_f16 v77, v86, v9
	v_pk_mul_f16 v80, v87, v9
	v_sub_f32_e32 v9, v27, v35
	v_ldexp_f32 v10, v10, v18
	v_mul_f32_e32 v18, 0x3fb8aa3b, v11
	v_fma_f32 v26, v11, s12, -v18
	v_rndne_f32_e32 v27, v18
	v_fmac_f32_e32 v26, 0x32a5705f, v11
	v_sub_f32_e32 v18, v18, v27
	v_add_f32_e32 v18, v18, v26
	v_exp_f32_e32 v18, v18
	v_cvt_i32_f32_e32 v26, v27
	v_cndmask_b32_e64 v10, 0, v10, s[6:7]
	v_cmp_nlt_f32_e64 s[6:7], s18, v3
	s_nop 1
	v_cndmask_b32_e64 v3, v24, v10, s[6:7]
	v_cndmask_b32_e32 v10, 0, v3, vcc
	v_ldexp_f32 v3, v18, v26
	v_mul_f32_e32 v18, 0x3fb8aa3b, v9
	v_fma_f32 v26, v9, s12, -v18
	v_rndne_f32_e32 v27, v18
	v_fmac_f32_e32 v26, 0x32a5705f, v9
	v_sub_f32_e32 v18, v18, v27
	v_add_f32_e32 v18, v18, v26
	v_exp_f32_e32 v18, v18
	v_cvt_i32_f32_e32 v26, v27
	v_cmp_ngt_f32_e64 s[6:7], s13, v11
	v_ldexp_f32 v18, v18, v26
	v_mul_f32_e32 v26, 0x3fb8aa3b, v4
	v_fma_f32 v27, v4, s12, -v26
	v_rndne_f32_e32 v70, v26
	v_fmac_f32_e32 v27, 0x32a5705f, v4
	v_sub_f32_e32 v26, v26, v70
	v_add_f32_e32 v26, v26, v27
	v_cndmask_b32_e64 v3, 0, v3, s[6:7]
	v_cmp_nlt_f32_e64 s[6:7], s18, v11
	v_exp_f32_e32 v26, v26
	v_cvt_i32_f32_e32 v27, v70
	v_cndmask_b32_e64 v3, v24, v3, s[6:7]
	v_cmp_ngt_f32_e64 s[6:7], s13, v9
	v_cndmask_b32_e64 v11, 0, v3, s[4:5]
	v_add_f32_e32 v3, v10, v11
	v_cndmask_b32_e64 v18, 0, v18, s[6:7]
	v_cmp_nlt_f32_e64 s[6:7], s18, v9
	s_nop 1
	v_cndmask_b32_e64 v9, v24, v18, s[6:7]
	v_cvt_f16_f32_e32 v18, v9
	v_fmac_f32_e32 v3, v19, v9
	v_ldexp_f32 v9, v26, v27
	v_mul_f32_e32 v26, 0x3fb8aa3b, v42
	v_sub_f32_e32 v19, v28, v36
	v_fma_f32 v27, v42, s12, -v26
	v_rndne_f32_e32 v28, v26
	v_fmac_f32_e32 v27, 0x32a5705f, v42
	v_sub_f32_e32 v26, v26, v28
	v_add_f32_e32 v26, v26, v27
	v_exp_f32_e32 v26, v26
	v_cvt_i32_f32_e32 v27, v28
	v_cmp_ngt_f32_e64 s[6:7], s13, v4
	v_mul_f32_e32 v71, 0x3fb8aa3b, v19
	v_fma_f32 v72, v19, s12, -v71
	v_cndmask_b32_e64 v9, 0, v9, s[6:7]
	v_cmp_nlt_f32_e64 s[6:7], s18, v4
	v_fmac_f32_e32 v72, 0x32a5705f, v19
	v_mul_u32_u24_e32 v18, 0x10001, v18
	v_cndmask_b32_e64 v4, v24, v9, s[6:7]
	v_cndmask_b32_e32 v70, 0, v4, vcc
	v_ldexp_f32 v4, v26, v27
	v_cmp_ngt_f32_e64 s[6:7], s13, v42
	v_pk_mul_f16 v84, v84, v18
	v_pk_mul_f16 v85, v85, v18
	v_cndmask_b32_e64 v4, 0, v4, s[6:7]
	v_cmp_nlt_f32_e64 s[6:7], s18, v42
	s_nop 1
	v_cndmask_b32_e64 v4, v24, v4, s[6:7]
	v_cndmask_b32_e64 v42, 0, v4, s[4:5]
	v_mul_f32_e32 v4, 0x3fb8aa3b, v5
	v_fma_f32 v9, v5, s12, -v4
	v_rndne_f32_e32 v26, v4
	v_fmac_f32_e32 v9, 0x32a5705f, v5
	v_sub_f32_e32 v4, v4, v26
	v_add_f32_e32 v4, v4, v9
	v_exp_f32_e32 v4, v4
	v_cvt_i32_f32_e32 v9, v26
	v_cmp_ngt_f32_e64 s[6:7], s13, v5
	v_ldexp_f32 v4, v4, v9
	v_sub_f32_e32 v9, v13, v37
	v_mul_f32_e32 v13, 0x3fb8aa3b, v9
	v_fma_f32 v26, v9, s12, -v13
	v_rndne_f32_e32 v27, v13
	v_fmac_f32_e32 v26, 0x32a5705f, v9
	v_sub_f32_e32 v13, v13, v27
	v_add_f32_e32 v13, v13, v26
	v_exp_f32_e32 v13, v13
	v_cvt_i32_f32_e32 v26, v27
	v_cndmask_b32_e64 v4, 0, v4, s[6:7]
	v_cmp_nlt_f32_e64 s[6:7], s18, v5
	v_sub_f32_e32 v5, v6, v38
	v_mul_f32_e32 v6, 0x3fb8aa3b, v5
	v_cndmask_b32_e64 v4, v24, v4, s[6:7]
	v_cndmask_b32_e32 v73, 0, v4, vcc
	v_ldexp_f32 v4, v13, v26
	v_fma_f32 v13, v5, s12, -v6
	v_rndne_f32_e32 v26, v6
	v_fmac_f32_e32 v13, 0x32a5705f, v5
	v_sub_f32_e32 v6, v6, v26
	v_add_f32_e32 v6, v6, v13
	v_exp_f32_e32 v6, v6
	v_cvt_i32_f32_e32 v13, v26
	v_cmp_ngt_f32_e64 s[6:7], s13, v9
	s_nop 1
	v_cndmask_b32_e64 v4, 0, v4, s[6:7]
	v_cmp_nlt_f32_e64 s[6:7], s18, v9
	s_nop 1
	v_cndmask_b32_e64 v4, v24, v4, s[6:7]
	v_cndmask_b32_e64 v81, 0, v4, s[4:5]
	v_ldexp_f32 v4, v6, v13
	v_sub_f32_e32 v6, v14, v38
	v_mul_f32_e32 v9, 0x3fb8aa3b, v6
	v_fma_f32 v13, v6, s12, -v9
	v_rndne_f32_e32 v14, v9
	v_fmac_f32_e32 v13, 0x32a5705f, v6
	v_sub_f32_e32 v9, v9, v14
	v_add_f32_e32 v9, v9, v13
	v_exp_f32_e32 v9, v9
	v_cvt_i32_f32_e32 v13, v14
	v_cmp_ngt_f32_e64 s[6:7], s13, v5
	s_nop 1
	v_cndmask_b32_e64 v4, 0, v4, s[6:7]
	v_cmp_nlt_f32_e64 s[6:7], s18, v5
	v_sub_f32_e32 v5, v7, v39
	v_mul_f32_e32 v7, 0x3fb8aa3b, v5
	v_cndmask_b32_e64 v4, v24, v4, s[6:7]
	v_cndmask_b32_e32 v86, 0, v4, vcc
	v_ldexp_f32 v4, v9, v13
	v_fma_f32 v9, v5, s12, -v7
	v_rndne_f32_e32 v13, v7
	v_fmac_f32_e32 v9, 0x32a5705f, v5
	v_sub_f32_e32 v7, v7, v13
	v_add_f32_e32 v7, v7, v9
	v_exp_f32_e32 v7, v7
	v_cvt_i32_f32_e32 v9, v13
	v_cmp_ngt_f32_e64 s[6:7], s13, v6
	s_nop 1
	v_cndmask_b32_e64 v4, 0, v4, s[6:7]
	v_cmp_nlt_f32_e64 s[6:7], s18, v6
	v_sub_f32_e32 v6, v15, v39
	v_mov_b32_e32 v15, s9
	v_cndmask_b32_e64 v4, v24, v4, s[6:7]
	v_cndmask_b32_e64 v13, 0, v4, s[4:5]
	v_ldexp_f32 v4, v7, v9
	v_mul_f32_e32 v7, 0x3fb8aa3b, v6
	v_fma_f32 v9, v6, s12, -v7
	v_rndne_f32_e32 v14, v7
	v_fmac_f32_e32 v9, 0x32a5705f, v6
	v_sub_f32_e32 v7, v7, v14
	v_add_f32_e32 v7, v7, v9
	v_exp_f32_e32 v7, v7
	v_cvt_i32_f32_e32 v9, v14
	v_cmp_ngt_f32_e64 s[6:7], s13, v5
	s_nop 1
	v_cndmask_b32_e64 v4, 0, v4, s[6:7]
	v_cmp_nlt_f32_e64 s[6:7], s18, v5
	v_cvt_pk_f16_f32 v5, v16, v10
	s_nop 0
	v_cndmask_b32_e64 v4, v24, v4, s[6:7]
	v_cndmask_b32_e32 v87, 0, v4, vcc
	v_ldexp_f32 v4, v7, v9
	v_cmp_ngt_f32_e32 vcc, s13, v6
	v_add_u32_e32 v9, 0x4000, v12
	v_lshl_add_u32 v14, v40, 4, v9
	v_cndmask_b32_e32 v4, 0, v4, vcc
	v_cmp_nlt_f32_e32 vcc, s18, v6
	v_cvt_pk_f16_f32 v7, v86, v87
	v_cvt_pk_f16_f32 v6, v70, v73
	v_cndmask_b32_e32 v4, v24, v4, vcc
	v_cndmask_b32_e64 v88, 0, v4, s[4:5]
	v_cvt_pk_f16_f32 v4, v69, v25
	ds_write_b128 v14, v[4:7]
	v_lshl_add_u32 v9, v99, 4, v9
	v_cvt_pk_f16_f32 v7, v13, v88
	v_cvt_pk_f16_f32 v6, v42, v81
	;; [unrolled: 1-line block ×4, first 2 shown]
	v_lshl_add_u32 v14, v66, 1, v68
	ds_write_b128 v9, v[4:7]
	v_mul_lo_u32 v4, s2, v14
	v_ashrrev_i32_e32 v5, 31, v4
	s_mov_b32 s4, 0
	v_lshl_add_u64 v[4:5], v[4:5], 2, s[10:11]
	v_lshlrev_b32_e32 v8, 2, v67
	v_mov_b32_e32 v9, 0
	s_mov_b32 s6, s4
	v_lshl_add_u64 v[10:11], v[4:5], 0, v[8:9]
	s_mul_hi_i32 s11, s15, s2
	s_mul_i32 s10, s15, s2
	s_mov_b32 s5, s4
	v_mov_b32_e32 v28, s6
	v_mov_b32_e32 v27, s5
	;; [unrolled: 1-line block ×3, first 2 shown]
	v_lshl_add_u64 v[4:5], s[10:11], 2, v[10:11]
	v_cmp_gt_i32_e32 vcc, s28, v14
	v_mov_b32_e32 v17, 0
	scratch_store_dword off, v9, off
	scratch_store_dwordx3 off, v[26:28], off offset:4
	v_cndmask_b32_e32 v5, v15, v5, vcc
	v_cndmask_b32_e32 v4, v17, v4, vcc
	flat_load_dwordx4 v[66:69], v[4:5]
	v_rndne_f32_e32 v4, v71
	v_sub_f32_e32 v5, v71, v4
	v_add_f32_e32 v5, v5, v72
	v_exp_f32_e32 v5, v5
	v_cvt_i32_f32_e32 v6, v4
	v_sub_f32_e32 v7, v29, v37
	v_cmp_ngt_f32_e32 vcc, s13, v19
	v_mul_f32_e32 v16, 0x3fb8aa3b, v7
	v_ldexp_f32 v5, v5, v6
	v_cndmask_b32_e32 v5, 0, v5, vcc
	v_cmp_nlt_f32_e32 vcc, s18, v19
	v_fma_f32 v18, v7, s12, -v16
	v_rndne_f32_e32 v19, v16
	v_fmac_f32_e32 v18, 0x32a5705f, v7
	v_sub_f32_e32 v16, v16, v19
	v_cndmask_b32_e32 v5, v24, v5, vcc
	v_add_f32_e32 v16, v16, v18
	v_cvt_f16_f32_e32 v6, v5
	v_exp_f32_e32 v16, v16
	v_cvt_i32_f32_e32 v18, v19
	v_add_f32_e32 v4, v70, v42
	v_fmac_f32_e32 v4, v20, v5
	v_mul_u32_u24_e32 v5, 0x10001, v6
	v_ldexp_f32 v6, v16, v18
	v_cmp_ngt_f32_e32 vcc, s13, v7
	v_pk_mul_f16 v29, v82, v5
	v_pk_mul_f16 v82, v83, v5
	v_cndmask_b32_e32 v6, 0, v6, vcc
	v_cmp_nlt_f32_e32 vcc, s18, v7
	v_add_f32_e32 v5, v73, v81
	s_or_b32 s4, s15, 16
	v_cndmask_b32_e32 v6, v24, v6, vcc
	v_cvt_f16_f32_e32 v7, v6
	v_fmac_f32_e32 v5, v21, v6
	s_mul_hi_i32 s5, s4, s2
	s_mul_i32 s4, s4, s2
	v_mul_u32_u24_e32 v6, 0x10001, v7
	v_sub_f32_e32 v7, v30, v38
	v_mul_f32_e32 v16, 0x3fb8aa3b, v7
	v_fma_f32 v18, v7, s12, -v16
	v_rndne_f32_e32 v19, v16
	v_fmac_f32_e32 v18, 0x32a5705f, v7
	v_sub_f32_e32 v16, v16, v19
	v_add_f32_e32 v16, v16, v18
	v_exp_f32_e32 v16, v16
	v_cvt_i32_f32_e32 v18, v19
	v_pk_mul_f16 v30, v78, v6
	v_pk_mul_f16 v78, v79, v6
	v_add_f32_e32 v6, v86, v13
	v_ldexp_f32 v13, v16, v18
	v_sub_f32_e32 v16, v31, v39
	v_mul_f32_e32 v18, 0x3fb8aa3b, v16
	v_cmp_ngt_f32_e32 vcc, s13, v7
	v_fma_f32 v19, v16, s12, -v18
	v_rndne_f32_e32 v20, v18
	v_cndmask_b32_e32 v13, 0, v13, vcc
	v_cmp_nlt_f32_e32 vcc, s18, v7
	v_fmac_f32_e32 v19, 0x32a5705f, v16
	v_sub_f32_e32 v18, v18, v20
	v_cndmask_b32_e32 v7, v24, v13, vcc
	v_add_f32_e32 v18, v18, v19
	v_cvt_f16_f32_e32 v13, v7
	v_exp_f32_e32 v18, v18
	v_cvt_i32_f32_e32 v19, v20
	v_fmac_f32_e32 v6, v22, v7
	v_mul_u32_u24_e32 v7, 0x10001, v13
	v_cmp_ngt_f32_e32 vcc, s13, v16
	v_ldexp_f32 v13, v18, v19
	v_pk_mul_f16 v31, v74, v7
	v_cndmask_b32_e32 v13, 0, v13, vcc
	v_cmp_nlt_f32_e32 vcc, s18, v16
	v_pk_mul_f16 v74, v75, v7
	v_add_f32_e32 v7, v87, v88
	v_cndmask_b32_e32 v13, v24, v13, vcc
	v_cvt_f16_f32_e32 v16, v13
	v_fmac_f32_e32 v7, v23, v13
	s_add_i32 s6, s28, -16
	v_cmp_gt_i32_e32 vcc, s6, v14
	v_mul_u32_u24_e32 v13, 0x10001, v16
	v_lshl_or_b32 v16, v14, 8, v8
	v_pk_mul_f16 v75, v44, v13
	v_pk_mul_f16 v79, v45, v13
	s_waitcnt vmcnt(0) lgkmcnt(0)
	ds_write_b128 v16, v[66:69] offset:24576
	s_waitcnt lgkmcnt(0)
	s_barrier
	v_add_u32_e32 v13, 0x6000, v65
	ds_read_b128 v[18:21], v12 offset:16384
	ds_read2_b64 v[22:25], v13 offset1:32
	ds_read_b128 v[42:45], v12 offset:16400
	ds_read_b128 v[66:69], v12 offset:16416
	;; [unrolled: 1-line block ×3, first 2 shown]
	s_waitcnt lgkmcnt(4)
	v_mul_u32_u24_sdwa v8, v18, s8 dst_sel:DWORD dst_unused:UNUSED_PAD src0_sel:WORD_0 src1_sel:DWORD
	v_mul_u32_u24_sdwa v18, v18, s8 dst_sel:DWORD dst_unused:UNUSED_PAD src0_sel:WORD_1 src1_sel:DWORD
	v_mul_u32_u24_sdwa v81, v19, s8 dst_sel:DWORD dst_unused:UNUSED_PAD src0_sel:WORD_0 src1_sel:DWORD
	v_mul_u32_u24_sdwa v19, v19, s8 dst_sel:DWORD dst_unused:UNUSED_PAD src0_sel:WORD_1 src1_sel:DWORD
	;; [unrolled: 2-line block ×4, first 2 shown]
	s_waitcnt lgkmcnt(3)
	v_pk_fma_f16 v47, v22, v8, v47
	v_pk_fma_f16 v46, v22, v18, v46
	;; [unrolled: 1-line block ×16, first 2 shown]
	s_waitcnt lgkmcnt(2)
	v_mul_u32_u24_sdwa v23, v42, s8 dst_sel:DWORD dst_unused:UNUSED_PAD src0_sel:WORD_0 src1_sel:DWORD
	v_mul_u32_u24_sdwa v42, v42, s8 dst_sel:DWORD dst_unused:UNUSED_PAD src0_sel:WORD_1 src1_sel:DWORD
	v_mul_u32_u24_sdwa v76, v43, s8 dst_sel:DWORD dst_unused:UNUSED_PAD src0_sel:WORD_0 src1_sel:DWORD
	v_mul_u32_u24_sdwa v43, v43, s8 dst_sel:DWORD dst_unused:UNUSED_PAD src0_sel:WORD_1 src1_sel:DWORD
	;; [unrolled: 2-line block ×4, first 2 shown]
	v_pk_fma_f16 v47, v24, v23, v47
	v_pk_fma_f16 v46, v24, v42, v46
	;; [unrolled: 1-line block ×16, first 2 shown]
	ds_read2_b64 v[18:21], v13 offset0:64 offset1:96
	s_waitcnt lgkmcnt(2)
	v_mul_u32_u24_sdwa v45, v66, s8 dst_sel:DWORD dst_unused:UNUSED_PAD src0_sel:WORD_0 src1_sel:DWORD
	v_mul_u32_u24_sdwa v66, v66, s8 dst_sel:DWORD dst_unused:UNUSED_PAD src0_sel:WORD_1 src1_sel:DWORD
	v_mul_u32_u24_sdwa v74, v67, s8 dst_sel:DWORD dst_unused:UNUSED_PAD src0_sel:WORD_0 src1_sel:DWORD
	v_mul_u32_u24_sdwa v67, v67, s8 dst_sel:DWORD dst_unused:UNUSED_PAD src0_sel:WORD_1 src1_sel:DWORD
	;; [unrolled: 2-line block ×4, first 2 shown]
	s_waitcnt lgkmcnt(0)
	v_pk_fma_f16 v47, v18, v45, v47
	v_pk_fma_f16 v46, v18, v66, v46
	;; [unrolled: 1-line block ×16, first 2 shown]
	v_mul_u32_u24_sdwa v25, v70, s8 dst_sel:DWORD dst_unused:UNUSED_PAD src0_sel:WORD_0 src1_sel:DWORD
	v_mul_u32_u24_sdwa v44, v70, s8 dst_sel:DWORD dst_unused:UNUSED_PAD src0_sel:WORD_1 src1_sel:DWORD
	v_mul_u32_u24_sdwa v45, v71, s8 dst_sel:DWORD dst_unused:UNUSED_PAD src0_sel:WORD_0 src1_sel:DWORD
	v_mul_u32_u24_sdwa v66, v71, s8 dst_sel:DWORD dst_unused:UNUSED_PAD src0_sel:WORD_1 src1_sel:DWORD
	;; [unrolled: 2-line block ×4, first 2 shown]
	v_pk_fma_f16 v47, v20, v25, v47
	v_pk_fma_f16 v72, v20, v66, v78
	;; [unrolled: 1-line block ×6, first 2 shown]
	ds_read_b128 v[22:25], v12 offset:16448
	v_pk_fma_f16 v46, v20, v44, v46
	v_pk_fma_f16 v71, v20, v45, v77
	;; [unrolled: 1-line block ×10, first 2 shown]
	ds_read2_b64 v[18:21], v13 offset0:128 offset1:160
	ds_read_b128 v[42:45], v12 offset:16464
	s_waitcnt lgkmcnt(2)
	v_mul_u32_u24_sdwa v70, v22, s8 dst_sel:DWORD dst_unused:UNUSED_PAD src0_sel:WORD_0 src1_sel:DWORD
	v_mul_u32_u24_sdwa v22, v22, s8 dst_sel:DWORD dst_unused:UNUSED_PAD src0_sel:WORD_1 src1_sel:DWORD
	v_mul_u32_u24_sdwa v76, v23, s8 dst_sel:DWORD dst_unused:UNUSED_PAD src0_sel:WORD_0 src1_sel:DWORD
	v_mul_u32_u24_sdwa v23, v23, s8 dst_sel:DWORD dst_unused:UNUSED_PAD src0_sel:WORD_1 src1_sel:DWORD
	;; [unrolled: 2-line block ×4, first 2 shown]
	s_waitcnt lgkmcnt(1)
	v_pk_fma_f16 v47, v18, v70, v47
	v_pk_fma_f16 v46, v18, v22, v46
	v_pk_fma_f16 v71, v18, v76, v71
	v_pk_fma_f16 v72, v18, v23, v72
	v_pk_fma_f16 v29, v18, v77, v29
	v_pk_fma_f16 v30, v18, v24, v30
	v_pk_fma_f16 v31, v18, v78, v31
	v_pk_fma_f16 v18, v18, v25, v73
	v_pk_fma_f16 v8, v19, v70, v8
	v_pk_fma_f16 v22, v19, v22, v74
	v_pk_fma_f16 v70, v19, v76, v75
	v_pk_fma_f16 v23, v19, v23, v66
	v_pk_fma_f16 v41, v19, v77, v41
	v_pk_fma_f16 v24, v19, v24, v67
	v_pk_fma_f16 v66, v19, v78, v68
	v_pk_fma_f16 v19, v19, v25, v69
	s_waitcnt lgkmcnt(0)
	v_mul_u32_u24_sdwa v25, v42, s8 dst_sel:DWORD dst_unused:UNUSED_PAD src0_sel:WORD_0 src1_sel:DWORD
	v_mul_u32_u24_sdwa v42, v42, s8 dst_sel:DWORD dst_unused:UNUSED_PAD src0_sel:WORD_1 src1_sel:DWORD
	v_mul_u32_u24_sdwa v67, v43, s8 dst_sel:DWORD dst_unused:UNUSED_PAD src0_sel:WORD_0 src1_sel:DWORD
	v_mul_u32_u24_sdwa v43, v43, s8 dst_sel:DWORD dst_unused:UNUSED_PAD src0_sel:WORD_1 src1_sel:DWORD
	;; [unrolled: 2-line block ×4, first 2 shown]
	v_pk_fma_f16 v47, v20, v25, v47
	v_pk_fma_f16 v71, v20, v67, v71
	;; [unrolled: 1-line block ×9, first 2 shown]
	ds_read_b128 v[22:25], v12 offset:16480
	v_pk_fma_f16 v46, v20, v42, v46
	v_pk_fma_f16 v72, v20, v43, v72
	;; [unrolled: 1-line block ×7, first 2 shown]
	ds_read2_b64 v[18:21], v13 offset0:192 offset1:224
	ds_read_b128 v[42:45], v12 offset:16496
	s_waitcnt lgkmcnt(2)
	v_mul_u32_u24_sdwa v75, v22, s8 dst_sel:DWORD dst_unused:UNUSED_PAD src0_sel:WORD_0 src1_sel:DWORD
	v_mul_u32_u24_sdwa v22, v22, s8 dst_sel:DWORD dst_unused:UNUSED_PAD src0_sel:WORD_1 src1_sel:DWORD
	v_mul_u32_u24_sdwa v76, v23, s8 dst_sel:DWORD dst_unused:UNUSED_PAD src0_sel:WORD_0 src1_sel:DWORD
	v_mul_u32_u24_sdwa v23, v23, s8 dst_sel:DWORD dst_unused:UNUSED_PAD src0_sel:WORD_1 src1_sel:DWORD
	;; [unrolled: 2-line block ×4, first 2 shown]
	s_waitcnt lgkmcnt(1)
	v_pk_fma_f16 v47, v18, v75, v47
	v_pk_fma_f16 v46, v18, v22, v46
	;; [unrolled: 1-line block ×16, first 2 shown]
	s_waitcnt lgkmcnt(0)
	v_mul_u32_u24_sdwa v25, v42, s8 dst_sel:DWORD dst_unused:UNUSED_PAD src0_sel:WORD_0 src1_sel:DWORD
	v_mul_u32_u24_sdwa v42, v42, s8 dst_sel:DWORD dst_unused:UNUSED_PAD src0_sel:WORD_1 src1_sel:DWORD
	v_mul_u32_u24_sdwa v68, v43, s8 dst_sel:DWORD dst_unused:UNUSED_PAD src0_sel:WORD_0 src1_sel:DWORD
	v_mul_u32_u24_sdwa v43, v43, s8 dst_sel:DWORD dst_unused:UNUSED_PAD src0_sel:WORD_1 src1_sel:DWORD
	v_mul_u32_u24_sdwa v69, v44, s8 dst_sel:DWORD dst_unused:UNUSED_PAD src0_sel:WORD_0 src1_sel:DWORD
	v_mul_u32_u24_sdwa v44, v44, s8 dst_sel:DWORD dst_unused:UNUSED_PAD src0_sel:WORD_1 src1_sel:DWORD
	v_mul_u32_u24_sdwa v70, v45, s8 dst_sel:DWORD dst_unused:UNUSED_PAD src0_sel:WORD_0 src1_sel:DWORD
	v_mul_u32_u24_sdwa v45, v45, s8 dst_sel:DWORD dst_unused:UNUSED_PAD src0_sel:WORD_1 src1_sel:DWORD
	v_pk_fma_f16 v47, v20, v25, v47
	v_pk_fma_f16 v71, v20, v68, v71
	;; [unrolled: 1-line block ×9, first 2 shown]
	ds_read_b128 v[22:25], v12 offset:16512
	v_add_u32_e32 v8, 0x6800, v65
	v_pk_fma_f16 v46, v20, v42, v46
	v_pk_fma_f16 v72, v20, v43, v72
	;; [unrolled: 1-line block ×7, first 2 shown]
	ds_read2_b64 v[18:21], v8 offset1:32
	ds_read_b128 v[42:45], v12 offset:16528
	s_waitcnt lgkmcnt(2)
	v_mul_u32_u24_sdwa v65, v22, s8 dst_sel:DWORD dst_unused:UNUSED_PAD src0_sel:WORD_0 src1_sel:DWORD
	v_mul_u32_u24_sdwa v22, v22, s8 dst_sel:DWORD dst_unused:UNUSED_PAD src0_sel:WORD_1 src1_sel:DWORD
	v_mul_u32_u24_sdwa v76, v23, s8 dst_sel:DWORD dst_unused:UNUSED_PAD src0_sel:WORD_0 src1_sel:DWORD
	v_mul_u32_u24_sdwa v23, v23, s8 dst_sel:DWORD dst_unused:UNUSED_PAD src0_sel:WORD_1 src1_sel:DWORD
	;; [unrolled: 2-line block ×4, first 2 shown]
	s_waitcnt lgkmcnt(1)
	v_pk_fma_f16 v47, v18, v65, v47
	v_pk_fma_f16 v46, v18, v22, v46
	;; [unrolled: 1-line block ×16, first 2 shown]
	s_waitcnt lgkmcnt(0)
	v_mul_u32_u24_sdwa v25, v42, s8 dst_sel:DWORD dst_unused:UNUSED_PAD src0_sel:WORD_0 src1_sel:DWORD
	v_mul_u32_u24_sdwa v42, v42, s8 dst_sel:DWORD dst_unused:UNUSED_PAD src0_sel:WORD_1 src1_sel:DWORD
	v_mul_u32_u24_sdwa v68, v43, s8 dst_sel:DWORD dst_unused:UNUSED_PAD src0_sel:WORD_0 src1_sel:DWORD
	v_mul_u32_u24_sdwa v43, v43, s8 dst_sel:DWORD dst_unused:UNUSED_PAD src0_sel:WORD_1 src1_sel:DWORD
	;; [unrolled: 2-line block ×4, first 2 shown]
	v_pk_fma_f16 v47, v20, v25, v47
	v_pk_fma_f16 v71, v20, v68, v71
	;; [unrolled: 1-line block ×9, first 2 shown]
	ds_read_b128 v[22:25], v12 offset:16544
	v_pk_fma_f16 v46, v20, v42, v46
	v_pk_fma_f16 v72, v20, v43, v72
	;; [unrolled: 1-line block ×7, first 2 shown]
	ds_read2_b64 v[18:21], v8 offset0:64 offset1:96
	ds_read_b128 v[42:45], v12 offset:16560
	s_waitcnt lgkmcnt(2)
	v_mul_u32_u24_sdwa v75, v22, s8 dst_sel:DWORD dst_unused:UNUSED_PAD src0_sel:WORD_0 src1_sel:DWORD
	v_mul_u32_u24_sdwa v22, v22, s8 dst_sel:DWORD dst_unused:UNUSED_PAD src0_sel:WORD_1 src1_sel:DWORD
	v_mul_u32_u24_sdwa v76, v23, s8 dst_sel:DWORD dst_unused:UNUSED_PAD src0_sel:WORD_0 src1_sel:DWORD
	v_mul_u32_u24_sdwa v23, v23, s8 dst_sel:DWORD dst_unused:UNUSED_PAD src0_sel:WORD_1 src1_sel:DWORD
	;; [unrolled: 2-line block ×4, first 2 shown]
	s_waitcnt lgkmcnt(1)
	v_pk_fma_f16 v47, v18, v75, v47
	v_pk_fma_f16 v46, v18, v22, v46
	v_pk_fma_f16 v71, v18, v76, v71
	v_pk_fma_f16 v72, v18, v23, v72
	v_pk_fma_f16 v29, v18, v77, v29
	v_pk_fma_f16 v30, v18, v24, v30
	v_pk_fma_f16 v31, v18, v78, v31
	v_pk_fma_f16 v18, v18, v25, v73
	v_pk_fma_f16 v65, v19, v75, v65
	v_pk_fma_f16 v22, v19, v22, v74
	v_pk_fma_f16 v67, v19, v76, v67
	v_pk_fma_f16 v23, v19, v23, v68
	v_pk_fma_f16 v41, v19, v77, v41
	v_pk_fma_f16 v24, v19, v24, v69
	v_pk_fma_f16 v66, v19, v78, v66
	v_pk_fma_f16 v19, v19, v25, v70
	s_waitcnt lgkmcnt(0)
	v_mul_u32_u24_sdwa v25, v42, s8 dst_sel:DWORD dst_unused:UNUSED_PAD src0_sel:WORD_0 src1_sel:DWORD
	v_mul_u32_u24_sdwa v42, v42, s8 dst_sel:DWORD dst_unused:UNUSED_PAD src0_sel:WORD_1 src1_sel:DWORD
	v_mul_u32_u24_sdwa v68, v43, s8 dst_sel:DWORD dst_unused:UNUSED_PAD src0_sel:WORD_0 src1_sel:DWORD
	v_mul_u32_u24_sdwa v43, v43, s8 dst_sel:DWORD dst_unused:UNUSED_PAD src0_sel:WORD_1 src1_sel:DWORD
	;; [unrolled: 2-line block ×3, first 2 shown]
	v_pk_fma_f16 v47, v20, v25, v47
	v_pk_fma_f16 v65, v21, v25, v65
	;; [unrolled: 1-line block ×5, first 2 shown]
	ds_read_b128 v[22:25], v12 offset:16576
	v_mul_u32_u24_sdwa v70, v45, s8 dst_sel:DWORD dst_unused:UNUSED_PAD src0_sel:WORD_0 src1_sel:DWORD
	v_mul_u32_u24_sdwa v45, v45, s8 dst_sel:DWORD dst_unused:UNUSED_PAD src0_sel:WORD_1 src1_sel:DWORD
	v_pk_fma_f16 v46, v20, v42, v46
	v_pk_fma_f16 v71, v20, v68, v71
	;; [unrolled: 1-line block ×11, first 2 shown]
	ds_read2_b64 v[18:21], v8 offset0:128 offset1:160
	ds_read_b128 v[42:45], v12 offset:16592
	s_waitcnt lgkmcnt(2)
	v_mul_u32_u24_sdwa v88, v24, s8 dst_sel:DWORD dst_unused:UNUSED_PAD src0_sel:WORD_1 src1_sel:DWORD
	v_mul_u32_u24_sdwa v89, v25, s8 dst_sel:DWORD dst_unused:UNUSED_PAD src0_sel:WORD_0 src1_sel:DWORD
	v_mul_u32_u24_sdwa v66, v22, s8 dst_sel:DWORD dst_unused:UNUSED_PAD src0_sel:WORD_0 src1_sel:DWORD
	v_mul_u32_u24_sdwa v84, v22, s8 dst_sel:DWORD dst_unused:UNUSED_PAD src0_sel:WORD_1 src1_sel:DWORD
	v_mul_u32_u24_sdwa v85, v23, s8 dst_sel:DWORD dst_unused:UNUSED_PAD src0_sel:WORD_0 src1_sel:DWORD
	v_mul_u32_u24_sdwa v86, v23, s8 dst_sel:DWORD dst_unused:UNUSED_PAD src0_sel:WORD_1 src1_sel:DWORD
	;; [unrolled: 2-line block ×3, first 2 shown]
	s_waitcnt lgkmcnt(1)
	v_pk_fma_f16 v100, v18, v88, v30
	v_pk_fma_f16 v101, v18, v89, v31
	v_lshl_add_u64 v[30:31], s[4:5], 2, v[10:11]
	v_pk_fma_f16 v47, v18, v66, v47
	v_pk_fma_f16 v46, v18, v84, v46
	;; [unrolled: 1-line block ×7, first 2 shown]
	ds_read2_b64 v[22:25], v8 offset0:192 offset1:224
	ds_read_b128 v[66:69], v12 offset:16608
	ds_read_b128 v[70:73], v12 offset:16624
	s_waitcnt lgkmcnt(0)
	s_barrier
	scratch_store_dword off, v9, off
	scratch_store_dwordx3 off, v[26:28], off offset:4
	v_cndmask_b32_e32 v31, v15, v31, vcc
	v_cndmask_b32_e32 v30, v17, v30, vcc
	flat_load_dwordx4 v[74:77], v[30:31]
	v_pk_fma_f16 v30, v19, v84, v78
	v_pk_fma_f16 v31, v19, v85, v79
	v_pk_fma_f16 v78, v19, v86, v80
	v_pk_fma_f16 v41, v19, v87, v41
	v_pk_fma_f16 v79, v19, v88, v81
	v_pk_fma_f16 v80, v19, v89, v82
	v_pk_fma_f16 v19, v19, v90, v83
	v_mul_u32_u24_sdwa v81, v42, s8 dst_sel:DWORD dst_unused:UNUSED_PAD src0_sel:WORD_0 src1_sel:DWORD
	v_mul_u32_u24_sdwa v42, v42, s8 dst_sel:DWORD dst_unused:UNUSED_PAD src0_sel:WORD_1 src1_sel:DWORD
	v_mul_u32_u24_sdwa v82, v43, s8 dst_sel:DWORD dst_unused:UNUSED_PAD src0_sel:WORD_0 src1_sel:DWORD
	v_mul_u32_u24_sdwa v43, v43, s8 dst_sel:DWORD dst_unused:UNUSED_PAD src0_sel:WORD_1 src1_sel:DWORD
	v_mul_u32_u24_sdwa v83, v44, s8 dst_sel:DWORD dst_unused:UNUSED_PAD src0_sel:WORD_0 src1_sel:DWORD
	v_mul_u32_u24_sdwa v44, v44, s8 dst_sel:DWORD dst_unused:UNUSED_PAD src0_sel:WORD_1 src1_sel:DWORD
	v_mul_u32_u24_sdwa v84, v45, s8 dst_sel:DWORD dst_unused:UNUSED_PAD src0_sel:WORD_0 src1_sel:DWORD
	v_mul_u32_u24_sdwa v45, v45, s8 dst_sel:DWORD dst_unused:UNUSED_PAD src0_sel:WORD_1 src1_sel:DWORD
	v_pk_fma_f16 v47, v20, v81, v47
	v_pk_fma_f16 v46, v20, v42, v46
	v_pk_fma_f16 v85, v20, v82, v91
	v_pk_fma_f16 v86, v20, v43, v99
	v_pk_fma_f16 v29, v20, v83, v29
	v_pk_fma_f16 v87, v20, v44, v100
	v_pk_fma_f16 v88, v20, v84, v101
	v_pk_fma_f16 v18, v20, v45, v18
	v_pk_fma_f16 v20, v21, v81, v65
	v_pk_fma_f16 v30, v21, v42, v30
	v_pk_fma_f16 v31, v21, v82, v31
	v_pk_fma_f16 v42, v21, v43, v78
	v_pk_fma_f16 v41, v21, v83, v41
	v_pk_fma_f16 v43, v21, v44, v79
	v_pk_fma_f16 v44, v21, v84, v80
	v_pk_fma_f16 v19, v21, v45, v19
	v_mul_u32_u24_sdwa v21, v66, s8 dst_sel:DWORD dst_unused:UNUSED_PAD src0_sel:WORD_0 src1_sel:DWORD
	v_mul_u32_u24_sdwa v45, v66, s8 dst_sel:DWORD dst_unused:UNUSED_PAD src0_sel:WORD_1 src1_sel:DWORD
	v_mul_u32_u24_sdwa v65, v67, s8 dst_sel:DWORD dst_unused:UNUSED_PAD src0_sel:WORD_0 src1_sel:DWORD
	v_mul_u32_u24_sdwa v66, v67, s8 dst_sel:DWORD dst_unused:UNUSED_PAD src0_sel:WORD_1 src1_sel:DWORD
	v_mul_u32_u24_sdwa v67, v68, s8 dst_sel:DWORD dst_unused:UNUSED_PAD src0_sel:WORD_0 src1_sel:DWORD
	v_mul_u32_u24_sdwa v68, v68, s8 dst_sel:DWORD dst_unused:UNUSED_PAD src0_sel:WORD_1 src1_sel:DWORD
	v_mul_u32_u24_sdwa v78, v69, s8 dst_sel:DWORD dst_unused:UNUSED_PAD src0_sel:WORD_0 src1_sel:DWORD
	v_mul_u32_u24_sdwa v69, v69, s8 dst_sel:DWORD dst_unused:UNUSED_PAD src0_sel:WORD_1 src1_sel:DWORD
	v_pk_fma_f16 v47, v22, v21, v47
	v_pk_fma_f16 v46, v22, v45, v46
	v_pk_fma_f16 v79, v22, v65, v85
	v_pk_fma_f16 v80, v22, v66, v86
	v_pk_fma_f16 v29, v22, v67, v29
	v_pk_fma_f16 v81, v22, v68, v87
	v_pk_fma_f16 v82, v22, v78, v88
	v_pk_fma_f16 v18, v22, v69, v18
	v_pk_fma_f16 v20, v23, v21, v20
	;; [unrolled: 24-line block ×3, first 2 shown]
	v_pk_fma_f16 v84, v25, v43, v21
	v_pk_fma_f16 v85, v25, v44, v22
	;; [unrolled: 1-line block ×7, first 2 shown]
	s_waitcnt vmcnt(0) lgkmcnt(0)
	ds_write_b128 v16, v[74:77] offset:24576
	s_waitcnt lgkmcnt(0)
	s_barrier
	ds_read_b128 v[18:21], v12 offset:16640
	ds_read2_b64 v[22:25], v13 offset1:32
	ds_read_b128 v[42:45], v12 offset:16656
	ds_read_b128 v[66:69], v12 offset:16672
	;; [unrolled: 1-line block ×3, first 2 shown]
	s_waitcnt lgkmcnt(4)
	v_mul_u32_u24_sdwa v74, v18, s8 dst_sel:DWORD dst_unused:UNUSED_PAD src0_sel:WORD_0 src1_sel:DWORD
	v_mul_u32_u24_sdwa v18, v18, s8 dst_sel:DWORD dst_unused:UNUSED_PAD src0_sel:WORD_1 src1_sel:DWORD
	v_mul_u32_u24_sdwa v75, v19, s8 dst_sel:DWORD dst_unused:UNUSED_PAD src0_sel:WORD_0 src1_sel:DWORD
	v_mul_u32_u24_sdwa v19, v19, s8 dst_sel:DWORD dst_unused:UNUSED_PAD src0_sel:WORD_1 src1_sel:DWORD
	;; [unrolled: 2-line block ×4, first 2 shown]
	s_waitcnt lgkmcnt(3)
	v_pk_fma_f16 v47, v22, v74, v47
	v_pk_fma_f16 v46, v22, v18, v46
	;; [unrolled: 1-line block ×16, first 2 shown]
	s_waitcnt lgkmcnt(2)
	v_mul_u32_u24_sdwa v23, v42, s8 dst_sel:DWORD dst_unused:UNUSED_PAD src0_sel:WORD_0 src1_sel:DWORD
	v_mul_u32_u24_sdwa v41, v42, s8 dst_sel:DWORD dst_unused:UNUSED_PAD src0_sel:WORD_1 src1_sel:DWORD
	v_mul_u32_u24_sdwa v42, v43, s8 dst_sel:DWORD dst_unused:UNUSED_PAD src0_sel:WORD_0 src1_sel:DWORD
	v_mul_u32_u24_sdwa v43, v43, s8 dst_sel:DWORD dst_unused:UNUSED_PAD src0_sel:WORD_1 src1_sel:DWORD
	v_mul_u32_u24_sdwa v65, v44, s8 dst_sel:DWORD dst_unused:UNUSED_PAD src0_sel:WORD_0 src1_sel:DWORD
	v_mul_u32_u24_sdwa v44, v44, s8 dst_sel:DWORD dst_unused:UNUSED_PAD src0_sel:WORD_1 src1_sel:DWORD
	v_mul_u32_u24_sdwa v76, v45, s8 dst_sel:DWORD dst_unused:UNUSED_PAD src0_sel:WORD_0 src1_sel:DWORD
	v_mul_u32_u24_sdwa v45, v45, s8 dst_sel:DWORD dst_unused:UNUSED_PAD src0_sel:WORD_1 src1_sel:DWORD
	v_pk_fma_f16 v47, v24, v23, v47
	v_pk_fma_f16 v46, v24, v41, v46
	;; [unrolled: 1-line block ×16, first 2 shown]
	ds_read2_b64 v[18:21], v13 offset0:64 offset1:96
	s_waitcnt lgkmcnt(2)
	v_mul_u32_u24_sdwa v44, v66, s8 dst_sel:DWORD dst_unused:UNUSED_PAD src0_sel:WORD_0 src1_sel:DWORD
	v_mul_u32_u24_sdwa v45, v66, s8 dst_sel:DWORD dst_unused:UNUSED_PAD src0_sel:WORD_1 src1_sel:DWORD
	v_mul_u32_u24_sdwa v65, v67, s8 dst_sel:DWORD dst_unused:UNUSED_PAD src0_sel:WORD_0 src1_sel:DWORD
	v_mul_u32_u24_sdwa v66, v67, s8 dst_sel:DWORD dst_unused:UNUSED_PAD src0_sel:WORD_1 src1_sel:DWORD
	;; [unrolled: 2-line block ×4, first 2 shown]
	s_waitcnt lgkmcnt(0)
	v_pk_fma_f16 v47, v18, v44, v47
	v_pk_fma_f16 v46, v18, v45, v46
	v_pk_fma_f16 v75, v18, v65, v77
	v_pk_fma_f16 v76, v18, v66, v78
	v_pk_fma_f16 v29, v18, v67, v29
	v_pk_fma_f16 v77, v18, v68, v79
	v_pk_fma_f16 v78, v18, v74, v80
	v_pk_fma_f16 v18, v18, v69, v22
	v_pk_fma_f16 v22, v19, v44, v23
	v_pk_fma_f16 v23, v19, v45, v24
	v_pk_fma_f16 v24, v19, v65, v41
	v_pk_fma_f16 v41, v19, v66, v42
	v_pk_fma_f16 v30, v19, v67, v30
	v_pk_fma_f16 v42, v19, v68, v43
	v_pk_fma_f16 v31, v19, v74, v31
	v_pk_fma_f16 v19, v19, v69, v25
	v_mul_u32_u24_sdwa v25, v70, s8 dst_sel:DWORD dst_unused:UNUSED_PAD src0_sel:WORD_0 src1_sel:DWORD
	v_mul_u32_u24_sdwa v43, v70, s8 dst_sel:DWORD dst_unused:UNUSED_PAD src0_sel:WORD_1 src1_sel:DWORD
	v_mul_u32_u24_sdwa v44, v71, s8 dst_sel:DWORD dst_unused:UNUSED_PAD src0_sel:WORD_0 src1_sel:DWORD
	v_mul_u32_u24_sdwa v45, v71, s8 dst_sel:DWORD dst_unused:UNUSED_PAD src0_sel:WORD_1 src1_sel:DWORD
	;; [unrolled: 2-line block ×4, first 2 shown]
	v_pk_fma_f16 v47, v20, v25, v47
	v_pk_fma_f16 v69, v20, v44, v75
	;; [unrolled: 1-line block ×6, first 2 shown]
	ds_read_b128 v[22:25], v12 offset:16704
	v_pk_fma_f16 v46, v20, v43, v46
	v_pk_fma_f16 v29, v20, v65, v29
	;; [unrolled: 1-line block ×10, first 2 shown]
	ds_read2_b64 v[18:21], v13 offset0:128 offset1:160
	ds_read_b128 v[42:45], v12 offset:16720
	s_waitcnt lgkmcnt(2)
	v_mul_u32_u24_sdwa v67, v22, s8 dst_sel:DWORD dst_unused:UNUSED_PAD src0_sel:WORD_0 src1_sel:DWORD
	v_mul_u32_u24_sdwa v22, v22, s8 dst_sel:DWORD dst_unused:UNUSED_PAD src0_sel:WORD_1 src1_sel:DWORD
	v_mul_u32_u24_sdwa v68, v23, s8 dst_sel:DWORD dst_unused:UNUSED_PAD src0_sel:WORD_0 src1_sel:DWORD
	v_mul_u32_u24_sdwa v23, v23, s8 dst_sel:DWORD dst_unused:UNUSED_PAD src0_sel:WORD_1 src1_sel:DWORD
	;; [unrolled: 2-line block ×4, first 2 shown]
	s_waitcnt lgkmcnt(1)
	v_pk_fma_f16 v47, v18, v67, v47
	v_pk_fma_f16 v46, v18, v22, v46
	;; [unrolled: 1-line block ×16, first 2 shown]
	s_waitcnt lgkmcnt(0)
	v_mul_u32_u24_sdwa v25, v42, s8 dst_sel:DWORD dst_unused:UNUSED_PAD src0_sel:WORD_0 src1_sel:DWORD
	v_mul_u32_u24_sdwa v41, v42, s8 dst_sel:DWORD dst_unused:UNUSED_PAD src0_sel:WORD_1 src1_sel:DWORD
	v_mul_u32_u24_sdwa v42, v43, s8 dst_sel:DWORD dst_unused:UNUSED_PAD src0_sel:WORD_0 src1_sel:DWORD
	v_mul_u32_u24_sdwa v43, v43, s8 dst_sel:DWORD dst_unused:UNUSED_PAD src0_sel:WORD_1 src1_sel:DWORD
	;; [unrolled: 2-line block ×4, first 2 shown]
	v_pk_fma_f16 v47, v20, v25, v47
	v_pk_fma_f16 v46, v20, v41, v46
	;; [unrolled: 1-line block ×8, first 2 shown]
	ds_read_b128 v[22:25], v12 offset:16736
	v_pk_fma_f16 v69, v20, v42, v69
	v_pk_fma_f16 v70, v20, v43, v70
	v_pk_fma_f16 v71, v20, v44, v71
	v_pk_fma_f16 v72, v20, v66, v72
	v_pk_fma_f16 v73, v20, v45, v18
	v_pk_fma_f16 v68, v21, v42, v68
	v_pk_fma_f16 v31, v21, v66, v31
	v_pk_fma_f16 v66, v21, v45, v19
	ds_read2_b64 v[18:21], v13 offset0:192 offset1:224
	ds_read_b128 v[42:45], v12 offset:16752
	s_waitcnt lgkmcnt(2)
	v_mul_u32_u24_sdwa v75, v22, s8 dst_sel:DWORD dst_unused:UNUSED_PAD src0_sel:WORD_0 src1_sel:DWORD
	v_mul_u32_u24_sdwa v22, v22, s8 dst_sel:DWORD dst_unused:UNUSED_PAD src0_sel:WORD_1 src1_sel:DWORD
	v_mul_u32_u24_sdwa v76, v23, s8 dst_sel:DWORD dst_unused:UNUSED_PAD src0_sel:WORD_0 src1_sel:DWORD
	v_mul_u32_u24_sdwa v23, v23, s8 dst_sel:DWORD dst_unused:UNUSED_PAD src0_sel:WORD_1 src1_sel:DWORD
	;; [unrolled: 2-line block ×4, first 2 shown]
	s_waitcnt lgkmcnt(1)
	v_pk_fma_f16 v47, v18, v75, v47
	v_pk_fma_f16 v46, v18, v22, v46
	;; [unrolled: 1-line block ×16, first 2 shown]
	s_waitcnt lgkmcnt(0)
	v_mul_u32_u24_sdwa v25, v42, s8 dst_sel:DWORD dst_unused:UNUSED_PAD src0_sel:WORD_0 src1_sel:DWORD
	v_mul_u32_u24_sdwa v42, v42, s8 dst_sel:DWORD dst_unused:UNUSED_PAD src0_sel:WORD_1 src1_sel:DWORD
	v_mul_u32_u24_sdwa v65, v43, s8 dst_sel:DWORD dst_unused:UNUSED_PAD src0_sel:WORD_0 src1_sel:DWORD
	v_mul_u32_u24_sdwa v43, v43, s8 dst_sel:DWORD dst_unused:UNUSED_PAD src0_sel:WORD_1 src1_sel:DWORD
	v_mul_u32_u24_sdwa v66, v44, s8 dst_sel:DWORD dst_unused:UNUSED_PAD src0_sel:WORD_0 src1_sel:DWORD
	v_mul_u32_u24_sdwa v44, v44, s8 dst_sel:DWORD dst_unused:UNUSED_PAD src0_sel:WORD_1 src1_sel:DWORD
	v_mul_u32_u24_sdwa v68, v45, s8 dst_sel:DWORD dst_unused:UNUSED_PAD src0_sel:WORD_0 src1_sel:DWORD
	v_mul_u32_u24_sdwa v45, v45, s8 dst_sel:DWORD dst_unused:UNUSED_PAD src0_sel:WORD_1 src1_sel:DWORD
	v_pk_fma_f16 v47, v20, v25, v47
	v_pk_fma_f16 v69, v20, v65, v69
	;; [unrolled: 1-line block ×9, first 2 shown]
	ds_read_b128 v[22:25], v12 offset:16768
	v_pk_fma_f16 v46, v20, v42, v46
	v_pk_fma_f16 v70, v20, v43, v70
	;; [unrolled: 1-line block ×7, first 2 shown]
	ds_read2_b64 v[18:21], v8 offset1:32
	ds_read_b128 v[42:45], v12 offset:16784
	s_waitcnt lgkmcnt(2)
	v_mul_u32_u24_sdwa v75, v22, s8 dst_sel:DWORD dst_unused:UNUSED_PAD src0_sel:WORD_0 src1_sel:DWORD
	v_mul_u32_u24_sdwa v22, v22, s8 dst_sel:DWORD dst_unused:UNUSED_PAD src0_sel:WORD_1 src1_sel:DWORD
	v_mul_u32_u24_sdwa v76, v23, s8 dst_sel:DWORD dst_unused:UNUSED_PAD src0_sel:WORD_0 src1_sel:DWORD
	v_mul_u32_u24_sdwa v23, v23, s8 dst_sel:DWORD dst_unused:UNUSED_PAD src0_sel:WORD_1 src1_sel:DWORD
	;; [unrolled: 2-line block ×4, first 2 shown]
	s_waitcnt lgkmcnt(1)
	v_pk_fma_f16 v47, v18, v75, v47
	v_pk_fma_f16 v46, v18, v22, v46
	;; [unrolled: 1-line block ×16, first 2 shown]
	s_waitcnt lgkmcnt(0)
	v_mul_u32_u24_sdwa v25, v42, s8 dst_sel:DWORD dst_unused:UNUSED_PAD src0_sel:WORD_0 src1_sel:DWORD
	v_mul_u32_u24_sdwa v42, v42, s8 dst_sel:DWORD dst_unused:UNUSED_PAD src0_sel:WORD_1 src1_sel:DWORD
	v_mul_u32_u24_sdwa v65, v43, s8 dst_sel:DWORD dst_unused:UNUSED_PAD src0_sel:WORD_0 src1_sel:DWORD
	v_mul_u32_u24_sdwa v43, v43, s8 dst_sel:DWORD dst_unused:UNUSED_PAD src0_sel:WORD_1 src1_sel:DWORD
	;; [unrolled: 2-line block ×4, first 2 shown]
	v_pk_fma_f16 v47, v20, v25, v47
	v_pk_fma_f16 v69, v20, v65, v69
	;; [unrolled: 1-line block ×9, first 2 shown]
	ds_read_b128 v[22:25], v12 offset:16800
	v_pk_fma_f16 v46, v20, v42, v46
	v_pk_fma_f16 v70, v20, v43, v70
	v_pk_fma_f16 v71, v20, v44, v71
	v_pk_fma_f16 v72, v20, v68, v72
	v_pk_fma_f16 v73, v20, v45, v18
	v_pk_fma_f16 v31, v21, v68, v31
	v_pk_fma_f16 v68, v21, v45, v19
	ds_read2_b64 v[18:21], v8 offset0:64 offset1:96
	ds_read_b128 v[42:45], v12 offset:16816
	s_waitcnt lgkmcnt(2)
	v_mul_u32_u24_sdwa v75, v22, s8 dst_sel:DWORD dst_unused:UNUSED_PAD src0_sel:WORD_0 src1_sel:DWORD
	v_mul_u32_u24_sdwa v22, v22, s8 dst_sel:DWORD dst_unused:UNUSED_PAD src0_sel:WORD_1 src1_sel:DWORD
	v_mul_u32_u24_sdwa v76, v23, s8 dst_sel:DWORD dst_unused:UNUSED_PAD src0_sel:WORD_0 src1_sel:DWORD
	v_mul_u32_u24_sdwa v23, v23, s8 dst_sel:DWORD dst_unused:UNUSED_PAD src0_sel:WORD_1 src1_sel:DWORD
	;; [unrolled: 2-line block ×4, first 2 shown]
	s_waitcnt lgkmcnt(1)
	v_pk_fma_f16 v47, v18, v75, v47
	v_pk_fma_f16 v46, v18, v22, v46
	v_pk_fma_f16 v69, v18, v76, v69
	v_pk_fma_f16 v70, v18, v23, v70
	v_pk_fma_f16 v29, v18, v77, v29
	v_pk_fma_f16 v71, v18, v24, v71
	v_pk_fma_f16 v72, v18, v78, v72
	v_pk_fma_f16 v18, v18, v25, v73
	v_pk_fma_f16 v67, v19, v75, v67
	v_pk_fma_f16 v22, v19, v22, v74
	v_pk_fma_f16 v41, v19, v76, v41
	v_pk_fma_f16 v23, v19, v23, v65
	v_pk_fma_f16 v30, v19, v77, v30
	v_pk_fma_f16 v24, v19, v24, v66
	v_pk_fma_f16 v31, v19, v78, v31
	v_pk_fma_f16 v19, v19, v25, v68
	s_waitcnt lgkmcnt(0)
	v_mul_u32_u24_sdwa v25, v42, s8 dst_sel:DWORD dst_unused:UNUSED_PAD src0_sel:WORD_0 src1_sel:DWORD
	v_mul_u32_u24_sdwa v42, v42, s8 dst_sel:DWORD dst_unused:UNUSED_PAD src0_sel:WORD_1 src1_sel:DWORD
	v_mul_u32_u24_sdwa v65, v43, s8 dst_sel:DWORD dst_unused:UNUSED_PAD src0_sel:WORD_0 src1_sel:DWORD
	v_mul_u32_u24_sdwa v43, v43, s8 dst_sel:DWORD dst_unused:UNUSED_PAD src0_sel:WORD_1 src1_sel:DWORD
	;; [unrolled: 2-line block ×3, first 2 shown]
	v_pk_fma_f16 v47, v20, v25, v47
	v_pk_fma_f16 v69, v20, v65, v69
	;; [unrolled: 1-line block ×7, first 2 shown]
	ds_read_b128 v[22:25], v12 offset:16832
	v_mul_u32_u24_sdwa v68, v45, s8 dst_sel:DWORD dst_unused:UNUSED_PAD src0_sel:WORD_0 src1_sel:DWORD
	v_mul_u32_u24_sdwa v45, v45, s8 dst_sel:DWORD dst_unused:UNUSED_PAD src0_sel:WORD_1 src1_sel:DWORD
	v_pk_fma_f16 v46, v20, v42, v46
	v_pk_fma_f16 v70, v20, v43, v70
	;; [unrolled: 1-line block ×9, first 2 shown]
	ds_read2_b64 v[18:21], v8 offset0:128 offset1:160
	ds_read_b128 v[42:45], v12 offset:16848
	s_or_b32 s4, s15, 32
	s_waitcnt lgkmcnt(2)
	v_mul_u32_u24_sdwa v30, v22, s8 dst_sel:DWORD dst_unused:UNUSED_PAD src0_sel:WORD_0 src1_sel:DWORD
	s_mul_hi_i32 s5, s4, s2
	s_mul_i32 s4, s4, s2
	s_sub_i32 s6, s28, 32
	v_mul_u32_u24_sdwa v83, v22, s8 dst_sel:DWORD dst_unused:UNUSED_PAD src0_sel:WORD_1 src1_sel:DWORD
	v_mul_u32_u24_sdwa v84, v23, s8 dst_sel:DWORD dst_unused:UNUSED_PAD src0_sel:WORD_0 src1_sel:DWORD
	v_mul_u32_u24_sdwa v85, v23, s8 dst_sel:DWORD dst_unused:UNUSED_PAD src0_sel:WORD_1 src1_sel:DWORD
	v_mul_u32_u24_sdwa v86, v24, s8 dst_sel:DWORD dst_unused:UNUSED_PAD src0_sel:WORD_0 src1_sel:DWORD
	;; [unrolled: 2-line block ×3, first 2 shown]
	v_mul_u32_u24_sdwa v89, v25, s8 dst_sel:DWORD dst_unused:UNUSED_PAD src0_sel:WORD_1 src1_sel:DWORD
	s_waitcnt lgkmcnt(1)
	v_pk_fma_f16 v47, v18, v30, v47
	v_pk_fma_f16 v101, v19, v30, v67
	v_lshl_add_u64 v[30:31], s[4:5], 2, v[10:11]
	v_cmp_gt_i32_e32 vcc, s6, v14
	v_pk_fma_f16 v46, v18, v83, v46
	v_pk_fma_f16 v90, v18, v84, v69
	;; [unrolled: 1-line block ×7, first 2 shown]
	ds_read2_b64 v[22:25], v8 offset0:192 offset1:224
	ds_read_b128 v[66:69], v12 offset:16864
	ds_read_b128 v[70:73], v12 offset:16880
	s_waitcnt lgkmcnt(0)
	s_barrier
	scratch_store_dword off, v9, off
	scratch_store_dwordx3 off, v[26:28], off offset:4
	v_cndmask_b32_e32 v31, v15, v31, vcc
	v_cndmask_b32_e32 v30, v17, v30, vcc
	flat_load_dwordx4 v[74:77], v[30:31]
	v_pk_fma_f16 v30, v19, v83, v78
	v_pk_fma_f16 v31, v19, v84, v41
	v_pk_fma_f16 v41, v19, v85, v65
	v_pk_fma_f16 v65, v19, v86, v79
	v_pk_fma_f16 v78, v19, v87, v80
	v_pk_fma_f16 v79, v19, v88, v81
	v_pk_fma_f16 v19, v19, v89, v82
	v_mul_u32_u24_sdwa v80, v42, s8 dst_sel:DWORD dst_unused:UNUSED_PAD src0_sel:WORD_0 src1_sel:DWORD
	v_mul_u32_u24_sdwa v42, v42, s8 dst_sel:DWORD dst_unused:UNUSED_PAD src0_sel:WORD_1 src1_sel:DWORD
	v_mul_u32_u24_sdwa v81, v43, s8 dst_sel:DWORD dst_unused:UNUSED_PAD src0_sel:WORD_0 src1_sel:DWORD
	v_mul_u32_u24_sdwa v43, v43, s8 dst_sel:DWORD dst_unused:UNUSED_PAD src0_sel:WORD_1 src1_sel:DWORD
	v_mul_u32_u24_sdwa v82, v44, s8 dst_sel:DWORD dst_unused:UNUSED_PAD src0_sel:WORD_0 src1_sel:DWORD
	v_mul_u32_u24_sdwa v44, v44, s8 dst_sel:DWORD dst_unused:UNUSED_PAD src0_sel:WORD_1 src1_sel:DWORD
	v_mul_u32_u24_sdwa v83, v45, s8 dst_sel:DWORD dst_unused:UNUSED_PAD src0_sel:WORD_0 src1_sel:DWORD
	v_mul_u32_u24_sdwa v45, v45, s8 dst_sel:DWORD dst_unused:UNUSED_PAD src0_sel:WORD_1 src1_sel:DWORD
	v_pk_fma_f16 v47, v20, v80, v47
	v_pk_fma_f16 v46, v20, v42, v46
	v_pk_fma_f16 v84, v20, v81, v90
	v_pk_fma_f16 v85, v20, v43, v91
	v_pk_fma_f16 v29, v20, v82, v29
	v_pk_fma_f16 v86, v20, v44, v99
	v_pk_fma_f16 v87, v20, v83, v100
	v_pk_fma_f16 v18, v20, v45, v18
	v_pk_fma_f16 v20, v21, v80, v101
	v_pk_fma_f16 v30, v21, v42, v30
	v_pk_fma_f16 v31, v21, v81, v31
	v_pk_fma_f16 v41, v21, v43, v41
	v_pk_fma_f16 v42, v21, v82, v65
	v_pk_fma_f16 v43, v21, v44, v78
	v_pk_fma_f16 v44, v21, v83, v79
	v_pk_fma_f16 v19, v21, v45, v19
	v_mul_u32_u24_sdwa v21, v66, s8 dst_sel:DWORD dst_unused:UNUSED_PAD src0_sel:WORD_0 src1_sel:DWORD
	v_mul_u32_u24_sdwa v45, v66, s8 dst_sel:DWORD dst_unused:UNUSED_PAD src0_sel:WORD_1 src1_sel:DWORD
	v_mul_u32_u24_sdwa v65, v67, s8 dst_sel:DWORD dst_unused:UNUSED_PAD src0_sel:WORD_0 src1_sel:DWORD
	v_mul_u32_u24_sdwa v66, v67, s8 dst_sel:DWORD dst_unused:UNUSED_PAD src0_sel:WORD_1 src1_sel:DWORD
	v_mul_u32_u24_sdwa v67, v68, s8 dst_sel:DWORD dst_unused:UNUSED_PAD src0_sel:WORD_0 src1_sel:DWORD
	v_mul_u32_u24_sdwa v68, v68, s8 dst_sel:DWORD dst_unused:UNUSED_PAD src0_sel:WORD_1 src1_sel:DWORD
	v_mul_u32_u24_sdwa v78, v69, s8 dst_sel:DWORD dst_unused:UNUSED_PAD src0_sel:WORD_0 src1_sel:DWORD
	v_mul_u32_u24_sdwa v69, v69, s8 dst_sel:DWORD dst_unused:UNUSED_PAD src0_sel:WORD_1 src1_sel:DWORD
	v_pk_fma_f16 v47, v22, v21, v47
	v_pk_fma_f16 v46, v22, v45, v46
	v_pk_fma_f16 v79, v22, v65, v84
	v_pk_fma_f16 v80, v22, v66, v85
	v_pk_fma_f16 v29, v22, v67, v29
	v_pk_fma_f16 v81, v22, v68, v86
	v_pk_fma_f16 v82, v22, v78, v87
	v_pk_fma_f16 v18, v22, v69, v18
	v_pk_fma_f16 v20, v23, v21, v20
	;; [unrolled: 24-line block ×3, first 2 shown]
	v_pk_fma_f16 v84, v25, v43, v21
	v_pk_fma_f16 v85, v25, v44, v22
	;; [unrolled: 1-line block ×7, first 2 shown]
	s_waitcnt vmcnt(0) lgkmcnt(0)
	ds_write_b128 v16, v[74:77] offset:24576
	s_waitcnt lgkmcnt(0)
	s_barrier
	ds_read_b128 v[18:21], v12 offset:16896
	ds_read2_b64 v[22:25], v13 offset1:32
	ds_read_b128 v[42:45], v12 offset:16912
	ds_read_b128 v[66:69], v12 offset:16928
	;; [unrolled: 1-line block ×3, first 2 shown]
	s_waitcnt lgkmcnt(4)
	v_mul_u32_u24_sdwa v74, v18, s8 dst_sel:DWORD dst_unused:UNUSED_PAD src0_sel:WORD_0 src1_sel:DWORD
	v_mul_u32_u24_sdwa v18, v18, s8 dst_sel:DWORD dst_unused:UNUSED_PAD src0_sel:WORD_1 src1_sel:DWORD
	v_mul_u32_u24_sdwa v75, v19, s8 dst_sel:DWORD dst_unused:UNUSED_PAD src0_sel:WORD_0 src1_sel:DWORD
	v_mul_u32_u24_sdwa v19, v19, s8 dst_sel:DWORD dst_unused:UNUSED_PAD src0_sel:WORD_1 src1_sel:DWORD
	;; [unrolled: 2-line block ×4, first 2 shown]
	s_waitcnt lgkmcnt(3)
	v_pk_fma_f16 v47, v22, v74, v47
	v_pk_fma_f16 v46, v22, v18, v46
	;; [unrolled: 1-line block ×16, first 2 shown]
	s_waitcnt lgkmcnt(2)
	v_mul_u32_u24_sdwa v23, v42, s8 dst_sel:DWORD dst_unused:UNUSED_PAD src0_sel:WORD_0 src1_sel:DWORD
	v_mul_u32_u24_sdwa v41, v42, s8 dst_sel:DWORD dst_unused:UNUSED_PAD src0_sel:WORD_1 src1_sel:DWORD
	v_mul_u32_u24_sdwa v42, v43, s8 dst_sel:DWORD dst_unused:UNUSED_PAD src0_sel:WORD_0 src1_sel:DWORD
	v_mul_u32_u24_sdwa v43, v43, s8 dst_sel:DWORD dst_unused:UNUSED_PAD src0_sel:WORD_1 src1_sel:DWORD
	;; [unrolled: 2-line block ×4, first 2 shown]
	v_pk_fma_f16 v47, v24, v23, v47
	v_pk_fma_f16 v46, v24, v41, v46
	v_pk_fma_f16 v77, v24, v42, v78
	v_pk_fma_f16 v78, v24, v43, v79
	v_pk_fma_f16 v29, v24, v65, v29
	v_pk_fma_f16 v79, v24, v44, v80
	v_pk_fma_f16 v80, v24, v76, v81
	v_pk_fma_f16 v22, v24, v45, v22
	v_pk_fma_f16 v23, v25, v23, v74
	v_pk_fma_f16 v24, v25, v41, v18
	v_pk_fma_f16 v41, v25, v42, v75
	v_pk_fma_f16 v42, v25, v43, v19
	v_pk_fma_f16 v30, v25, v65, v30
	v_pk_fma_f16 v43, v25, v44, v20
	v_pk_fma_f16 v31, v25, v76, v31
	v_pk_fma_f16 v25, v25, v45, v21
	ds_read2_b64 v[18:21], v13 offset0:64 offset1:96
	s_waitcnt lgkmcnt(2)
	v_mul_u32_u24_sdwa v44, v66, s8 dst_sel:DWORD dst_unused:UNUSED_PAD src0_sel:WORD_0 src1_sel:DWORD
	v_mul_u32_u24_sdwa v45, v66, s8 dst_sel:DWORD dst_unused:UNUSED_PAD src0_sel:WORD_1 src1_sel:DWORD
	v_mul_u32_u24_sdwa v65, v67, s8 dst_sel:DWORD dst_unused:UNUSED_PAD src0_sel:WORD_0 src1_sel:DWORD
	v_mul_u32_u24_sdwa v66, v67, s8 dst_sel:DWORD dst_unused:UNUSED_PAD src0_sel:WORD_1 src1_sel:DWORD
	v_mul_u32_u24_sdwa v67, v68, s8 dst_sel:DWORD dst_unused:UNUSED_PAD src0_sel:WORD_0 src1_sel:DWORD
	v_mul_u32_u24_sdwa v68, v68, s8 dst_sel:DWORD dst_unused:UNUSED_PAD src0_sel:WORD_1 src1_sel:DWORD
	v_mul_u32_u24_sdwa v74, v69, s8 dst_sel:DWORD dst_unused:UNUSED_PAD src0_sel:WORD_0 src1_sel:DWORD
	v_mul_u32_u24_sdwa v69, v69, s8 dst_sel:DWORD dst_unused:UNUSED_PAD src0_sel:WORD_1 src1_sel:DWORD
	s_waitcnt lgkmcnt(0)
	v_pk_fma_f16 v47, v18, v44, v47
	v_pk_fma_f16 v46, v18, v45, v46
	;; [unrolled: 1-line block ×16, first 2 shown]
	v_mul_u32_u24_sdwa v25, v70, s8 dst_sel:DWORD dst_unused:UNUSED_PAD src0_sel:WORD_0 src1_sel:DWORD
	v_mul_u32_u24_sdwa v43, v70, s8 dst_sel:DWORD dst_unused:UNUSED_PAD src0_sel:WORD_1 src1_sel:DWORD
	v_mul_u32_u24_sdwa v44, v71, s8 dst_sel:DWORD dst_unused:UNUSED_PAD src0_sel:WORD_0 src1_sel:DWORD
	v_mul_u32_u24_sdwa v45, v71, s8 dst_sel:DWORD dst_unused:UNUSED_PAD src0_sel:WORD_1 src1_sel:DWORD
	;; [unrolled: 2-line block ×4, first 2 shown]
	v_pk_fma_f16 v47, v20, v25, v47
	v_pk_fma_f16 v69, v20, v44, v75
	;; [unrolled: 1-line block ×6, first 2 shown]
	ds_read_b128 v[22:25], v12 offset:16960
	v_pk_fma_f16 v46, v20, v43, v46
	v_pk_fma_f16 v29, v20, v65, v29
	;; [unrolled: 1-line block ×10, first 2 shown]
	ds_read2_b64 v[18:21], v13 offset0:128 offset1:160
	ds_read_b128 v[42:45], v12 offset:16976
	s_waitcnt lgkmcnt(2)
	v_mul_u32_u24_sdwa v67, v22, s8 dst_sel:DWORD dst_unused:UNUSED_PAD src0_sel:WORD_0 src1_sel:DWORD
	v_mul_u32_u24_sdwa v22, v22, s8 dst_sel:DWORD dst_unused:UNUSED_PAD src0_sel:WORD_1 src1_sel:DWORD
	v_mul_u32_u24_sdwa v68, v23, s8 dst_sel:DWORD dst_unused:UNUSED_PAD src0_sel:WORD_0 src1_sel:DWORD
	v_mul_u32_u24_sdwa v23, v23, s8 dst_sel:DWORD dst_unused:UNUSED_PAD src0_sel:WORD_1 src1_sel:DWORD
	;; [unrolled: 2-line block ×4, first 2 shown]
	s_waitcnt lgkmcnt(1)
	v_pk_fma_f16 v47, v18, v67, v47
	v_pk_fma_f16 v46, v18, v22, v46
	;; [unrolled: 1-line block ×16, first 2 shown]
	s_waitcnt lgkmcnt(0)
	v_mul_u32_u24_sdwa v25, v42, s8 dst_sel:DWORD dst_unused:UNUSED_PAD src0_sel:WORD_0 src1_sel:DWORD
	v_mul_u32_u24_sdwa v41, v42, s8 dst_sel:DWORD dst_unused:UNUSED_PAD src0_sel:WORD_1 src1_sel:DWORD
	v_mul_u32_u24_sdwa v42, v43, s8 dst_sel:DWORD dst_unused:UNUSED_PAD src0_sel:WORD_0 src1_sel:DWORD
	v_mul_u32_u24_sdwa v43, v43, s8 dst_sel:DWORD dst_unused:UNUSED_PAD src0_sel:WORD_1 src1_sel:DWORD
	;; [unrolled: 2-line block ×4, first 2 shown]
	v_pk_fma_f16 v47, v20, v25, v47
	v_pk_fma_f16 v46, v20, v41, v46
	;; [unrolled: 1-line block ×8, first 2 shown]
	ds_read_b128 v[22:25], v12 offset:16992
	v_pk_fma_f16 v69, v20, v42, v69
	v_pk_fma_f16 v70, v20, v43, v70
	;; [unrolled: 1-line block ×8, first 2 shown]
	ds_read2_b64 v[18:21], v13 offset0:192 offset1:224
	ds_read_b128 v[42:45], v12 offset:17008
	s_waitcnt lgkmcnt(2)
	v_mul_u32_u24_sdwa v75, v22, s8 dst_sel:DWORD dst_unused:UNUSED_PAD src0_sel:WORD_0 src1_sel:DWORD
	v_mul_u32_u24_sdwa v22, v22, s8 dst_sel:DWORD dst_unused:UNUSED_PAD src0_sel:WORD_1 src1_sel:DWORD
	v_mul_u32_u24_sdwa v76, v23, s8 dst_sel:DWORD dst_unused:UNUSED_PAD src0_sel:WORD_0 src1_sel:DWORD
	v_mul_u32_u24_sdwa v23, v23, s8 dst_sel:DWORD dst_unused:UNUSED_PAD src0_sel:WORD_1 src1_sel:DWORD
	;; [unrolled: 2-line block ×4, first 2 shown]
	s_waitcnt lgkmcnt(1)
	v_pk_fma_f16 v47, v18, v75, v47
	v_pk_fma_f16 v46, v18, v22, v46
	;; [unrolled: 1-line block ×16, first 2 shown]
	s_waitcnt lgkmcnt(0)
	v_mul_u32_u24_sdwa v25, v42, s8 dst_sel:DWORD dst_unused:UNUSED_PAD src0_sel:WORD_0 src1_sel:DWORD
	v_mul_u32_u24_sdwa v42, v42, s8 dst_sel:DWORD dst_unused:UNUSED_PAD src0_sel:WORD_1 src1_sel:DWORD
	v_mul_u32_u24_sdwa v65, v43, s8 dst_sel:DWORD dst_unused:UNUSED_PAD src0_sel:WORD_0 src1_sel:DWORD
	v_mul_u32_u24_sdwa v43, v43, s8 dst_sel:DWORD dst_unused:UNUSED_PAD src0_sel:WORD_1 src1_sel:DWORD
	;; [unrolled: 2-line block ×4, first 2 shown]
	v_pk_fma_f16 v47, v20, v25, v47
	v_pk_fma_f16 v69, v20, v65, v69
	;; [unrolled: 1-line block ×9, first 2 shown]
	ds_read_b128 v[22:25], v12 offset:17024
	v_pk_fma_f16 v46, v20, v42, v46
	v_pk_fma_f16 v70, v20, v43, v70
	;; [unrolled: 1-line block ×7, first 2 shown]
	ds_read2_b64 v[18:21], v8 offset1:32
	ds_read_b128 v[42:45], v12 offset:17040
	s_waitcnt lgkmcnt(2)
	v_mul_u32_u24_sdwa v75, v22, s8 dst_sel:DWORD dst_unused:UNUSED_PAD src0_sel:WORD_0 src1_sel:DWORD
	v_mul_u32_u24_sdwa v22, v22, s8 dst_sel:DWORD dst_unused:UNUSED_PAD src0_sel:WORD_1 src1_sel:DWORD
	v_mul_u32_u24_sdwa v76, v23, s8 dst_sel:DWORD dst_unused:UNUSED_PAD src0_sel:WORD_0 src1_sel:DWORD
	v_mul_u32_u24_sdwa v23, v23, s8 dst_sel:DWORD dst_unused:UNUSED_PAD src0_sel:WORD_1 src1_sel:DWORD
	;; [unrolled: 2-line block ×4, first 2 shown]
	s_waitcnt lgkmcnt(1)
	v_pk_fma_f16 v47, v18, v75, v47
	v_pk_fma_f16 v46, v18, v22, v46
	;; [unrolled: 1-line block ×16, first 2 shown]
	s_waitcnt lgkmcnt(0)
	v_mul_u32_u24_sdwa v25, v42, s8 dst_sel:DWORD dst_unused:UNUSED_PAD src0_sel:WORD_0 src1_sel:DWORD
	v_mul_u32_u24_sdwa v42, v42, s8 dst_sel:DWORD dst_unused:UNUSED_PAD src0_sel:WORD_1 src1_sel:DWORD
	v_mul_u32_u24_sdwa v65, v43, s8 dst_sel:DWORD dst_unused:UNUSED_PAD src0_sel:WORD_0 src1_sel:DWORD
	v_mul_u32_u24_sdwa v43, v43, s8 dst_sel:DWORD dst_unused:UNUSED_PAD src0_sel:WORD_1 src1_sel:DWORD
	;; [unrolled: 2-line block ×4, first 2 shown]
	v_pk_fma_f16 v47, v20, v25, v47
	v_pk_fma_f16 v69, v20, v65, v69
	;; [unrolled: 1-line block ×9, first 2 shown]
	ds_read_b128 v[22:25], v12 offset:17056
	v_pk_fma_f16 v46, v20, v42, v46
	v_pk_fma_f16 v70, v20, v43, v70
	;; [unrolled: 1-line block ×7, first 2 shown]
	ds_read2_b64 v[18:21], v8 offset0:64 offset1:96
	ds_read_b128 v[42:45], v12 offset:17072
	s_waitcnt lgkmcnt(2)
	v_mul_u32_u24_sdwa v75, v22, s8 dst_sel:DWORD dst_unused:UNUSED_PAD src0_sel:WORD_0 src1_sel:DWORD
	v_mul_u32_u24_sdwa v22, v22, s8 dst_sel:DWORD dst_unused:UNUSED_PAD src0_sel:WORD_1 src1_sel:DWORD
	v_mul_u32_u24_sdwa v76, v23, s8 dst_sel:DWORD dst_unused:UNUSED_PAD src0_sel:WORD_0 src1_sel:DWORD
	v_mul_u32_u24_sdwa v23, v23, s8 dst_sel:DWORD dst_unused:UNUSED_PAD src0_sel:WORD_1 src1_sel:DWORD
	;; [unrolled: 2-line block ×4, first 2 shown]
	s_waitcnt lgkmcnt(1)
	v_pk_fma_f16 v47, v18, v75, v47
	v_pk_fma_f16 v46, v18, v22, v46
	;; [unrolled: 1-line block ×16, first 2 shown]
	s_waitcnt lgkmcnt(0)
	v_mul_u32_u24_sdwa v25, v42, s8 dst_sel:DWORD dst_unused:UNUSED_PAD src0_sel:WORD_0 src1_sel:DWORD
	v_mul_u32_u24_sdwa v42, v42, s8 dst_sel:DWORD dst_unused:UNUSED_PAD src0_sel:WORD_1 src1_sel:DWORD
	v_mul_u32_u24_sdwa v65, v43, s8 dst_sel:DWORD dst_unused:UNUSED_PAD src0_sel:WORD_0 src1_sel:DWORD
	v_mul_u32_u24_sdwa v43, v43, s8 dst_sel:DWORD dst_unused:UNUSED_PAD src0_sel:WORD_1 src1_sel:DWORD
	;; [unrolled: 2-line block ×3, first 2 shown]
	v_pk_fma_f16 v47, v20, v25, v47
	v_pk_fma_f16 v69, v20, v65, v69
	;; [unrolled: 1-line block ×7, first 2 shown]
	ds_read_b128 v[22:25], v12 offset:17088
	v_mul_u32_u24_sdwa v68, v45, s8 dst_sel:DWORD dst_unused:UNUSED_PAD src0_sel:WORD_0 src1_sel:DWORD
	v_mul_u32_u24_sdwa v45, v45, s8 dst_sel:DWORD dst_unused:UNUSED_PAD src0_sel:WORD_1 src1_sel:DWORD
	v_pk_fma_f16 v46, v20, v42, v46
	v_pk_fma_f16 v70, v20, v43, v70
	v_pk_fma_f16 v29, v20, v66, v29
	v_pk_fma_f16 v71, v20, v44, v71
	v_pk_fma_f16 v72, v20, v68, v72
	v_pk_fma_f16 v73, v20, v45, v18
	v_pk_fma_f16 v30, v21, v66, v30
	v_pk_fma_f16 v31, v21, v68, v31
	v_pk_fma_f16 v76, v21, v45, v19
	ds_read2_b64 v[18:21], v8 offset0:128 offset1:160
	ds_read_b128 v[42:45], v12 offset:17104
	s_or_b32 s4, s15, 48
	s_mul_hi_i32 s5, s4, s2
	s_mul_i32 s4, s4, s2
	s_sub_i32 s2, s28, 48
	s_waitcnt lgkmcnt(2)
	v_mul_u32_u24_sdwa v66, v22, s8 dst_sel:DWORD dst_unused:UNUSED_PAD src0_sel:WORD_0 src1_sel:DWORD
	v_mul_u32_u24_sdwa v77, v22, s8 dst_sel:DWORD dst_unused:UNUSED_PAD src0_sel:WORD_1 src1_sel:DWORD
	v_mul_u32_u24_sdwa v78, v23, s8 dst_sel:DWORD dst_unused:UNUSED_PAD src0_sel:WORD_0 src1_sel:DWORD
	v_mul_u32_u24_sdwa v79, v23, s8 dst_sel:DWORD dst_unused:UNUSED_PAD src0_sel:WORD_1 src1_sel:DWORD
	;; [unrolled: 2-line block ×4, first 2 shown]
	v_lshl_add_u64 v[10:11], s[4:5], 2, v[10:11]
	v_cmp_gt_i32_e32 vcc, s2, v14
	s_waitcnt lgkmcnt(1)
	v_pk_fma_f16 v47, v18, v66, v47
	v_pk_fma_f16 v46, v18, v77, v46
	v_pk_fma_f16 v84, v18, v78, v69
	v_pk_fma_f16 v85, v18, v79, v70
	v_pk_fma_f16 v86, v18, v80, v29
	v_pk_fma_f16 v87, v18, v81, v71
	v_pk_fma_f16 v88, v18, v82, v72
	v_pk_fma_f16 v18, v18, v83, v73
	v_pk_fma_f16 v89, v19, v66, v67
	ds_read2_b64 v[22:25], v8 offset0:192 offset1:224
	ds_read_b128 v[66:69], v12 offset:17120
	ds_read_b128 v[70:73], v12 offset:17136
	s_waitcnt lgkmcnt(0)
	s_barrier
	scratch_store_dword off, v9, off
	scratch_store_dwordx3 off, v[26:28], off offset:4
	v_cndmask_b32_e32 v11, v15, v11, vcc
	v_cndmask_b32_e32 v10, v17, v10, vcc
	flat_load_dwordx4 v[26:29], v[10:11]
	v_pk_fma_f16 v9, v19, v77, v74
	v_pk_fma_f16 v10, v19, v78, v41
	v_pk_fma_f16 v11, v19, v79, v65
	v_pk_fma_f16 v14, v19, v80, v30
	v_pk_fma_f16 v15, v19, v81, v75
	v_pk_fma_f16 v17, v19, v82, v31
	v_pk_fma_f16 v19, v19, v83, v76
	v_mul_u32_u24_sdwa v30, v42, s8 dst_sel:DWORD dst_unused:UNUSED_PAD src0_sel:WORD_0 src1_sel:DWORD
	v_mul_u32_u24_sdwa v31, v42, s8 dst_sel:DWORD dst_unused:UNUSED_PAD src0_sel:WORD_1 src1_sel:DWORD
	v_mul_u32_u24_sdwa v41, v43, s8 dst_sel:DWORD dst_unused:UNUSED_PAD src0_sel:WORD_0 src1_sel:DWORD
	v_mul_u32_u24_sdwa v42, v43, s8 dst_sel:DWORD dst_unused:UNUSED_PAD src0_sel:WORD_1 src1_sel:DWORD
	v_mul_u32_u24_sdwa v43, v44, s8 dst_sel:DWORD dst_unused:UNUSED_PAD src0_sel:WORD_0 src1_sel:DWORD
	v_mul_u32_u24_sdwa v44, v44, s8 dst_sel:DWORD dst_unused:UNUSED_PAD src0_sel:WORD_1 src1_sel:DWORD
	v_mul_u32_u24_sdwa v65, v45, s8 dst_sel:DWORD dst_unused:UNUSED_PAD src0_sel:WORD_0 src1_sel:DWORD
	v_mul_u32_u24_sdwa v45, v45, s8 dst_sel:DWORD dst_unused:UNUSED_PAD src0_sel:WORD_1 src1_sel:DWORD
	v_pk_fma_f16 v47, v20, v30, v47
	v_pk_fma_f16 v46, v20, v31, v46
	v_pk_fma_f16 v74, v20, v41, v84
	v_pk_fma_f16 v75, v20, v42, v85
	v_pk_fma_f16 v76, v20, v43, v86
	v_pk_fma_f16 v77, v20, v44, v87
	v_pk_fma_f16 v78, v20, v65, v88
	v_pk_fma_f16 v18, v20, v45, v18
	v_pk_fma_f16 v20, v21, v30, v89
	v_pk_fma_f16 v9, v21, v31, v9
	v_pk_fma_f16 v10, v21, v41, v10
	v_pk_fma_f16 v11, v21, v42, v11
	v_pk_fma_f16 v14, v21, v43, v14
	v_pk_fma_f16 v15, v21, v44, v15
	v_pk_fma_f16 v17, v21, v65, v17
	v_pk_fma_f16 v19, v21, v45, v19
	v_mul_u32_u24_sdwa v21, v66, s8 dst_sel:DWORD dst_unused:UNUSED_PAD src0_sel:WORD_0 src1_sel:DWORD
	v_mul_u32_u24_sdwa v30, v66, s8 dst_sel:DWORD dst_unused:UNUSED_PAD src0_sel:WORD_1 src1_sel:DWORD
	v_mul_u32_u24_sdwa v31, v67, s8 dst_sel:DWORD dst_unused:UNUSED_PAD src0_sel:WORD_0 src1_sel:DWORD
	v_mul_u32_u24_sdwa v41, v67, s8 dst_sel:DWORD dst_unused:UNUSED_PAD src0_sel:WORD_1 src1_sel:DWORD
	v_mul_u32_u24_sdwa v42, v68, s8 dst_sel:DWORD dst_unused:UNUSED_PAD src0_sel:WORD_0 src1_sel:DWORD
	v_mul_u32_u24_sdwa v43, v68, s8 dst_sel:DWORD dst_unused:UNUSED_PAD src0_sel:WORD_1 src1_sel:DWORD
	v_mul_u32_u24_sdwa v44, v69, s8 dst_sel:DWORD dst_unused:UNUSED_PAD src0_sel:WORD_0 src1_sel:DWORD
	v_mul_u32_u24_sdwa v45, v69, s8 dst_sel:DWORD dst_unused:UNUSED_PAD src0_sel:WORD_1 src1_sel:DWORD
	v_pk_fma_f16 v47, v22, v21, v47
	v_pk_fma_f16 v46, v22, v30, v46
	v_pk_fma_f16 v65, v22, v31, v74
	v_pk_fma_f16 v66, v22, v41, v75
	v_pk_fma_f16 v67, v22, v42, v76
	v_pk_fma_f16 v68, v22, v43, v77
	v_pk_fma_f16 v69, v22, v44, v78
	v_pk_fma_f16 v18, v22, v45, v18
	v_pk_fma_f16 v20, v23, v21, v20
	;; [unrolled: 24-line block ×3, first 2 shown]
	v_pk_fma_f16 v9, v25, v22, v9
	v_pk_fma_f16 v10, v25, v23, v10
	;; [unrolled: 1-line block ×7, first 2 shown]
	s_waitcnt vmcnt(0) lgkmcnt(0)
	ds_write_b128 v16, v[26:29] offset:24576
	s_waitcnt lgkmcnt(0)
	s_barrier
	ds_read_b128 v[14:17], v12 offset:17152
	ds_read2_b64 v[18:21], v13 offset1:32
	ds_read_b128 v[22:25], v12 offset:17168
	ds_read_b128 v[26:29], v12 offset:17184
	;; [unrolled: 1-line block ×3, first 2 shown]
	s_waitcnt lgkmcnt(4)
	v_mul_u32_u24_sdwa v73, v14, s8 dst_sel:DWORD dst_unused:UNUSED_PAD src0_sel:WORD_0 src1_sel:DWORD
	v_mul_u32_u24_sdwa v14, v14, s8 dst_sel:DWORD dst_unused:UNUSED_PAD src0_sel:WORD_1 src1_sel:DWORD
	v_mul_u32_u24_sdwa v74, v15, s8 dst_sel:DWORD dst_unused:UNUSED_PAD src0_sel:WORD_0 src1_sel:DWORD
	v_mul_u32_u24_sdwa v15, v15, s8 dst_sel:DWORD dst_unused:UNUSED_PAD src0_sel:WORD_1 src1_sel:DWORD
	;; [unrolled: 2-line block ×4, first 2 shown]
	s_waitcnt lgkmcnt(3)
	v_pk_fma_f16 v47, v18, v73, v47
	v_pk_fma_f16 v46, v18, v14, v46
	;; [unrolled: 1-line block ×16, first 2 shown]
	s_waitcnt lgkmcnt(2)
	v_mul_u32_u24_sdwa v19, v22, s8 dst_sel:DWORD dst_unused:UNUSED_PAD src0_sel:WORD_0 src1_sel:DWORD
	v_mul_u32_u24_sdwa v22, v22, s8 dst_sel:DWORD dst_unused:UNUSED_PAD src0_sel:WORD_1 src1_sel:DWORD
	v_mul_u32_u24_sdwa v30, v23, s8 dst_sel:DWORD dst_unused:UNUSED_PAD src0_sel:WORD_0 src1_sel:DWORD
	v_mul_u32_u24_sdwa v23, v23, s8 dst_sel:DWORD dst_unused:UNUSED_PAD src0_sel:WORD_1 src1_sel:DWORD
	;; [unrolled: 2-line block ×4, first 2 shown]
	v_pk_fma_f16 v47, v20, v19, v47
	v_pk_fma_f16 v46, v20, v22, v46
	;; [unrolled: 1-line block ×16, first 2 shown]
	ds_read2_b64 v[14:17], v13 offset0:64 offset1:96
	s_waitcnt lgkmcnt(2)
	v_mul_u32_u24_sdwa v24, v26, s8 dst_sel:DWORD dst_unused:UNUSED_PAD src0_sel:WORD_0 src1_sel:DWORD
	v_mul_u32_u24_sdwa v25, v26, s8 dst_sel:DWORD dst_unused:UNUSED_PAD src0_sel:WORD_1 src1_sel:DWORD
	v_mul_u32_u24_sdwa v26, v27, s8 dst_sel:DWORD dst_unused:UNUSED_PAD src0_sel:WORD_0 src1_sel:DWORD
	v_mul_u32_u24_sdwa v27, v27, s8 dst_sel:DWORD dst_unused:UNUSED_PAD src0_sel:WORD_1 src1_sel:DWORD
	v_mul_u32_u24_sdwa v30, v28, s8 dst_sel:DWORD dst_unused:UNUSED_PAD src0_sel:WORD_0 src1_sel:DWORD
	v_mul_u32_u24_sdwa v28, v28, s8 dst_sel:DWORD dst_unused:UNUSED_PAD src0_sel:WORD_1 src1_sel:DWORD
	v_mul_u32_u24_sdwa v31, v29, s8 dst_sel:DWORD dst_unused:UNUSED_PAD src0_sel:WORD_0 src1_sel:DWORD
	v_mul_u32_u24_sdwa v29, v29, s8 dst_sel:DWORD dst_unused:UNUSED_PAD src0_sel:WORD_1 src1_sel:DWORD
	s_waitcnt lgkmcnt(0)
	v_pk_fma_f16 v41, v14, v24, v47
	v_pk_fma_f16 v46, v14, v25, v46
	;; [unrolled: 1-line block ×16, first 2 shown]
	v_mul_u32_u24_sdwa v21, v42, s8 dst_sel:DWORD dst_unused:UNUSED_PAD src0_sel:WORD_0 src1_sel:DWORD
	v_mul_u32_u24_sdwa v24, v43, s8 dst_sel:DWORD dst_unused:UNUSED_PAD src0_sel:WORD_0 src1_sel:DWORD
	;; [unrolled: 1-line block ×3, first 2 shown]
	v_mul_u32_u24_sdwa v27, v44, s8 dst_sel:DWORD dst_unused:UNUSED_PAD src0_sel:WORD_1 src1_sel:DWORD
	v_mul_u32_u24_sdwa v23, v42, s8 dst_sel:DWORD dst_unused:UNUSED_PAD src0_sel:WORD_1 src1_sel:DWORD
	;; [unrolled: 1-line block ×3, first 2 shown]
	v_mul_u32_u24_sdwa v28, v45, s8 dst_sel:DWORD dst_unused:UNUSED_PAD src0_sel:WORD_0 src1_sel:DWORD
	v_mul_u32_u24_sdwa v29, v45, s8 dst_sel:DWORD dst_unused:UNUSED_PAD src0_sel:WORD_1 src1_sel:DWORD
	v_pk_fma_f16 v30, v16, v21, v41
	v_pk_fma_f16 v41, v16, v24, v47
	;; [unrolled: 1-line block ×7, first 2 shown]
	ds_read_b128 v[18:21], v12 offset:17216
	v_pk_fma_f16 v31, v16, v23, v46
	v_pk_fma_f16 v42, v16, v25, v65
	;; [unrolled: 1-line block ×9, first 2 shown]
	ds_read2_b64 v[14:17], v13 offset0:128 offset1:160
	ds_read_b128 v[22:25], v12 offset:17232
	s_waitcnt lgkmcnt(2)
	v_mul_u32_u24_sdwa v65, v18, s8 dst_sel:DWORD dst_unused:UNUSED_PAD src0_sel:WORD_0 src1_sel:DWORD
	v_mul_u32_u24_sdwa v18, v18, s8 dst_sel:DWORD dst_unused:UNUSED_PAD src0_sel:WORD_1 src1_sel:DWORD
	v_mul_u32_u24_sdwa v66, v19, s8 dst_sel:DWORD dst_unused:UNUSED_PAD src0_sel:WORD_0 src1_sel:DWORD
	v_mul_u32_u24_sdwa v19, v19, s8 dst_sel:DWORD dst_unused:UNUSED_PAD src0_sel:WORD_1 src1_sel:DWORD
	;; [unrolled: 2-line block ×4, first 2 shown]
	s_waitcnt lgkmcnt(1)
	v_pk_fma_f16 v30, v14, v65, v30
	v_pk_fma_f16 v31, v14, v18, v31
	;; [unrolled: 1-line block ×16, first 2 shown]
	s_waitcnt lgkmcnt(0)
	v_mul_u32_u24_sdwa v20, v22, s8 dst_sel:DWORD dst_unused:UNUSED_PAD src0_sel:WORD_0 src1_sel:DWORD
	v_mul_u32_u24_sdwa v21, v22, s8 dst_sel:DWORD dst_unused:UNUSED_PAD src0_sel:WORD_1 src1_sel:DWORD
	v_mul_u32_u24_sdwa v22, v23, s8 dst_sel:DWORD dst_unused:UNUSED_PAD src0_sel:WORD_0 src1_sel:DWORD
	v_mul_u32_u24_sdwa v23, v23, s8 dst_sel:DWORD dst_unused:UNUSED_PAD src0_sel:WORD_1 src1_sel:DWORD
	;; [unrolled: 2-line block ×4, first 2 shown]
	v_pk_fma_f16 v29, v16, v20, v30
	v_pk_fma_f16 v30, v16, v21, v31
	;; [unrolled: 1-line block ×9, first 2 shown]
	ds_read_b128 v[18:21], v12 offset:17248
	v_pk_fma_f16 v43, v16, v24, v44
	v_pk_fma_f16 v44, v16, v28, v45
	;; [unrolled: 1-line block ×7, first 2 shown]
	ds_read2_b64 v[14:17], v13 offset0:192 offset1:224
	ds_read_b128 v[22:25], v12 offset:17264
	s_waitcnt lgkmcnt(2)
	v_mul_u32_u24_sdwa v13, v18, s8 dst_sel:DWORD dst_unused:UNUSED_PAD src0_sel:WORD_0 src1_sel:DWORD
	v_mul_u32_u24_sdwa v18, v18, s8 dst_sel:DWORD dst_unused:UNUSED_PAD src0_sel:WORD_1 src1_sel:DWORD
	v_mul_u32_u24_sdwa v65, v19, s8 dst_sel:DWORD dst_unused:UNUSED_PAD src0_sel:WORD_0 src1_sel:DWORD
	v_mul_u32_u24_sdwa v19, v19, s8 dst_sel:DWORD dst_unused:UNUSED_PAD src0_sel:WORD_1 src1_sel:DWORD
	;; [unrolled: 2-line block ×4, first 2 shown]
	s_waitcnt lgkmcnt(1)
	v_pk_fma_f16 v29, v14, v13, v29
	v_pk_fma_f16 v30, v14, v18, v30
	;; [unrolled: 1-line block ×16, first 2 shown]
	s_waitcnt lgkmcnt(0)
	v_mul_u32_u24_sdwa v20, v22, s8 dst_sel:DWORD dst_unused:UNUSED_PAD src0_sel:WORD_0 src1_sel:DWORD
	v_mul_u32_u24_sdwa v21, v22, s8 dst_sel:DWORD dst_unused:UNUSED_PAD src0_sel:WORD_1 src1_sel:DWORD
	v_mul_u32_u24_sdwa v27, v24, s8 dst_sel:DWORD dst_unused:UNUSED_PAD src0_sel:WORD_0 src1_sel:DWORD
	v_mul_u32_u24_sdwa v24, v24, s8 dst_sel:DWORD dst_unused:UNUSED_PAD src0_sel:WORD_1 src1_sel:DWORD
	;; [unrolled: 2-line block ×4, first 2 shown]
	v_pk_fma_f16 v29, v16, v20, v29
	v_pk_fma_f16 v30, v16, v21, v30
	;; [unrolled: 1-line block ×7, first 2 shown]
	ds_read_b128 v[18:21], v12 offset:17280
	v_pk_fma_f16 v31, v16, v22, v31
	v_pk_fma_f16 v41, v16, v23, v41
	;; [unrolled: 1-line block ×9, first 2 shown]
	ds_read2_b64 v[14:17], v8 offset1:32
	ds_read_b128 v[22:25], v12 offset:17296
	s_waitcnt lgkmcnt(2)
	v_mul_u32_u24_sdwa v47, v18, s8 dst_sel:DWORD dst_unused:UNUSED_PAD src0_sel:WORD_0 src1_sel:DWORD
	v_mul_u32_u24_sdwa v18, v18, s8 dst_sel:DWORD dst_unused:UNUSED_PAD src0_sel:WORD_1 src1_sel:DWORD
	v_mul_u32_u24_sdwa v65, v19, s8 dst_sel:DWORD dst_unused:UNUSED_PAD src0_sel:WORD_0 src1_sel:DWORD
	v_mul_u32_u24_sdwa v19, v19, s8 dst_sel:DWORD dst_unused:UNUSED_PAD src0_sel:WORD_1 src1_sel:DWORD
	;; [unrolled: 2-line block ×4, first 2 shown]
	s_waitcnt lgkmcnt(1)
	v_pk_fma_f16 v29, v14, v47, v29
	v_pk_fma_f16 v30, v14, v18, v30
	;; [unrolled: 1-line block ×16, first 2 shown]
	s_waitcnt lgkmcnt(0)
	v_mul_u32_u24_sdwa v20, v22, s8 dst_sel:DWORD dst_unused:UNUSED_PAD src0_sel:WORD_0 src1_sel:DWORD
	v_mul_u32_u24_sdwa v21, v22, s8 dst_sel:DWORD dst_unused:UNUSED_PAD src0_sel:WORD_1 src1_sel:DWORD
	v_mul_u32_u24_sdwa v27, v24, s8 dst_sel:DWORD dst_unused:UNUSED_PAD src0_sel:WORD_0 src1_sel:DWORD
	v_mul_u32_u24_sdwa v24, v24, s8 dst_sel:DWORD dst_unused:UNUSED_PAD src0_sel:WORD_1 src1_sel:DWORD
	v_mul_u32_u24_sdwa v22, v23, s8 dst_sel:DWORD dst_unused:UNUSED_PAD src0_sel:WORD_0 src1_sel:DWORD
	v_mul_u32_u24_sdwa v23, v23, s8 dst_sel:DWORD dst_unused:UNUSED_PAD src0_sel:WORD_1 src1_sel:DWORD
	v_mul_u32_u24_sdwa v28, v25, s8 dst_sel:DWORD dst_unused:UNUSED_PAD src0_sel:WORD_0 src1_sel:DWORD
	v_mul_u32_u24_sdwa v25, v25, s8 dst_sel:DWORD dst_unused:UNUSED_PAD src0_sel:WORD_1 src1_sel:DWORD
	v_pk_fma_f16 v29, v16, v20, v29
	v_pk_fma_f16 v30, v16, v21, v30
	;; [unrolled: 1-line block ×7, first 2 shown]
	ds_read_b128 v[18:21], v12 offset:17312
	v_pk_fma_f16 v31, v16, v22, v31
	v_pk_fma_f16 v41, v16, v23, v41
	;; [unrolled: 1-line block ×9, first 2 shown]
	ds_read2_b64 v[14:17], v8 offset0:64 offset1:96
	ds_read_b128 v[22:25], v12 offset:17328
	s_waitcnt lgkmcnt(2)
	v_mul_u32_u24_sdwa v47, v18, s8 dst_sel:DWORD dst_unused:UNUSED_PAD src0_sel:WORD_0 src1_sel:DWORD
	v_mul_u32_u24_sdwa v18, v18, s8 dst_sel:DWORD dst_unused:UNUSED_PAD src0_sel:WORD_1 src1_sel:DWORD
	v_mul_u32_u24_sdwa v65, v19, s8 dst_sel:DWORD dst_unused:UNUSED_PAD src0_sel:WORD_0 src1_sel:DWORD
	v_mul_u32_u24_sdwa v19, v19, s8 dst_sel:DWORD dst_unused:UNUSED_PAD src0_sel:WORD_1 src1_sel:DWORD
	;; [unrolled: 2-line block ×4, first 2 shown]
	s_waitcnt lgkmcnt(1)
	v_pk_fma_f16 v29, v14, v47, v29
	v_pk_fma_f16 v30, v14, v18, v30
	;; [unrolled: 1-line block ×16, first 2 shown]
	s_waitcnt lgkmcnt(0)
	v_mul_u32_u24_sdwa v20, v22, s8 dst_sel:DWORD dst_unused:UNUSED_PAD src0_sel:WORD_0 src1_sel:DWORD
	v_mul_u32_u24_sdwa v21, v22, s8 dst_sel:DWORD dst_unused:UNUSED_PAD src0_sel:WORD_1 src1_sel:DWORD
	v_mul_u32_u24_sdwa v27, v24, s8 dst_sel:DWORD dst_unused:UNUSED_PAD src0_sel:WORD_0 src1_sel:DWORD
	v_mul_u32_u24_sdwa v24, v24, s8 dst_sel:DWORD dst_unused:UNUSED_PAD src0_sel:WORD_1 src1_sel:DWORD
	;; [unrolled: 2-line block ×4, first 2 shown]
	v_pk_fma_f16 v29, v16, v20, v29
	v_pk_fma_f16 v30, v16, v21, v30
	;; [unrolled: 1-line block ×7, first 2 shown]
	ds_read_b128 v[18:21], v12 offset:17344
	v_pk_fma_f16 v31, v16, v22, v31
	v_pk_fma_f16 v41, v16, v23, v41
	;; [unrolled: 1-line block ×9, first 2 shown]
	ds_read2_b64 v[14:17], v8 offset0:128 offset1:160
	ds_read_b128 v[22:25], v12 offset:17360
	s_waitcnt lgkmcnt(2)
	v_mul_u32_u24_sdwa v47, v18, s8 dst_sel:DWORD dst_unused:UNUSED_PAD src0_sel:WORD_0 src1_sel:DWORD
	v_mul_u32_u24_sdwa v18, v18, s8 dst_sel:DWORD dst_unused:UNUSED_PAD src0_sel:WORD_1 src1_sel:DWORD
	v_mul_u32_u24_sdwa v65, v19, s8 dst_sel:DWORD dst_unused:UNUSED_PAD src0_sel:WORD_0 src1_sel:DWORD
	v_mul_u32_u24_sdwa v19, v19, s8 dst_sel:DWORD dst_unused:UNUSED_PAD src0_sel:WORD_1 src1_sel:DWORD
	;; [unrolled: 2-line block ×4, first 2 shown]
	s_waitcnt lgkmcnt(1)
	v_pk_fma_f16 v29, v14, v47, v29
	v_pk_fma_f16 v30, v14, v18, v30
	;; [unrolled: 1-line block ×16, first 2 shown]
	s_waitcnt lgkmcnt(0)
	v_mul_u32_u24_sdwa v20, v22, s8 dst_sel:DWORD dst_unused:UNUSED_PAD src0_sel:WORD_0 src1_sel:DWORD
	v_mul_u32_u24_sdwa v21, v22, s8 dst_sel:DWORD dst_unused:UNUSED_PAD src0_sel:WORD_1 src1_sel:DWORD
	v_mul_u32_u24_sdwa v27, v24, s8 dst_sel:DWORD dst_unused:UNUSED_PAD src0_sel:WORD_0 src1_sel:DWORD
	v_mul_u32_u24_sdwa v24, v24, s8 dst_sel:DWORD dst_unused:UNUSED_PAD src0_sel:WORD_1 src1_sel:DWORD
	;; [unrolled: 2-line block ×4, first 2 shown]
	v_pk_fma_f16 v29, v16, v20, v29
	v_pk_fma_f16 v30, v16, v21, v30
	;; [unrolled: 1-line block ×8, first 2 shown]
	ds_read_b128 v[18:21], v12 offset:17376
	v_pk_fma_f16 v31, v16, v22, v31
	v_pk_fma_f16 v41, v16, v23, v41
	;; [unrolled: 1-line block ×8, first 2 shown]
	ds_read2_b64 v[8:11], v8 offset0:192 offset1:224
	ds_read_b128 v[12:15], v12 offset:17392
	s_waitcnt lgkmcnt(2)
	v_mul_u32_u24_sdwa v25, v18, s8 dst_sel:DWORD dst_unused:UNUSED_PAD src0_sel:WORD_0 src1_sel:DWORD
	v_mul_u32_u24_sdwa v18, v18, s8 dst_sel:DWORD dst_unused:UNUSED_PAD src0_sel:WORD_1 src1_sel:DWORD
	v_mul_u32_u24_sdwa v28, v19, s8 dst_sel:DWORD dst_unused:UNUSED_PAD src0_sel:WORD_0 src1_sel:DWORD
	v_mul_u32_u24_sdwa v19, v19, s8 dst_sel:DWORD dst_unused:UNUSED_PAD src0_sel:WORD_1 src1_sel:DWORD
	;; [unrolled: 2-line block ×4, first 2 shown]
	s_waitcnt lgkmcnt(1)
	v_pk_fma_f16 v29, v8, v25, v29
	v_pk_fma_f16 v30, v8, v18, v30
	;; [unrolled: 1-line block ×16, first 2 shown]
	s_waitcnt lgkmcnt(0)
	v_mul_u32_u24_sdwa v17, v12, s8 dst_sel:DWORD dst_unused:UNUSED_PAD src0_sel:WORD_0 src1_sel:DWORD
	v_mul_u32_u24_sdwa v12, v12, s8 dst_sel:DWORD dst_unused:UNUSED_PAD src0_sel:WORD_1 src1_sel:DWORD
	v_mul_u32_u24_sdwa v21, v13, s8 dst_sel:DWORD dst_unused:UNUSED_PAD src0_sel:WORD_0 src1_sel:DWORD
	v_mul_u32_u24_sdwa v13, v13, s8 dst_sel:DWORD dst_unused:UNUSED_PAD src0_sel:WORD_1 src1_sel:DWORD
	;; [unrolled: 2-line block ×4, first 2 shown]
	v_pk_fma_f16 v90, v10, v17, v29
	v_pk_fma_f16 v88, v10, v12, v30
	;; [unrolled: 1-line block ×12, first 2 shown]
	v_mov_b64_e32 v[24:25], v[32:33]
	v_mov_b64_e32 v[22:23], v[6:7]
	v_pk_fma_f16 v84, v10, v13, v41
	v_pk_fma_f16 v78, v10, v14, v43
	;; [unrolled: 1-line block ×4, first 2 shown]
	v_mov_b64_e32 v[26:27], v[34:35]
	v_mov_b64_e32 v[28:29], v[36:37]
	;; [unrolled: 1-line block ×6, first 2 shown]
	s_barrier
.LBB52_128:
	v_cmp_lt_i32_e32 vcc, v95, v93
	s_cmp_eq_u64 s[16:17], 0
	s_cselect_b64 s[4:5], -1, 0
	v_cndmask_b32_e32 v0, v92, v95, vcc
	v_lshlrev_b32_e32 v9, 2, v0
	ds_bpermute_b32 v4, v9, v18
	ds_bpermute_b32 v5, v9, v19
	;; [unrolled: 1-line block ×4, first 2 shown]
	v_cmp_lt_i32_e32 vcc, v98, v93
	ds_bpermute_b32 v10, v9, v22
	s_waitcnt lgkmcnt(3)
	v_pk_add_f32 v[4:5], v[18:19], v[4:5]
	v_cndmask_b32_e32 v2, v92, v98, vcc
	v_cmp_lt_i32_e32 vcc, v96, v93
	v_lshlrev_b32_e32 v15, 2, v2
	s_waitcnt lgkmcnt(1)
	v_pk_add_f32 v[0:1], v[16:17], v[0:1]
	v_cndmask_b32_e32 v2, v92, v96, vcc
	v_cmp_lt_i32_e32 vcc, v97, v93
	ds_bpermute_b32 v7, v15, v5
	v_lshlrev_b32_e32 v32, 2, v2
	v_cndmask_b32_e32 v6, v92, v97, vcc
	v_lshlrev_b32_e32 v17, 2, v6
	ds_bpermute_b32 v6, v15, v4
	ds_bpermute_b32 v11, v9, v23
	v_cmp_lt_i32_e32 vcc, v94, v93
	ds_bpermute_b32 v2, v15, v0
	ds_bpermute_b32 v3, v15, v1
	s_waitcnt lgkmcnt(3)
	v_pk_add_f32 v[4:5], v[4:5], v[6:7]
	ds_bpermute_b32 v6, v32, v4
	ds_bpermute_b32 v7, v32, v5
	s_waitcnt lgkmcnt(4)
	v_pk_add_f32 v[10:11], v[22:23], v[10:11]
	v_cndmask_b32_e32 v8, v92, v94, vcc
	ds_bpermute_b32 v14, v15, v10
	v_lshlrev_b32_e32 v33, 2, v8
	s_waitcnt lgkmcnt(1)
	v_pk_add_f32 v[4:5], v[4:5], v[6:7]
	ds_bpermute_b32 v6, v9, v20
	ds_bpermute_b32 v7, v9, v21
	;; [unrolled: 1-line block ×4, first 2 shown]
	v_pk_add_f32 v[0:1], v[0:1], v[2:3]
	ds_bpermute_b32 v2, v32, v0
	s_waitcnt lgkmcnt(3)
	v_pk_add_f32 v[6:7], v[20:21], v[6:7]
	ds_bpermute_b32 v12, v15, v6
	ds_bpermute_b32 v13, v15, v7
	;; [unrolled: 1-line block ×4, first 2 shown]
	s_waitcnt lgkmcnt(5)
	v_pk_add_f32 v[4:5], v[4:5], v[8:9]
	ds_bpermute_b32 v16, v33, v4
	s_waitcnt lgkmcnt(3)
	v_pk_add_f32 v[6:7], v[6:7], v[12:13]
	s_waitcnt lgkmcnt(2)
	v_pk_add_f32 v[10:11], v[10:11], v[14:15]
	ds_bpermute_b32 v8, v32, v6
	ds_bpermute_b32 v9, v32, v7
	;; [unrolled: 1-line block ×4, first 2 shown]
	s_waitcnt lgkmcnt(5)
	v_pk_add_f32 v[0:1], v[0:1], v[2:3]
	ds_bpermute_b32 v2, v17, v0
	s_waitcnt lgkmcnt(3)
	v_pk_add_f32 v[6:7], v[6:7], v[8:9]
	ds_bpermute_b32 v3, v17, v1
	;; [unrolled: 3-line block ×3, first 2 shown]
	ds_bpermute_b32 v9, v17, v7
	ds_bpermute_b32 v12, v17, v10
	;; [unrolled: 1-line block ×3, first 2 shown]
	s_waitcnt lgkmcnt(4)
	v_pk_add_f32 v[0:1], v[0:1], v[2:3]
	ds_bpermute_b32 v2, v33, v0
	s_waitcnt lgkmcnt(3)
	v_pk_add_f32 v[6:7], v[6:7], v[8:9]
	ds_bpermute_b32 v3, v33, v1
	;; [unrolled: 3-line block ×3, first 2 shown]
	ds_bpermute_b32 v8, v33, v6
	ds_bpermute_b32 v9, v33, v7
	;; [unrolled: 1-line block ×4, first 2 shown]
	s_cmp_lg_u32 s3, 0
	s_cselect_b64 s[6:7], -1, 0
	s_or_b64 s[4:5], s[6:7], s[4:5]
	s_waitcnt lgkmcnt(5)
	v_pk_add_f32 v[14:15], v[0:1], v[2:3]
	s_waitcnt lgkmcnt(4)
	v_pk_add_f32 v[12:13], v[4:5], v[16:17]
	;; [unrolled: 2-line block ×4, first 2 shown]
	s_and_b64 vcc, exec, s[4:5]
	s_cbranch_vccnz .LBB52_130
; %bb.129:
	s_lshl_b64 s[4:5], s[34:35], 2
	s_add_u32 s4, s16, s4
	s_addc_u32 s5, s17, s5
	v_mov_b32_e32 v0, 0
	global_load_dword v32, v0, s[4:5]
	v_max_f32_e32 v0, v24, v24
	v_max_f32_e32 v1, v25, v25
	s_mov_b32 s5, 0x3fb8aa3b
	v_max_f32_e32 v2, v26, v26
	s_mov_b32 s2, 0xc2ce8ed0
	s_mov_b32 s4, 0x42b17218
	v_mov_b32_e32 v33, 0x7f800000
	s_waitcnt vmcnt(0)
	v_max_f32_e32 v7, v32, v32
	v_max_f32_e32 v0, v0, v7
	v_sub_f32_e32 v3, v24, v0
	v_max_f32_e32 v1, v1, v7
	v_sub_f32_e32 v4, v32, v0
	v_mul_f32_e32 v16, 0x3fb8aa3b, v3
	v_max_f32_e32 v2, v2, v7
	v_sub_f32_e32 v5, v25, v1
	v_mul_f32_e32 v17, 0x3fb8aa3b, v4
	v_fma_f32 v24, v3, s5, -v16
	v_rndne_f32_e32 v25, v16
	v_sub_f32_e32 v6, v32, v1
	v_sub_f32_e32 v20, v26, v2
	v_mul_f32_e32 v18, 0x3fb8aa3b, v5
	v_fma_f32 v26, v4, s5, -v17
	v_rndne_f32_e32 v34, v17
	v_fmac_f32_e32 v24, 0x32a5705f, v3
	v_sub_f32_e32 v16, v16, v25
	v_mul_f32_e32 v19, 0x3fb8aa3b, v6
	v_fma_f32 v35, v5, s5, -v18
	v_rndne_f32_e32 v36, v18
	v_fmac_f32_e32 v26, 0x32a5705f, v4
	v_sub_f32_e32 v17, v17, v34
	v_add_f32_e32 v16, v16, v24
	v_mul_f32_e32 v22, 0x3fb8aa3b, v20
	v_fma_f32 v37, v6, s5, -v19
	v_rndne_f32_e32 v38, v19
	v_cvt_i32_f32_e32 v25, v25
	v_fmac_f32_e32 v35, 0x32a5705f, v5
	v_sub_f32_e32 v18, v18, v36
	v_add_f32_e32 v17, v17, v26
	v_exp_f32_e32 v16, v16
	v_fma_f32 v39, v20, s5, -v22
	v_rndne_f32_e32 v41, v22
	v_cvt_i32_f32_e32 v34, v34
	v_fmac_f32_e32 v37, 0x32a5705f, v6
	v_sub_f32_e32 v19, v19, v38
	v_add_f32_e32 v18, v18, v35
	v_exp_f32_e32 v17, v17
	v_cvt_i32_f32_e32 v36, v36
	v_fmac_f32_e32 v39, 0x32a5705f, v20
	v_sub_f32_e32 v22, v22, v41
	v_add_f32_e32 v19, v19, v37
	v_exp_f32_e32 v18, v18
	v_cvt_i32_f32_e32 v38, v38
	v_add_f32_e32 v22, v22, v39
	v_exp_f32_e32 v19, v19
	v_cvt_i32_f32_e32 v41, v41
	v_exp_f32_e32 v22, v22
	v_ldexp_f32 v16, v16, v25
	v_cmp_ngt_f32_e32 vcc, s2, v3
	v_ldexp_f32 v17, v17, v34
	v_ldexp_f32 v18, v18, v36
	v_cndmask_b32_e32 v16, 0, v16, vcc
	v_cmp_ngt_f32_e32 vcc, s2, v4
	v_sub_f32_e32 v21, v32, v2
	v_ldexp_f32 v19, v19, v38
	v_cndmask_b32_e32 v17, 0, v17, vcc
	v_cmp_ngt_f32_e32 vcc, s2, v5
	v_mul_f32_e32 v23, 0x3fb8aa3b, v21
	v_ldexp_f32 v22, v22, v41
	v_cndmask_b32_e32 v24, 0, v18, vcc
	v_cmp_ngt_f32_e32 vcc, s2, v6
	v_fma_f32 v42, v21, s5, -v23
	v_rndne_f32_e32 v43, v23
	v_cndmask_b32_e32 v19, 0, v19, vcc
	v_cmp_ngt_f32_e32 vcc, s2, v20
	v_fmac_f32_e32 v42, 0x32a5705f, v21
	v_sub_f32_e32 v23, v23, v43
	v_cndmask_b32_e32 v22, 0, v22, vcc
	v_cmp_nlt_f32_e32 vcc, s4, v3
	v_add_f32_e32 v23, v23, v42
	v_cvt_i32_f32_e32 v43, v43
	v_cndmask_b32_e32 v16, v33, v16, vcc
	v_cvt_f16_f32_e32 v3, v16
	v_exp_f32_e32 v23, v23
	v_cmp_nlt_f32_e32 vcc, s4, v4
	v_mul_u32_u24_e32 v3, 0x10001, v3
	s_nop 0
	v_cndmask_b32_e32 v18, v33, v17, vcc
	v_cmp_nlt_f32_e32 vcc, s4, v5
	v_pk_mul_f16 v90, v90, v3
	v_pk_mul_f16 v91, v91, v3
	v_cndmask_b32_e32 v17, v33, v24, vcc
	v_cmp_nlt_f32_e32 vcc, s4, v6
	v_ldexp_f32 v3, v23, v43
	v_cvt_f16_f32_e32 v4, v17
	v_cndmask_b32_e32 v19, v33, v19, vcc
	v_cmp_nlt_f32_e32 vcc, s4, v20
	v_pk_fma_f32 v[14:15], v[14:15], v[16:17], v[18:19]
	v_mul_u32_u24_e32 v4, 0x10001, v4
	v_cndmask_b32_e32 v20, v33, v22, vcc
	v_cmp_ngt_f32_e32 vcc, s2, v21
	v_pk_mul_f16 v88, v88, v4
	v_pk_mul_f16 v89, v89, v4
	v_cndmask_b32_e32 v3, 0, v3, vcc
	v_cmp_nlt_f32_e32 vcc, s4, v21
	v_cvt_f16_f32_e32 v4, v20
	v_mul_u32_u24_e32 v4, 0x10001, v4
	v_cndmask_b32_e32 v22, v33, v3, vcc
	v_max_f32_e32 v3, v27, v27
	v_max_f32_e32 v3, v3, v7
	v_sub_f32_e32 v5, v27, v3
	v_mul_f32_e32 v6, 0x3fb8aa3b, v5
	v_fma_f32 v21, v5, s5, -v6
	v_rndne_f32_e32 v23, v6
	v_fmac_f32_e32 v21, 0x32a5705f, v5
	v_sub_f32_e32 v6, v6, v23
	v_add_f32_e32 v6, v6, v21
	v_exp_f32_e32 v6, v6
	v_cvt_i32_f32_e32 v21, v23
	v_pk_mul_f16 v86, v86, v4
	v_pk_mul_f16 v87, v87, v4
	v_cmp_ngt_f32_e32 vcc, s2, v5
	v_ldexp_f32 v4, v6, v21
	v_sub_f32_e32 v6, v32, v3
	v_mul_f32_e32 v21, 0x3fb8aa3b, v6
	v_fma_f32 v23, v6, s5, -v21
	v_rndne_f32_e32 v24, v21
	v_fmac_f32_e32 v23, 0x32a5705f, v6
	v_sub_f32_e32 v21, v21, v24
	v_add_f32_e32 v21, v21, v23
	v_exp_f32_e32 v23, v21
	v_cvt_i32_f32_e32 v24, v24
	v_cndmask_b32_e32 v4, 0, v4, vcc
	v_cmp_nlt_f32_e32 vcc, s4, v5
	s_nop 1
	v_cndmask_b32_e32 v21, v33, v4, vcc
	v_ldexp_f32 v4, v23, v24
	v_cmp_ngt_f32_e32 vcc, s2, v6
	v_cvt_f16_f32_e32 v5, v21
	v_mul_u32_u24_e32 v5, 0x10001, v5
	v_cndmask_b32_e32 v4, 0, v4, vcc
	v_cmp_nlt_f32_e32 vcc, s4, v6
	v_pk_mul_f16 v84, v84, v5
	v_pk_mul_f16 v85, v85, v5
	v_cndmask_b32_e32 v23, v33, v4, vcc
	v_max_f32_e32 v4, v28, v28
	v_max_f32_e32 v4, v4, v7
	v_sub_f32_e32 v6, v28, v4
	v_mul_f32_e32 v24, 0x3fb8aa3b, v6
	v_fma_f32 v25, v6, s5, -v24
	v_rndne_f32_e32 v26, v24
	v_fmac_f32_e32 v25, 0x32a5705f, v6
	v_sub_f32_e32 v24, v24, v26
	v_add_f32_e32 v24, v24, v25
	v_exp_f32_e32 v24, v24
	v_cvt_i32_f32_e32 v25, v26
	v_cmp_ngt_f32_e32 vcc, s2, v6
	v_pk_fma_f32 v[12:13], v[12:13], v[20:21], v[22:23]
	v_ldexp_f32 v5, v24, v25
	v_sub_f32_e32 v25, v32, v4
	v_mul_f32_e32 v24, 0x3fb8aa3b, v25
	v_fma_f32 v26, v25, s5, -v24
	v_rndne_f32_e32 v27, v24
	v_fmac_f32_e32 v26, 0x32a5705f, v25
	v_sub_f32_e32 v24, v24, v27
	v_add_f32_e32 v24, v24, v26
	v_exp_f32_e32 v26, v24
	v_cvt_i32_f32_e32 v27, v27
	v_cndmask_b32_e32 v5, 0, v5, vcc
	v_cmp_nlt_f32_e32 vcc, s4, v6
	s_nop 1
	v_cndmask_b32_e32 v24, v33, v5, vcc
	v_ldexp_f32 v5, v26, v27
	v_cmp_ngt_f32_e32 vcc, s2, v25
	v_cvt_f16_f32_e32 v6, v24
	v_mul_u32_u24_e32 v6, 0x10001, v6
	v_cndmask_b32_e32 v5, 0, v5, vcc
	v_cmp_nlt_f32_e32 vcc, s4, v25
	v_pk_mul_f16 v82, v82, v6
	v_pk_mul_f16 v83, v83, v6
	v_cndmask_b32_e32 v26, v33, v5, vcc
	v_max_f32_e32 v5, v29, v29
	v_max_f32_e32 v5, v5, v7
	v_sub_f32_e32 v25, v29, v5
	v_mul_f32_e32 v27, 0x3fb8aa3b, v25
	v_fma_f32 v28, v25, s5, -v27
	v_rndne_f32_e32 v29, v27
	v_fmac_f32_e32 v28, 0x32a5705f, v25
	v_sub_f32_e32 v27, v27, v29
	v_add_f32_e32 v27, v27, v28
	v_exp_f32_e32 v27, v27
	v_cvt_i32_f32_e32 v28, v29
	v_cmp_ngt_f32_e32 vcc, s2, v25
	v_ldexp_f32 v6, v27, v28
	v_sub_f32_e32 v27, v32, v5
	v_mul_f32_e32 v28, 0x3fb8aa3b, v27
	v_fma_f32 v29, v27, s5, -v28
	v_rndne_f32_e32 v34, v28
	v_fmac_f32_e32 v29, 0x32a5705f, v27
	v_sub_f32_e32 v28, v28, v34
	v_add_f32_e32 v28, v28, v29
	v_exp_f32_e32 v28, v28
	v_cvt_i32_f32_e32 v29, v34
	v_cndmask_b32_e32 v6, 0, v6, vcc
	v_cmp_nlt_f32_e32 vcc, s4, v25
	s_nop 1
	v_cndmask_b32_e32 v25, v33, v6, vcc
	v_ldexp_f32 v6, v28, v29
	v_cmp_ngt_f32_e32 vcc, s2, v27
	v_cvt_f16_f32_e32 v28, v25
	v_mul_u32_u24_e32 v28, 0x10001, v28
	v_cndmask_b32_e32 v6, 0, v6, vcc
	v_cmp_nlt_f32_e32 vcc, s4, v27
	v_pk_mul_f16 v78, v78, v28
	v_pk_mul_f16 v79, v79, v28
	v_cndmask_b32_e32 v27, v33, v6, vcc
	v_max_f32_e32 v6, v30, v30
	v_max_f32_e32 v6, v6, v7
	v_sub_f32_e32 v29, v30, v6
	v_mul_f32_e32 v30, 0x3fb8aa3b, v29
	v_fma_f32 v34, v29, s5, -v30
	v_rndne_f32_e32 v35, v30
	v_fmac_f32_e32 v34, 0x32a5705f, v29
	v_sub_f32_e32 v30, v30, v35
	v_add_f32_e32 v30, v30, v34
	v_exp_f32_e32 v30, v30
	v_cvt_i32_f32_e32 v34, v35
	v_cmp_ngt_f32_e32 vcc, s2, v29
	v_pk_fma_f32 v[10:11], v[10:11], v[24:25], v[26:27]
	v_ldexp_f32 v28, v30, v34
	v_sub_f32_e32 v30, v32, v6
	v_mul_f32_e32 v34, 0x3fb8aa3b, v30
	v_fma_f32 v35, v30, s5, -v34
	v_rndne_f32_e32 v36, v34
	v_fmac_f32_e32 v35, 0x32a5705f, v30
	v_sub_f32_e32 v34, v34, v36
	v_add_f32_e32 v34, v34, v35
	v_exp_f32_e32 v34, v34
	v_cvt_i32_f32_e32 v35, v36
	v_cndmask_b32_e32 v28, 0, v28, vcc
	v_cmp_nlt_f32_e32 vcc, s4, v29
	v_ldexp_f32 v29, v34, v35
	v_max_f32_e32 v34, v31, v31
	v_max_f32_e32 v7, v34, v7
	v_sub_f32_e32 v31, v31, v7
	v_mul_f32_e32 v34, 0x3fb8aa3b, v31
	v_cndmask_b32_e32 v28, v33, v28, vcc
	v_cmp_ngt_f32_e32 vcc, s2, v30
	v_fma_f32 v35, v31, s5, -v34
	v_rndne_f32_e32 v36, v34
	v_cndmask_b32_e32 v29, 0, v29, vcc
	v_cmp_nlt_f32_e32 vcc, s4, v30
	v_fmac_f32_e32 v35, 0x32a5705f, v31
	v_sub_f32_e32 v34, v34, v36
	v_cndmask_b32_e32 v30, v33, v29, vcc
	v_cvt_f16_f32_e32 v29, v28
	v_add_f32_e32 v34, v34, v35
	v_exp_f32_e32 v34, v34
	v_cvt_i32_f32_e32 v35, v36
	v_mul_u32_u24_e32 v29, 0x10001, v29
	v_sub_f32_e32 v32, v32, v7
	v_pk_mul_f16 v74, v74, v29
	v_pk_mul_f16 v75, v75, v29
	v_ldexp_f32 v29, v34, v35
	v_mul_f32_e32 v34, 0x3fb8aa3b, v32
	v_fma_f32 v35, v32, s5, -v34
	v_rndne_f32_e32 v36, v34
	v_fmac_f32_e32 v35, 0x32a5705f, v32
	v_sub_f32_e32 v34, v34, v36
	v_add_f32_e32 v34, v34, v35
	v_exp_f32_e32 v34, v34
	v_cvt_i32_f32_e32 v35, v36
	v_cmp_ngt_f32_e32 vcc, s2, v31
	s_nop 1
	v_cndmask_b32_e32 v29, 0, v29, vcc
	v_cmp_nlt_f32_e32 vcc, s4, v31
	v_ldexp_f32 v31, v34, v35
	s_nop 0
	v_cndmask_b32_e32 v29, v33, v29, vcc
	v_cvt_f16_f32_e32 v34, v29
	v_cmp_ngt_f32_e32 vcc, s2, v32
	s_nop 1
	v_cndmask_b32_e32 v31, 0, v31, vcc
	v_cmp_nlt_f32_e32 vcc, s4, v32
	v_mul_u32_u24_e32 v32, 0x10001, v34
	v_pk_mul_f16 v44, v44, v32
	v_cndmask_b32_e32 v31, v33, v31, vcc
	v_pk_fma_f32 v[8:9], v[8:9], v[28:29], v[30:31]
	v_mov_b64_e32 v[30:31], v[6:7]
	v_pk_mul_f16 v45, v45, v32
	v_mov_b64_e32 v[28:29], v[4:5]
	v_mov_b64_e32 v[26:27], v[2:3]
	;; [unrolled: 1-line block ×3, first 2 shown]
.LBB52_130:
	v_cmp_gt_i32_e32 vcc, s26, v63
	s_and_saveexec_b64 s[4:5], vcc
	s_cbranch_execz .LBB52_170
; %bb.131:
	s_load_dword s2, s[0:1], 0xd4
	v_mov_b32_e32 v0, 1.0
	s_waitcnt lgkmcnt(0)
	s_cmp_lg_u32 s2, 1
	s_cselect_b64 s[0:1], -1, 0
	s_cmp_eq_u32 s2, 1
	s_cselect_b64 s[6:7], -1, 0
	s_and_b64 vcc, exec, s[0:1]
	s_cbranch_vccnz .LBB52_133
; %bb.132:
	v_div_scale_f32 v0, s[4:5], v14, v14, 1.0
	v_rcp_f32_e32 v1, v0
	v_div_scale_f32 v2, vcc, 1.0, v14, 1.0
	v_fma_f32 v3, -v0, v1, 1.0
	v_fmac_f32_e32 v1, v3, v1
	v_mul_f32_e32 v3, v2, v1
	v_fma_f32 v4, -v0, v3, v2
	v_fmac_f32_e32 v3, v4, v1
	v_fma_f32 v0, -v0, v3, v2
	v_div_fmas_f32 v0, v0, v1, v3
	v_div_fixup_f32 v0, v0, v14, 1.0
.LBB52_133:
	s_mul_i32 s8, s33, s26
	s_add_i32 s8, s8, s14
	v_add_u32_e32 v1, s8, v61
	v_mul_lo_u32 v1, v1, s27
	v_add_u32_e32 v1, s34, v1
	v_cvt_f32_f16_sdwa v7, v90 dst_sel:DWORD dst_unused:UNUSED_PAD src0_sel:WORD_1
	v_cvt_f32_f16_e32 v6, v90
	v_cvt_f32_f16_sdwa v17, v91 dst_sel:DWORD dst_unused:UNUSED_PAD src0_sel:WORD_1
	v_cvt_f32_f16_e32 v16, v91
	v_mul_lo_u32 v1, s2, v1
	v_add_u32_e32 v2, s3, v1
	v_cmp_eq_u32_e32 vcc, 0, v40
	v_lshl_add_u32 v4, v2, 7, v56
	v_mov_b32_e32 v5, 0
	v_lshl_add_u64 v[18:19], v[4:5], 2, s[20:21]
	v_pk_mul_f32 v[4:5], v[0:1], v[6:7] op_sel_hi:[0,1]
	v_pk_mul_f32 v[6:7], v[0:1], v[16:17] op_sel_hi:[0,1]
	s_and_b64 s[4:5], vcc, s[0:1]
	global_store_dwordx4 v[18:19], v[4:7], off
	s_and_saveexec_b64 s[0:1], s[4:5]
	s_cbranch_execz .LBB52_135
; %bb.134:
	v_ashrrev_i32_e32 v3, 31, v2
	v_lshl_add_u64 v[0:1], v[2:3], 3, s[22:23]
	v_mov_b32_e32 v2, v24
	v_mov_b32_e32 v3, v14
	global_store_dwordx2 v[0:1], v[2:3], off
.LBB52_135:
	s_or_b64 exec, exec, s[0:1]
	v_cmp_gt_i32_e32 vcc, s26, v64
	s_and_b64 exec, exec, vcc
	s_cbranch_execz .LBB52_170
; %bb.136:
	v_cndmask_b32_e64 v0, 0, 1, s[6:7]
	v_cmp_ne_u32_e64 s[0:1], 1, v0
	s_andn2_b64 vcc, exec, s[6:7]
	v_mov_b32_e32 v2, 1.0
	s_cbranch_vccnz .LBB52_138
; %bb.137:
	v_div_scale_f32 v0, s[6:7], v15, v15, 1.0
	v_rcp_f32_e32 v1, v0
	v_div_scale_f32 v2, vcc, 1.0, v15, 1.0
	v_fma_f32 v3, -v0, v1, 1.0
	v_fmac_f32_e32 v1, v3, v1
	v_mul_f32_e32 v3, v2, v1
	v_fma_f32 v4, -v0, v3, v2
	v_fmac_f32_e32 v3, v4, v1
	v_fma_f32 v0, -v0, v3, v2
	v_div_fmas_f32 v0, v0, v1, v3
	v_div_fixup_f32 v2, v0, v15, 1.0
.LBB52_138:
	v_add_u32_e32 v0, s8, v60
	v_mul_lo_u32 v0, v0, s27
	v_add_u32_e32 v0, s34, v0
	v_cvt_f32_f16_sdwa v7, v88 dst_sel:DWORD dst_unused:UNUSED_PAD src0_sel:WORD_1
	v_cvt_f32_f16_e32 v6, v88
	v_cvt_f32_f16_sdwa v17, v89 dst_sel:DWORD dst_unused:UNUSED_PAD src0_sel:WORD_1
	v_cvt_f32_f16_e32 v16, v89
	v_mul_lo_u32 v0, s2, v0
	v_add_u32_e32 v0, s3, v0
	v_lshl_add_u32 v4, v0, 7, v56
	v_mov_b32_e32 v5, 0
	v_lshl_add_u64 v[18:19], v[4:5], 2, s[20:21]
	v_pk_mul_f32 v[4:5], v[2:3], v[6:7] op_sel_hi:[0,1]
	v_pk_mul_f32 v[6:7], v[2:3], v[16:17] op_sel_hi:[0,1]
	global_store_dwordx4 v[18:19], v[4:7], off
	s_and_saveexec_b64 s[6:7], s[4:5]
	s_cbranch_execz .LBB52_140
; %bb.139:
	v_ashrrev_i32_e32 v1, 31, v0
	v_lshl_add_u64 v[0:1], v[0:1], 3, s[22:23]
	v_mov_b32_e32 v14, v25
	global_store_dwordx2 v[0:1], v[14:15], off
.LBB52_140:
	s_or_b64 exec, exec, s[6:7]
	v_cmp_gt_i32_e32 vcc, s26, v62
	s_and_b64 exec, exec, vcc
	s_cbranch_execz .LBB52_170
; %bb.141:
	s_and_b64 vcc, exec, s[0:1]
	v_mov_b32_e32 v2, 1.0
	s_cbranch_vccnz .LBB52_143
; %bb.142:
	v_div_scale_f32 v0, s[6:7], v12, v12, 1.0
	v_rcp_f32_e32 v1, v0
	v_div_scale_f32 v2, vcc, 1.0, v12, 1.0
	v_fma_f32 v3, -v0, v1, 1.0
	v_fmac_f32_e32 v1, v3, v1
	v_mul_f32_e32 v3, v2, v1
	v_fma_f32 v4, -v0, v3, v2
	v_fmac_f32_e32 v3, v4, v1
	v_fma_f32 v0, -v0, v3, v2
	v_div_fmas_f32 v0, v0, v1, v3
	v_div_fixup_f32 v2, v0, v12, 1.0
.LBB52_143:
	v_add_u32_e32 v0, s8, v58
	v_mul_lo_u32 v0, v0, s27
	v_add_u32_e32 v0, s34, v0
	v_cvt_f32_f16_sdwa v7, v86 dst_sel:DWORD dst_unused:UNUSED_PAD src0_sel:WORD_1
	v_cvt_f32_f16_e32 v6, v86
	v_cvt_f32_f16_sdwa v15, v87 dst_sel:DWORD dst_unused:UNUSED_PAD src0_sel:WORD_1
	v_cvt_f32_f16_e32 v14, v87
	v_mul_lo_u32 v0, s2, v0
	v_add_u32_e32 v0, s3, v0
	v_lshl_add_u32 v4, v0, 7, v56
	v_mov_b32_e32 v5, 0
	v_lshl_add_u64 v[16:17], v[4:5], 2, s[20:21]
	v_pk_mul_f32 v[4:5], v[2:3], v[6:7] op_sel_hi:[0,1]
	v_pk_mul_f32 v[6:7], v[2:3], v[14:15] op_sel_hi:[0,1]
	global_store_dwordx4 v[16:17], v[4:7], off
	s_and_saveexec_b64 s[6:7], s[4:5]
	s_cbranch_execz .LBB52_145
; %bb.144:
	v_ashrrev_i32_e32 v1, 31, v0
	v_lshl_add_u64 v[0:1], v[0:1], 3, s[22:23]
	v_mov_b32_e32 v2, v26
	v_mov_b32_e32 v3, v12
	global_store_dwordx2 v[0:1], v[2:3], off
.LBB52_145:
	s_or_b64 exec, exec, s[6:7]
	v_cmp_gt_i32_e32 vcc, s26, v59
	s_and_b64 exec, exec, vcc
	s_cbranch_execz .LBB52_170
; %bb.146:
	s_and_b64 vcc, exec, s[0:1]
	v_mov_b32_e32 v2, 1.0
	s_cbranch_vccnz .LBB52_148
; %bb.147:
	v_div_scale_f32 v0, s[6:7], v13, v13, 1.0
	v_rcp_f32_e32 v1, v0
	v_div_scale_f32 v2, vcc, 1.0, v13, 1.0
	v_fma_f32 v3, -v0, v1, 1.0
	v_fmac_f32_e32 v1, v3, v1
	v_mul_f32_e32 v3, v2, v1
	v_fma_f32 v4, -v0, v3, v2
	v_fmac_f32_e32 v3, v4, v1
	v_fma_f32 v0, -v0, v3, v2
	v_div_fmas_f32 v0, v0, v1, v3
	v_div_fixup_f32 v2, v0, v13, 1.0
.LBB52_148:
	v_add_u32_e32 v0, s8, v57
	v_mul_lo_u32 v0, v0, s27
	v_add_u32_e32 v0, s34, v0
	v_cvt_f32_f16_sdwa v7, v84 dst_sel:DWORD dst_unused:UNUSED_PAD src0_sel:WORD_1
	v_cvt_f32_f16_e32 v6, v84
	v_cvt_f32_f16_sdwa v15, v85 dst_sel:DWORD dst_unused:UNUSED_PAD src0_sel:WORD_1
	v_cvt_f32_f16_e32 v14, v85
	v_mul_lo_u32 v0, s2, v0
	v_add_u32_e32 v0, s3, v0
	v_lshl_add_u32 v4, v0, 7, v56
	v_mov_b32_e32 v5, 0
	v_lshl_add_u64 v[16:17], v[4:5], 2, s[20:21]
	v_pk_mul_f32 v[4:5], v[2:3], v[6:7] op_sel_hi:[0,1]
	v_pk_mul_f32 v[6:7], v[2:3], v[14:15] op_sel_hi:[0,1]
	global_store_dwordx4 v[16:17], v[4:7], off
	s_and_saveexec_b64 s[6:7], s[4:5]
	s_cbranch_execz .LBB52_150
; %bb.149:
	v_ashrrev_i32_e32 v1, 31, v0
	v_lshl_add_u64 v[0:1], v[0:1], 3, s[22:23]
	v_mov_b32_e32 v12, v27
	global_store_dwordx2 v[0:1], v[12:13], off
.LBB52_150:
	s_or_b64 exec, exec, s[6:7]
	v_cmp_gt_i32_e32 vcc, s26, v55
	s_and_b64 exec, exec, vcc
	s_cbranch_execz .LBB52_170
; %bb.151:
	s_and_b64 vcc, exec, s[0:1]
	v_mov_b32_e32 v2, 1.0
	s_cbranch_vccnz .LBB52_153
; %bb.152:
	v_div_scale_f32 v0, s[6:7], v10, v10, 1.0
	v_rcp_f32_e32 v1, v0
	v_div_scale_f32 v2, vcc, 1.0, v10, 1.0
	v_fma_f32 v3, -v0, v1, 1.0
	v_fmac_f32_e32 v1, v3, v1
	v_mul_f32_e32 v3, v2, v1
	v_fma_f32 v4, -v0, v3, v2
	v_fmac_f32_e32 v3, v4, v1
	v_fma_f32 v0, -v0, v3, v2
	v_div_fmas_f32 v0, v0, v1, v3
	v_div_fixup_f32 v2, v0, v10, 1.0
.LBB52_153:
	v_add_u32_e32 v0, s8, v52
	v_mul_lo_u32 v0, v0, s27
	v_add_u32_e32 v0, s34, v0
	v_cvt_f32_f16_sdwa v7, v82 dst_sel:DWORD dst_unused:UNUSED_PAD src0_sel:WORD_1
	v_cvt_f32_f16_e32 v6, v82
	v_cvt_f32_f16_sdwa v13, v83 dst_sel:DWORD dst_unused:UNUSED_PAD src0_sel:WORD_1
	v_cvt_f32_f16_e32 v12, v83
	v_mul_lo_u32 v0, s2, v0
	v_add_u32_e32 v0, s3, v0
	v_lshl_add_u32 v4, v0, 7, v56
	v_mov_b32_e32 v5, 0
	v_lshl_add_u64 v[14:15], v[4:5], 2, s[20:21]
	v_pk_mul_f32 v[4:5], v[2:3], v[6:7] op_sel_hi:[0,1]
	v_pk_mul_f32 v[6:7], v[2:3], v[12:13] op_sel_hi:[0,1]
	global_store_dwordx4 v[14:15], v[4:7], off
	s_and_saveexec_b64 s[6:7], s[4:5]
	s_cbranch_execz .LBB52_155
; %bb.154:
	v_ashrrev_i32_e32 v1, 31, v0
	v_lshl_add_u64 v[0:1], v[0:1], 3, s[22:23]
	v_mov_b32_e32 v2, v28
	v_mov_b32_e32 v3, v10
	global_store_dwordx2 v[0:1], v[2:3], off
.LBB52_155:
	s_or_b64 exec, exec, s[6:7]
	v_cmp_gt_i32_e32 vcc, s26, v54
	s_and_b64 exec, exec, vcc
	s_cbranch_execz .LBB52_170
; %bb.156:
	s_and_b64 vcc, exec, s[0:1]
	v_mov_b32_e32 v2, 1.0
	s_cbranch_vccnz .LBB52_158
; %bb.157:
	v_div_scale_f32 v0, s[6:7], v11, v11, 1.0
	v_rcp_f32_e32 v1, v0
	v_div_scale_f32 v2, vcc, 1.0, v11, 1.0
	v_fma_f32 v3, -v0, v1, 1.0
	v_fmac_f32_e32 v1, v3, v1
	v_mul_f32_e32 v3, v2, v1
	v_fma_f32 v4, -v0, v3, v2
	v_fmac_f32_e32 v3, v4, v1
	v_fma_f32 v0, -v0, v3, v2
	v_div_fmas_f32 v0, v0, v1, v3
	v_div_fixup_f32 v2, v0, v11, 1.0
.LBB52_158:
	v_add_u32_e32 v0, s8, v53
	v_mul_lo_u32 v0, v0, s27
	v_add_u32_e32 v0, s34, v0
	v_cvt_f32_f16_sdwa v7, v78 dst_sel:DWORD dst_unused:UNUSED_PAD src0_sel:WORD_1
	v_cvt_f32_f16_e32 v6, v78
	v_cvt_f32_f16_sdwa v13, v79 dst_sel:DWORD dst_unused:UNUSED_PAD src0_sel:WORD_1
	v_cvt_f32_f16_e32 v12, v79
	v_mul_lo_u32 v0, s2, v0
	v_add_u32_e32 v0, s3, v0
	v_lshl_add_u32 v4, v0, 7, v56
	v_mov_b32_e32 v5, 0
	v_lshl_add_u64 v[14:15], v[4:5], 2, s[20:21]
	v_pk_mul_f32 v[4:5], v[2:3], v[6:7] op_sel_hi:[0,1]
	v_pk_mul_f32 v[6:7], v[2:3], v[12:13] op_sel_hi:[0,1]
	global_store_dwordx4 v[14:15], v[4:7], off
	s_and_saveexec_b64 s[6:7], s[4:5]
	s_cbranch_execz .LBB52_160
; %bb.159:
	v_ashrrev_i32_e32 v1, 31, v0
	v_lshl_add_u64 v[0:1], v[0:1], 3, s[22:23]
	v_mov_b32_e32 v10, v29
	global_store_dwordx2 v[0:1], v[10:11], off
.LBB52_160:
	s_or_b64 exec, exec, s[6:7]
	v_cmp_gt_i32_e32 vcc, s26, v51
	s_and_b64 exec, exec, vcc
	s_cbranch_execz .LBB52_170
; %bb.161:
	s_and_b64 vcc, exec, s[0:1]
	v_mov_b32_e32 v2, 1.0
	s_cbranch_vccnz .LBB52_163
; %bb.162:
	v_div_scale_f32 v0, s[6:7], v8, v8, 1.0
	v_rcp_f32_e32 v1, v0
	v_div_scale_f32 v2, vcc, 1.0, v8, 1.0
	v_fma_f32 v3, -v0, v1, 1.0
	v_fmac_f32_e32 v1, v3, v1
	v_mul_f32_e32 v3, v2, v1
	v_fma_f32 v4, -v0, v3, v2
	v_fmac_f32_e32 v3, v4, v1
	v_fma_f32 v0, -v0, v3, v2
	v_div_fmas_f32 v0, v0, v1, v3
	v_div_fixup_f32 v2, v0, v8, 1.0
.LBB52_163:
	v_add_u32_e32 v0, s8, v50
	v_mul_lo_u32 v0, v0, s27
	v_add_u32_e32 v0, s34, v0
	v_cvt_f32_f16_sdwa v7, v74 dst_sel:DWORD dst_unused:UNUSED_PAD src0_sel:WORD_1
	v_cvt_f32_f16_e32 v6, v74
	v_cvt_f32_f16_sdwa v11, v75 dst_sel:DWORD dst_unused:UNUSED_PAD src0_sel:WORD_1
	v_cvt_f32_f16_e32 v10, v75
	v_mul_lo_u32 v0, s2, v0
	v_add_u32_e32 v0, s3, v0
	v_lshl_add_u32 v4, v0, 7, v56
	v_mov_b32_e32 v5, 0
	v_lshl_add_u64 v[12:13], v[4:5], 2, s[20:21]
	v_pk_mul_f32 v[4:5], v[2:3], v[6:7] op_sel_hi:[0,1]
	v_pk_mul_f32 v[6:7], v[2:3], v[10:11] op_sel_hi:[0,1]
	global_store_dwordx4 v[12:13], v[4:7], off
	s_and_saveexec_b64 s[6:7], s[4:5]
	s_cbranch_execz .LBB52_165
; %bb.164:
	v_ashrrev_i32_e32 v1, 31, v0
	v_lshl_add_u64 v[0:1], v[0:1], 3, s[22:23]
	v_mov_b32_e32 v2, v30
	v_mov_b32_e32 v3, v8
	global_store_dwordx2 v[0:1], v[2:3], off
.LBB52_165:
	s_or_b64 exec, exec, s[6:7]
	v_cmp_gt_i32_e32 vcc, s26, v49
	s_and_b64 exec, exec, vcc
	s_cbranch_execz .LBB52_170
; %bb.166:
	s_and_b64 vcc, exec, s[0:1]
	v_mov_b32_e32 v2, 1.0
	s_cbranch_vccnz .LBB52_168
; %bb.167:
	v_div_scale_f32 v0, s[0:1], v9, v9, 1.0
	v_rcp_f32_e32 v1, v0
	v_div_scale_f32 v2, vcc, 1.0, v9, 1.0
	v_fma_f32 v3, -v0, v1, 1.0
	v_fmac_f32_e32 v1, v3, v1
	v_mul_f32_e32 v3, v2, v1
	v_fma_f32 v4, -v0, v3, v2
	v_fmac_f32_e32 v3, v4, v1
	v_fma_f32 v0, -v0, v3, v2
	v_div_fmas_f32 v0, v0, v1, v3
	v_div_fixup_f32 v2, v0, v9, 1.0
.LBB52_168:
	v_add_u32_e32 v0, s8, v48
	v_mul_lo_u32 v0, v0, s27
	v_add_u32_e32 v0, s34, v0
	v_cvt_f32_f16_sdwa v7, v44 dst_sel:DWORD dst_unused:UNUSED_PAD src0_sel:WORD_1
	v_cvt_f32_f16_e32 v6, v44
	v_cvt_f32_f16_sdwa v11, v45 dst_sel:DWORD dst_unused:UNUSED_PAD src0_sel:WORD_1
	v_cvt_f32_f16_e32 v10, v45
	v_mul_lo_u32 v0, s2, v0
	v_add_u32_e32 v0, s3, v0
	v_lshl_add_u32 v4, v0, 7, v56
	v_mov_b32_e32 v5, 0
	v_lshl_add_u64 v[12:13], v[4:5], 2, s[20:21]
	v_pk_mul_f32 v[4:5], v[2:3], v[6:7] op_sel_hi:[0,1]
	v_pk_mul_f32 v[6:7], v[2:3], v[10:11] op_sel_hi:[0,1]
	global_store_dwordx4 v[12:13], v[4:7], off
	s_and_b64 exec, exec, s[4:5]
	s_cbranch_execz .LBB52_170
; %bb.169:
	v_ashrrev_i32_e32 v1, 31, v0
	v_lshl_add_u64 v[0:1], v[0:1], 3, s[22:23]
	v_mov_b32_e32 v8, v31
	global_store_dwordx2 v[0:1], v[8:9], off
.LBB52_170:
	s_endpgm
	.section	.rodata,"a",@progbits
	.p2align	6, 0x0
	.amdhsa_kernel _ZL15flash_attn_tileILi128ELi128ELi64ELi1ELb0EEvPKcS1_S1_S1_S1_PKiPfP15HIP_vector_typeIfLj2EEffffjfiS5_IjLj3EEiiiiiiiiiiiliiliiiiil
		.amdhsa_group_segment_fixed_size 29696
		.amdhsa_private_segment_fixed_size 32
		.amdhsa_kernarg_size 464
		.amdhsa_user_sgpr_count 2
		.amdhsa_user_sgpr_dispatch_ptr 0
		.amdhsa_user_sgpr_queue_ptr 0
		.amdhsa_user_sgpr_kernarg_segment_ptr 1
		.amdhsa_user_sgpr_dispatch_id 0
		.amdhsa_user_sgpr_kernarg_preload_length 0
		.amdhsa_user_sgpr_kernarg_preload_offset 0
		.amdhsa_user_sgpr_private_segment_size 0
		.amdhsa_uses_dynamic_stack 0
		.amdhsa_enable_private_segment 1
		.amdhsa_system_sgpr_workgroup_id_x 1
		.amdhsa_system_sgpr_workgroup_id_y 1
		.amdhsa_system_sgpr_workgroup_id_z 1
		.amdhsa_system_sgpr_workgroup_info 0
		.amdhsa_system_vgpr_workitem_id 1
		.amdhsa_next_free_vgpr 146
		.amdhsa_next_free_sgpr 96
		.amdhsa_accum_offset 148
		.amdhsa_reserve_vcc 1
		.amdhsa_float_round_mode_32 0
		.amdhsa_float_round_mode_16_64 0
		.amdhsa_float_denorm_mode_32 3
		.amdhsa_float_denorm_mode_16_64 3
		.amdhsa_dx10_clamp 1
		.amdhsa_ieee_mode 1
		.amdhsa_fp16_overflow 0
		.amdhsa_tg_split 0
		.amdhsa_exception_fp_ieee_invalid_op 0
		.amdhsa_exception_fp_denorm_src 0
		.amdhsa_exception_fp_ieee_div_zero 0
		.amdhsa_exception_fp_ieee_overflow 0
		.amdhsa_exception_fp_ieee_underflow 0
		.amdhsa_exception_fp_ieee_inexact 0
		.amdhsa_exception_int_div_zero 0
	.end_amdhsa_kernel
	.section	.text._ZL15flash_attn_tileILi128ELi128ELi64ELi1ELb0EEvPKcS1_S1_S1_S1_PKiPfP15HIP_vector_typeIfLj2EEffffjfiS5_IjLj3EEiiiiiiiiiiiliiliiiiil,"axG",@progbits,_ZL15flash_attn_tileILi128ELi128ELi64ELi1ELb0EEvPKcS1_S1_S1_S1_PKiPfP15HIP_vector_typeIfLj2EEffffjfiS5_IjLj3EEiiiiiiiiiiiliiliiiiil,comdat
.Lfunc_end52:
	.size	_ZL15flash_attn_tileILi128ELi128ELi64ELi1ELb0EEvPKcS1_S1_S1_S1_PKiPfP15HIP_vector_typeIfLj2EEffffjfiS5_IjLj3EEiiiiiiiiiiiliiliiiiil, .Lfunc_end52-_ZL15flash_attn_tileILi128ELi128ELi64ELi1ELb0EEvPKcS1_S1_S1_S1_PKiPfP15HIP_vector_typeIfLj2EEffffjfiS5_IjLj3EEiiiiiiiiiiiliiliiiiil
                                        ; -- End function
	.set _ZL15flash_attn_tileILi128ELi128ELi64ELi1ELb0EEvPKcS1_S1_S1_S1_PKiPfP15HIP_vector_typeIfLj2EEffffjfiS5_IjLj3EEiiiiiiiiiiiliiliiiiil.num_vgpr, 146
	.set _ZL15flash_attn_tileILi128ELi128ELi64ELi1ELb0EEvPKcS1_S1_S1_S1_PKiPfP15HIP_vector_typeIfLj2EEffffjfiS5_IjLj3EEiiiiiiiiiiiliiliiiiil.num_agpr, 0
	.set _ZL15flash_attn_tileILi128ELi128ELi64ELi1ELb0EEvPKcS1_S1_S1_S1_PKiPfP15HIP_vector_typeIfLj2EEffffjfiS5_IjLj3EEiiiiiiiiiiiliiliiiiil.numbered_sgpr, 48
	.set _ZL15flash_attn_tileILi128ELi128ELi64ELi1ELb0EEvPKcS1_S1_S1_S1_PKiPfP15HIP_vector_typeIfLj2EEffffjfiS5_IjLj3EEiiiiiiiiiiiliiliiiiil.num_named_barrier, 0
	.set _ZL15flash_attn_tileILi128ELi128ELi64ELi1ELb0EEvPKcS1_S1_S1_S1_PKiPfP15HIP_vector_typeIfLj2EEffffjfiS5_IjLj3EEiiiiiiiiiiiliiliiiiil.private_seg_size, 32
	.set _ZL15flash_attn_tileILi128ELi128ELi64ELi1ELb0EEvPKcS1_S1_S1_S1_PKiPfP15HIP_vector_typeIfLj2EEffffjfiS5_IjLj3EEiiiiiiiiiiiliiliiiiil.uses_vcc, 1
	.set _ZL15flash_attn_tileILi128ELi128ELi64ELi1ELb0EEvPKcS1_S1_S1_S1_PKiPfP15HIP_vector_typeIfLj2EEffffjfiS5_IjLj3EEiiiiiiiiiiiliiliiiiil.uses_flat_scratch, 0
	.set _ZL15flash_attn_tileILi128ELi128ELi64ELi1ELb0EEvPKcS1_S1_S1_S1_PKiPfP15HIP_vector_typeIfLj2EEffffjfiS5_IjLj3EEiiiiiiiiiiiliiliiiiil.has_dyn_sized_stack, 0
	.set _ZL15flash_attn_tileILi128ELi128ELi64ELi1ELb0EEvPKcS1_S1_S1_S1_PKiPfP15HIP_vector_typeIfLj2EEffffjfiS5_IjLj3EEiiiiiiiiiiiliiliiiiil.has_recursion, 0
	.set _ZL15flash_attn_tileILi128ELi128ELi64ELi1ELb0EEvPKcS1_S1_S1_S1_PKiPfP15HIP_vector_typeIfLj2EEffffjfiS5_IjLj3EEiiiiiiiiiiiliiliiiiil.has_indirect_call, 0
	.section	.AMDGPU.csdata,"",@progbits
; Kernel info:
; codeLenInByte = 88356
; TotalNumSgprs: 54
; NumVgprs: 146
; NumAgprs: 0
; TotalNumVgprs: 146
; ScratchSize: 32
; MemoryBound: 0
; FloatMode: 240
; IeeeMode: 1
; LDSByteSize: 29696 bytes/workgroup (compile time only)
; SGPRBlocks: 12
; VGPRBlocks: 18
; NumSGPRsForWavesPerEU: 102
; NumVGPRsForWavesPerEU: 146
; AccumOffset: 148
; Occupancy: 3
; WaveLimiterHint : 0
; COMPUTE_PGM_RSRC2:SCRATCH_EN: 1
; COMPUTE_PGM_RSRC2:USER_SGPR: 2
; COMPUTE_PGM_RSRC2:TRAP_HANDLER: 0
; COMPUTE_PGM_RSRC2:TGID_X_EN: 1
; COMPUTE_PGM_RSRC2:TGID_Y_EN: 1
; COMPUTE_PGM_RSRC2:TGID_Z_EN: 1
; COMPUTE_PGM_RSRC2:TIDIG_COMP_CNT: 1
; COMPUTE_PGM_RSRC3_GFX90A:ACCUM_OFFSET: 36
; COMPUTE_PGM_RSRC3_GFX90A:TG_SPLIT: 0
	.section	.text._ZL25flash_attn_mask_to_KV_maxILi64EEvPK7__half2Piiii,"axG",@progbits,_ZL25flash_attn_mask_to_KV_maxILi64EEvPK7__half2Piiii,comdat
	.globl	_ZL25flash_attn_mask_to_KV_maxILi64EEvPK7__half2Piiii ; -- Begin function _ZL25flash_attn_mask_to_KV_maxILi64EEvPK7__half2Piiii
	.p2align	8
	.type	_ZL25flash_attn_mask_to_KV_maxILi64EEvPK7__half2Piiii,@function
_ZL25flash_attn_mask_to_KV_maxILi64EEvPK7__half2Piiii: ; @_ZL25flash_attn_mask_to_KV_maxILi64EEvPK7__half2Piiii
; %bb.0:
	s_load_dwordx4 s[4:7], s[0:1], 0x0
	v_cmp_gt_u32_e32 vcc, 32, v0
	s_and_saveexec_b64 s[8:9], vcc
; %bb.1:
	v_lshlrev_b32_e32 v1, 2, v0
	v_mov_b32_e32 v2, 1
	ds_write_b32 v1, v2
; %bb.2:
	s_or_b64 exec, exec, s[8:9]
	s_load_dwordx4 s[8:11], s[0:1], 0x10
	s_load_dword s33, s[0:1], 0x20
	v_and_b32_e32 v2, 31, v0
	v_lshlrev_b32_e32 v6, 2, v2
	v_lshrrev_b32_e32 v1, 3, v0
	s_waitcnt lgkmcnt(0)
	s_mul_i32 s1, s2, s9
	s_mul_i32 s0, s10, s3
	s_lshl_b32 s1, s1, 6
	s_add_i32 s0, s0, s1
	s_ashr_i32 s1, s0, 31
	s_lshl_b64 s[0:1], s[0:1], 2
	s_add_u32 s10, s4, s0
	s_addc_u32 s11, s5, s1
	v_cmp_eq_u32_e64 s[0:1], 0, v2
	v_mbcnt_lo_u32_b32 v2, -1, 0
	s_lshl_b32 s8, s8, 8
	s_mov_b64 s[12:13], 0
	v_mov_b32_e32 v3, 0
	s_movk_i32 s98, 0x204
	v_mbcnt_hi_u32_b32 v7, -1, v2
	s_barrier
                                        ; implicit-def: $sgpr4_sgpr5
	s_branch .LBB53_5
.LBB53_3:                               ;   in Loop: Header=BB53_5 Depth=1
	s_or_b64 exec, exec, s[14:15]
	s_waitcnt lgkmcnt(0)
	s_barrier
	ds_read_b32 v10, v6
	s_waitcnt lgkmcnt(0)
	s_barrier
	ds_bpermute_b32 v2, v2, v10
	v_cmp_ne_u32_e32 vcc, 0, v10
	s_waitcnt lgkmcnt(0)
	v_cmp_ne_u32_e64 s[4:5], 0, v2
	s_and_b64 s[4:5], vcc, s[4:5]
	s_nop 0
	v_cndmask_b32_e64 v2, 0, 1, s[4:5]
	ds_bpermute_b32 v2, v4, v2
	s_waitcnt lgkmcnt(0)
	v_cmp_ne_u32_e32 vcc, 0, v2
	s_and_b64 s[4:5], vcc, s[4:5]
	v_cndmask_b32_e64 v2, 0, 1, s[4:5]
	ds_bpermute_b32 v2, v5, v2
	s_waitcnt lgkmcnt(0)
	v_cmp_ne_u32_e32 vcc, 0, v2
	s_and_b64 s[4:5], vcc, s[4:5]
	;; [unrolled: 5-line block ×3, first 2 shown]
	v_cndmask_b32_e64 v2, 0, 1, s[4:5]
	ds_bpermute_b32 v2, v9, v2
	s_xor_b64 s[4:5], s[4:5], -1
	s_waitcnt lgkmcnt(0)
	v_cmp_eq_u32_e32 vcc, 0, v2
	s_or_b64 s[4:5], vcc, s[4:5]
.LBB53_4:                               ;   in Loop: Header=BB53_5 Depth=1
	s_and_b64 s[14:15], exec, s[4:5]
	s_or_b64 s[12:13], s[14:15], s[12:13]
	v_mov_b32_e32 v2, s8
	s_mov_b32 s8, s99
	s_andn2_b64 exec, exec, s[12:13]
	s_cbranch_execz .LBB53_260
.LBB53_5:                               ; =>This Inner Loop Header: Depth=1
	s_add_i32 s99, s8, 0xffffff00
	s_or_b64 s[4:5], s[4:5], exec
	s_cmp_lt_i32 s99, 0
	s_cbranch_scc1 .LBB53_4
; %bb.6:                                ;   in Loop: Header=BB53_5 Depth=1
	s_lshr_b32 s4, s99, 1
	v_add_u32_e32 v2, s4, v0
	v_lshl_add_u64 v[4:5], v[2:3], 2, s[10:11]
	global_load_dword v4, v[4:5], off
	v_mov_b32_e32 v5, 0
	s_waitcnt vmcnt(0)
	v_cmp_class_f16_e64 s[4:5], v4, s98
	v_cmp_class_f16_sdwa s[14:15], v4, s98 src0_sel:WORD_1 src1_sel:DWORD
	s_and_b64 s[14:15], s[4:5], s[14:15]
	s_and_saveexec_b64 s[4:5], s[14:15]
	s_cbranch_execz .LBB53_258
; %bb.7:                                ;   in Loop: Header=BB53_5 Depth=1
	v_add_u32_e32 v4, s9, v2
	v_ashrrev_i32_e32 v5, 31, v4
	v_lshl_add_u64 v[8:9], v[4:5], 2, s[10:11]
	global_load_dword v2, v[8:9], off
	v_mov_b32_e32 v5, 0
	s_waitcnt vmcnt(0)
	v_cmp_class_f16_e64 s[16:17], v2, s98
	s_and_saveexec_b64 s[14:15], s[16:17]
	s_cbranch_execz .LBB53_257
; %bb.8:                                ;   in Loop: Header=BB53_5 Depth=1
	v_cmp_class_f16_sdwa s[18:19], v2, s98 src0_sel:WORD_1 src1_sel:DWORD
	v_mov_b32_e32 v5, 0
	s_and_saveexec_b64 s[16:17], s[18:19]
	s_cbranch_execz .LBB53_256
; %bb.9:                                ;   in Loop: Header=BB53_5 Depth=1
	v_add_u32_e32 v4, s9, v4
	v_ashrrev_i32_e32 v5, 31, v4
	v_lshl_add_u64 v[8:9], v[4:5], 2, s[10:11]
	global_load_dword v2, v[8:9], off
	v_mov_b32_e32 v5, 0
	s_waitcnt vmcnt(0)
	v_cmp_class_f16_e64 s[20:21], v2, s98
	s_and_saveexec_b64 s[18:19], s[20:21]
	s_cbranch_execz .LBB53_255
; %bb.10:                               ;   in Loop: Header=BB53_5 Depth=1
	v_cmp_class_f16_sdwa s[22:23], v2, s98 src0_sel:WORD_1 src1_sel:DWORD
	v_mov_b32_e32 v5, 0
	s_and_saveexec_b64 s[20:21], s[22:23]
	s_cbranch_execz .LBB53_254
; %bb.11:                               ;   in Loop: Header=BB53_5 Depth=1
	v_add_u32_e32 v4, s9, v4
	v_ashrrev_i32_e32 v5, 31, v4
	v_lshl_add_u64 v[8:9], v[4:5], 2, s[10:11]
	global_load_dword v2, v[8:9], off
	v_mov_b32_e32 v5, 0
	s_waitcnt vmcnt(0)
	v_cmp_class_f16_e64 s[24:25], v2, s98
	s_and_saveexec_b64 s[22:23], s[24:25]
	s_cbranch_execz .LBB53_253
; %bb.12:                               ;   in Loop: Header=BB53_5 Depth=1
	v_cmp_class_f16_sdwa s[26:27], v2, s98 src0_sel:WORD_1 src1_sel:DWORD
	v_mov_b32_e32 v5, 0
	s_and_saveexec_b64 s[24:25], s[26:27]
	s_cbranch_execz .LBB53_252
; %bb.13:                               ;   in Loop: Header=BB53_5 Depth=1
	;; [unrolled: 15-line block ×19, first 2 shown]
	v_add_u32_e32 v4, s9, v4
	v_ashrrev_i32_e32 v5, 31, v4
	v_lshl_add_u64 v[8:9], v[4:5], 2, s[10:11]
	global_load_dword v2, v[8:9], off
	v_mov_b32_e32 v5, 0
	s_waitcnt vmcnt(0)
	v_cmp_class_f16_e64 vcc, v2, s98
	s_mov_b64 s[96:97], exec
                                        ; implicit-def: $vgpr14 : SGPR spill to VGPR lane
	v_writelane_b32 v14, s96, 0
	s_and_b64 vcc, s[96:97], vcc
	s_nop 0
	v_writelane_b32 v14, s97, 1
	s_mov_b64 exec, vcc
	s_cbranch_execz .LBB53_217
; %bb.48:                               ;   in Loop: Header=BB53_5 Depth=1
	v_mov_b32_e32 v5, 0
	v_cmp_class_f16_sdwa s[96:97], v2, s98 src0_sel:WORD_1 src1_sel:DWORD
	s_mov_b64 vcc, exec
	s_nop 0
	v_writelane_b32 v14, vcc_lo, 2
	s_and_b64 s[96:97], vcc, s[96:97]
	s_nop 0
	v_writelane_b32 v14, vcc_hi, 3
	s_mov_b64 exec, s[96:97]
	s_cbranch_execz .LBB53_216
; %bb.49:                               ;   in Loop: Header=BB53_5 Depth=1
	v_add_u32_e32 v4, s9, v4
	v_ashrrev_i32_e32 v5, 31, v4
	v_lshl_add_u64 v[8:9], v[4:5], 2, s[10:11]
	global_load_dword v2, v[8:9], off
	v_mov_b32_e32 v5, 0
	s_waitcnt vmcnt(0)
	v_cmp_class_f16_e64 s[96:97], v2, s98
	s_mov_b64 vcc, exec
	v_writelane_b32 v14, vcc_lo, 4
	s_and_b64 s[96:97], vcc, s[96:97]
	s_nop 0
	v_writelane_b32 v14, vcc_hi, 5
	s_mov_b64 exec, s[96:97]
	s_cbranch_execz .LBB53_215
; %bb.50:                               ;   in Loop: Header=BB53_5 Depth=1
	v_mov_b32_e32 v5, 0
	v_cmp_class_f16_sdwa s[96:97], v2, s98 src0_sel:WORD_1 src1_sel:DWORD
	s_mov_b64 vcc, exec
	s_nop 0
	v_writelane_b32 v14, vcc_lo, 6
	s_and_b64 s[96:97], vcc, s[96:97]
	s_nop 0
	v_writelane_b32 v14, vcc_hi, 7
	s_mov_b64 exec, s[96:97]
	s_cbranch_execz .LBB53_214
; %bb.51:                               ;   in Loop: Header=BB53_5 Depth=1
	v_add_u32_e32 v4, s9, v4
	v_ashrrev_i32_e32 v5, 31, v4
	v_lshl_add_u64 v[8:9], v[4:5], 2, s[10:11]
	global_load_dword v2, v[8:9], off
	v_mov_b32_e32 v5, 0
	s_waitcnt vmcnt(0)
	v_cmp_class_f16_e64 s[96:97], v2, s98
	s_mov_b64 vcc, exec
	v_writelane_b32 v14, vcc_lo, 8
	s_and_b64 s[96:97], vcc, s[96:97]
	s_nop 0
	v_writelane_b32 v14, vcc_hi, 9
	s_mov_b64 exec, s[96:97]
	;; [unrolled: 26-line block ×15, first 2 shown]
	s_cbranch_execz .LBB53_187
; %bb.78:                               ;   in Loop: Header=BB53_5 Depth=1
	v_mov_b32_e32 v5, 0
	v_cmp_class_f16_sdwa s[96:97], v2, s98 src0_sel:WORD_1 src1_sel:DWORD
	s_mov_b64 vcc, exec
	s_nop 0
	v_writelane_b32 v14, vcc_lo, 62
	s_and_b64 s[96:97], vcc, s[96:97]
	s_nop 0
	v_writelane_b32 v14, vcc_hi, 63
	s_mov_b64 exec, s[96:97]
	s_cbranch_execz .LBB53_186
; %bb.79:                               ;   in Loop: Header=BB53_5 Depth=1
	v_add_u32_e32 v4, s9, v4
	v_ashrrev_i32_e32 v5, 31, v4
	v_lshl_add_u64 v[8:9], v[4:5], 2, s[10:11]
	global_load_dword v2, v[8:9], off
	v_mov_b32_e32 v5, 0
	s_waitcnt vmcnt(0)
	v_cmp_class_f16_e64 s[96:97], v2, s98
	s_mov_b64 vcc, exec
                                        ; implicit-def: $vgpr13 : SGPR spill to VGPR lane
	v_writelane_b32 v13, vcc_lo, 0
	s_and_b64 s[96:97], vcc, s[96:97]
	s_nop 0
	v_writelane_b32 v13, vcc_hi, 1
	s_mov_b64 exec, s[96:97]
	s_cbranch_execz .LBB53_185
; %bb.80:                               ;   in Loop: Header=BB53_5 Depth=1
	v_mov_b32_e32 v5, 0
	v_cmp_class_f16_sdwa s[96:97], v2, s98 src0_sel:WORD_1 src1_sel:DWORD
	s_mov_b64 vcc, exec
	s_nop 0
	v_writelane_b32 v13, vcc_lo, 2
	s_and_b64 s[96:97], vcc, s[96:97]
	s_nop 0
	v_writelane_b32 v13, vcc_hi, 3
	s_mov_b64 exec, s[96:97]
	s_cbranch_execz .LBB53_184
; %bb.81:                               ;   in Loop: Header=BB53_5 Depth=1
	v_add_u32_e32 v4, s9, v4
	v_ashrrev_i32_e32 v5, 31, v4
	v_lshl_add_u64 v[8:9], v[4:5], 2, s[10:11]
	global_load_dword v2, v[8:9], off
	v_mov_b32_e32 v5, 0
	s_waitcnt vmcnt(0)
	v_cmp_class_f16_e64 s[96:97], v2, s98
	s_mov_b64 vcc, exec
	v_writelane_b32 v13, vcc_lo, 4
	s_and_b64 s[96:97], vcc, s[96:97]
	s_nop 0
	v_writelane_b32 v13, vcc_hi, 5
	s_mov_b64 exec, s[96:97]
	s_cbranch_execz .LBB53_183
; %bb.82:                               ;   in Loop: Header=BB53_5 Depth=1
	v_mov_b32_e32 v5, 0
	v_cmp_class_f16_sdwa s[96:97], v2, s98 src0_sel:WORD_1 src1_sel:DWORD
	s_mov_b64 vcc, exec
	s_nop 0
	v_writelane_b32 v13, vcc_lo, 6
	s_and_b64 s[96:97], vcc, s[96:97]
	s_nop 0
	v_writelane_b32 v13, vcc_hi, 7
	s_mov_b64 exec, s[96:97]
	s_cbranch_execz .LBB53_182
; %bb.83:                               ;   in Loop: Header=BB53_5 Depth=1
	v_add_u32_e32 v4, s9, v4
	v_ashrrev_i32_e32 v5, 31, v4
	v_lshl_add_u64 v[8:9], v[4:5], 2, s[10:11]
	global_load_dword v2, v[8:9], off
	v_mov_b32_e32 v5, 0
	s_waitcnt vmcnt(0)
	v_cmp_class_f16_e64 s[96:97], v2, s98
	s_mov_b64 vcc, exec
	;; [unrolled: 26-line block ×10, first 2 shown]
	v_writelane_b32 v13, vcc_lo, 40
	s_and_b64 s[96:97], vcc, s[96:97]
	s_nop 0
	v_writelane_b32 v13, vcc_hi, 41
	s_mov_b64 exec, s[96:97]
	s_cbranch_execz .LBB53_165
; %bb.100:                              ;   in Loop: Header=BB53_5 Depth=1
	v_mov_b32_e32 v5, 0
	v_cmp_class_f16_sdwa s[96:97], v2, s98 src0_sel:WORD_1 src1_sel:DWORD
	s_mov_b64 vcc, exec
	s_nop 0
	v_writelane_b32 v13, vcc_lo, 42
	s_and_b64 s[96:97], vcc, s[96:97]
	s_nop 0
	v_writelane_b32 v13, vcc_hi, 43
	s_mov_b64 exec, s[96:97]
	s_cbranch_execz .LBB53_164
; %bb.101:                              ;   in Loop: Header=BB53_5 Depth=1
	v_add_u32_e32 v4, s9, v4
	v_ashrrev_i32_e32 v5, 31, v4
	v_lshl_add_u64 v[8:9], v[4:5], 2, s[10:11]
	global_load_dword v2, v[8:9], off
	v_mov_b32_e32 v5, 0
	s_waitcnt vmcnt(0)
	v_cmp_class_f16_e64 s[96:97], v2, s98
	s_mov_b64 vcc, exec
	v_writelane_b32 v13, vcc_lo, 44
	s_and_b64 s[96:97], vcc, s[96:97]
	s_nop 0
	v_writelane_b32 v13, vcc_hi, 45
	s_mov_b64 exec, s[96:97]
	s_cbranch_execz .LBB53_163
; %bb.102:                              ;   in Loop: Header=BB53_5 Depth=1
	v_mov_b32_e32 v5, 0
	v_cmp_class_f16_sdwa s[96:97], v2, s98 src0_sel:WORD_1 src1_sel:DWORD
	s_mov_b64 vcc, exec
	s_nop 0
	v_writelane_b32 v13, vcc_lo, 46
	s_and_b64 s[96:97], vcc, s[96:97]
	s_nop 0
	v_writelane_b32 v13, vcc_hi, 47
	s_mov_b64 exec, s[96:97]
	s_cbranch_execz .LBB53_162
; %bb.103:                              ;   in Loop: Header=BB53_5 Depth=1
	v_add_u32_e32 v4, s9, v4
	v_ashrrev_i32_e32 v5, 31, v4
	v_lshl_add_u64 v[8:9], v[4:5], 2, s[10:11]
	global_load_dword v2, v[8:9], off
	v_mov_b32_e32 v5, 0
	s_waitcnt vmcnt(0)
	v_cmp_class_f16_e64 s[96:97], v2, s98
	s_mov_b64 vcc, exec
	;; [unrolled: 26-line block ×6, first 2 shown]
                                        ; implicit-def: $vgpr12 : SGPR spill to VGPR lane
	v_writelane_b32 v12, vcc_lo, 0
	s_and_b64 s[96:97], vcc, s[96:97]
	s_nop 0
	v_writelane_b32 v12, vcc_hi, 1
	s_mov_b64 exec, s[96:97]
	s_cbranch_execz .LBB53_153
; %bb.112:                              ;   in Loop: Header=BB53_5 Depth=1
	v_mov_b32_e32 v5, 0
	v_cmp_class_f16_sdwa s[96:97], v2, s98 src0_sel:WORD_1 src1_sel:DWORD
	s_mov_b64 vcc, exec
	s_nop 0
	v_writelane_b32 v12, vcc_lo, 2
	s_and_b64 s[96:97], vcc, s[96:97]
	s_nop 0
	v_writelane_b32 v12, vcc_hi, 3
	s_mov_b64 exec, s[96:97]
	s_cbranch_execz .LBB53_152
; %bb.113:                              ;   in Loop: Header=BB53_5 Depth=1
	v_add_u32_e32 v4, s9, v4
	v_ashrrev_i32_e32 v5, 31, v4
	v_lshl_add_u64 v[8:9], v[4:5], 2, s[10:11]
	global_load_dword v2, v[8:9], off
	v_mov_b32_e32 v5, 0
	s_waitcnt vmcnt(0)
	v_cmp_class_f16_e64 s[96:97], v2, s98
	s_mov_b64 vcc, exec
	v_writelane_b32 v12, vcc_lo, 4
	s_and_b64 s[96:97], vcc, s[96:97]
	s_nop 0
	v_writelane_b32 v12, vcc_hi, 5
	s_mov_b64 exec, s[96:97]
	s_cbranch_execz .LBB53_151
; %bb.114:                              ;   in Loop: Header=BB53_5 Depth=1
	v_mov_b32_e32 v5, 0
	v_cmp_class_f16_sdwa s[96:97], v2, s98 src0_sel:WORD_1 src1_sel:DWORD
	s_mov_b64 vcc, exec
	s_nop 0
	v_writelane_b32 v12, vcc_lo, 6
	s_and_b64 s[96:97], vcc, s[96:97]
	s_nop 0
	v_writelane_b32 v12, vcc_hi, 7
	s_mov_b64 exec, s[96:97]
	s_cbranch_execz .LBB53_150
; %bb.115:                              ;   in Loop: Header=BB53_5 Depth=1
	v_add_u32_e32 v4, s9, v4
	v_ashrrev_i32_e32 v5, 31, v4
	v_lshl_add_u64 v[8:9], v[4:5], 2, s[10:11]
	global_load_dword v2, v[8:9], off
	v_mov_b32_e32 v5, 0
	s_waitcnt vmcnt(0)
	v_cmp_class_f16_e64 s[96:97], v2, s98
	s_mov_b64 vcc, exec
	;; [unrolled: 26-line block ×10, first 2 shown]
	v_writelane_b32 v12, vcc_lo, 40
	s_and_b64 s[96:97], vcc, s[96:97]
	s_nop 0
	v_writelane_b32 v12, vcc_hi, 41
	s_mov_b64 exec, s[96:97]
; %bb.132:                              ;   in Loop: Header=BB53_5 Depth=1
	v_cmp_class_f16_sdwa s[96:97], v2, s98 src0_sel:WORD_1 src1_sel:DWORD
	s_nop 1
	v_cndmask_b32_e64 v5, 0, 1, s[96:97]
; %bb.133:                              ;   in Loop: Header=BB53_5 Depth=1
	v_readlane_b32 s96, v12, 40
	v_readlane_b32 s97, v12, 41
	s_or_b64 exec, exec, s[96:97]
.LBB53_134:                             ;   in Loop: Header=BB53_5 Depth=1
	v_readlane_b32 s96, v12, 38
	v_readlane_b32 s97, v12, 39
	s_or_b64 exec, exec, s[96:97]
.LBB53_135:                             ;   in Loop: Header=BB53_5 Depth=1
	v_readlane_b32 s96, v12, 36
	v_readlane_b32 s97, v12, 37
	s_or_b64 exec, exec, s[96:97]
.LBB53_136:                             ;   in Loop: Header=BB53_5 Depth=1
	v_readlane_b32 s96, v12, 34
	v_readlane_b32 s97, v12, 35
	s_or_b64 exec, exec, s[96:97]
.LBB53_137:                             ;   in Loop: Header=BB53_5 Depth=1
	v_readlane_b32 s96, v12, 32
	v_readlane_b32 s97, v12, 33
	s_or_b64 exec, exec, s[96:97]
.LBB53_138:                             ;   in Loop: Header=BB53_5 Depth=1
	v_readlane_b32 s96, v12, 30
	v_readlane_b32 s97, v12, 31
	s_or_b64 exec, exec, s[96:97]
.LBB53_139:                             ;   in Loop: Header=BB53_5 Depth=1
	v_readlane_b32 s96, v12, 28
	v_readlane_b32 s97, v12, 29
	s_or_b64 exec, exec, s[96:97]
.LBB53_140:                             ;   in Loop: Header=BB53_5 Depth=1
	v_readlane_b32 s96, v12, 26
	v_readlane_b32 s97, v12, 27
	s_or_b64 exec, exec, s[96:97]
.LBB53_141:                             ;   in Loop: Header=BB53_5 Depth=1
	v_readlane_b32 s96, v12, 24
	v_readlane_b32 s97, v12, 25
	s_or_b64 exec, exec, s[96:97]
.LBB53_142:                             ;   in Loop: Header=BB53_5 Depth=1
	v_readlane_b32 s96, v12, 22
	v_readlane_b32 s97, v12, 23
	s_or_b64 exec, exec, s[96:97]
.LBB53_143:                             ;   in Loop: Header=BB53_5 Depth=1
	v_readlane_b32 s96, v12, 20
	v_readlane_b32 s97, v12, 21
	s_or_b64 exec, exec, s[96:97]
.LBB53_144:                             ;   in Loop: Header=BB53_5 Depth=1
	v_readlane_b32 s96, v12, 18
	v_readlane_b32 s97, v12, 19
	s_or_b64 exec, exec, s[96:97]
.LBB53_145:                             ;   in Loop: Header=BB53_5 Depth=1
	v_readlane_b32 s96, v12, 16
	v_readlane_b32 s97, v12, 17
	s_or_b64 exec, exec, s[96:97]
.LBB53_146:                             ;   in Loop: Header=BB53_5 Depth=1
	v_readlane_b32 s96, v12, 14
	v_readlane_b32 s97, v12, 15
	s_or_b64 exec, exec, s[96:97]
.LBB53_147:                             ;   in Loop: Header=BB53_5 Depth=1
	v_readlane_b32 s96, v12, 12
	v_readlane_b32 s97, v12, 13
	s_or_b64 exec, exec, s[96:97]
.LBB53_148:                             ;   in Loop: Header=BB53_5 Depth=1
	v_readlane_b32 s96, v12, 10
	v_readlane_b32 s97, v12, 11
	s_or_b64 exec, exec, s[96:97]
.LBB53_149:                             ;   in Loop: Header=BB53_5 Depth=1
	v_readlane_b32 s96, v12, 8
	v_readlane_b32 s97, v12, 9
	s_or_b64 exec, exec, s[96:97]
.LBB53_150:                             ;   in Loop: Header=BB53_5 Depth=1
	v_readlane_b32 s96, v12, 6
	v_readlane_b32 s97, v12, 7
	s_or_b64 exec, exec, s[96:97]
.LBB53_151:                             ;   in Loop: Header=BB53_5 Depth=1
	v_readlane_b32 s96, v12, 4
	v_readlane_b32 s97, v12, 5
	s_or_b64 exec, exec, s[96:97]
.LBB53_152:                             ;   in Loop: Header=BB53_5 Depth=1
	v_readlane_b32 s96, v12, 2
	v_readlane_b32 s97, v12, 3
	s_or_b64 exec, exec, s[96:97]
.LBB53_153:                             ;   in Loop: Header=BB53_5 Depth=1
	v_readlane_b32 s96, v12, 0
	v_readlane_b32 s97, v12, 1
	s_or_b64 exec, exec, s[96:97]
.LBB53_154:                             ;   in Loop: Header=BB53_5 Depth=1
	v_readlane_b32 s96, v13, 62
	v_readlane_b32 s97, v13, 63
	s_or_b64 exec, exec, s[96:97]
.LBB53_155:                             ;   in Loop: Header=BB53_5 Depth=1
	v_readlane_b32 s96, v13, 60
	v_readlane_b32 s97, v13, 61
	s_or_b64 exec, exec, s[96:97]
.LBB53_156:                             ;   in Loop: Header=BB53_5 Depth=1
	v_readlane_b32 s96, v13, 58
	v_readlane_b32 s97, v13, 59
	s_or_b64 exec, exec, s[96:97]
.LBB53_157:                             ;   in Loop: Header=BB53_5 Depth=1
	v_readlane_b32 s96, v13, 56
	v_readlane_b32 s97, v13, 57
	s_or_b64 exec, exec, s[96:97]
.LBB53_158:                             ;   in Loop: Header=BB53_5 Depth=1
	v_readlane_b32 s96, v13, 54
	v_readlane_b32 s97, v13, 55
	s_or_b64 exec, exec, s[96:97]
.LBB53_159:                             ;   in Loop: Header=BB53_5 Depth=1
	v_readlane_b32 s96, v13, 52
	v_readlane_b32 s97, v13, 53
	s_or_b64 exec, exec, s[96:97]
.LBB53_160:                             ;   in Loop: Header=BB53_5 Depth=1
	v_readlane_b32 s96, v13, 50
	v_readlane_b32 s97, v13, 51
	s_or_b64 exec, exec, s[96:97]
.LBB53_161:                             ;   in Loop: Header=BB53_5 Depth=1
	v_readlane_b32 s96, v13, 48
	v_readlane_b32 s97, v13, 49
	s_or_b64 exec, exec, s[96:97]
.LBB53_162:                             ;   in Loop: Header=BB53_5 Depth=1
	v_readlane_b32 s96, v13, 46
	v_readlane_b32 s97, v13, 47
	s_or_b64 exec, exec, s[96:97]
.LBB53_163:                             ;   in Loop: Header=BB53_5 Depth=1
	v_readlane_b32 s96, v13, 44
	v_readlane_b32 s97, v13, 45
	s_or_b64 exec, exec, s[96:97]
.LBB53_164:                             ;   in Loop: Header=BB53_5 Depth=1
	v_readlane_b32 s96, v13, 42
	v_readlane_b32 s97, v13, 43
	s_or_b64 exec, exec, s[96:97]
.LBB53_165:                             ;   in Loop: Header=BB53_5 Depth=1
	v_readlane_b32 s96, v13, 40
	v_readlane_b32 s97, v13, 41
	s_or_b64 exec, exec, s[96:97]
.LBB53_166:                             ;   in Loop: Header=BB53_5 Depth=1
	v_readlane_b32 s96, v13, 38
	v_readlane_b32 s97, v13, 39
	s_or_b64 exec, exec, s[96:97]
.LBB53_167:                             ;   in Loop: Header=BB53_5 Depth=1
	v_readlane_b32 s96, v13, 36
	v_readlane_b32 s97, v13, 37
	s_or_b64 exec, exec, s[96:97]
.LBB53_168:                             ;   in Loop: Header=BB53_5 Depth=1
	v_readlane_b32 s96, v13, 34
	v_readlane_b32 s97, v13, 35
	s_or_b64 exec, exec, s[96:97]
.LBB53_169:                             ;   in Loop: Header=BB53_5 Depth=1
	v_readlane_b32 s96, v13, 32
	v_readlane_b32 s97, v13, 33
	s_or_b64 exec, exec, s[96:97]
.LBB53_170:                             ;   in Loop: Header=BB53_5 Depth=1
	v_readlane_b32 s96, v13, 30
	v_readlane_b32 s97, v13, 31
	s_or_b64 exec, exec, s[96:97]
.LBB53_171:                             ;   in Loop: Header=BB53_5 Depth=1
	v_readlane_b32 s96, v13, 28
	v_readlane_b32 s97, v13, 29
	s_or_b64 exec, exec, s[96:97]
.LBB53_172:                             ;   in Loop: Header=BB53_5 Depth=1
	v_readlane_b32 s96, v13, 26
	v_readlane_b32 s97, v13, 27
	s_or_b64 exec, exec, s[96:97]
.LBB53_173:                             ;   in Loop: Header=BB53_5 Depth=1
	v_readlane_b32 s96, v13, 24
	v_readlane_b32 s97, v13, 25
	s_or_b64 exec, exec, s[96:97]
.LBB53_174:                             ;   in Loop: Header=BB53_5 Depth=1
	v_readlane_b32 s96, v13, 22
	v_readlane_b32 s97, v13, 23
	s_or_b64 exec, exec, s[96:97]
.LBB53_175:                             ;   in Loop: Header=BB53_5 Depth=1
	v_readlane_b32 s96, v13, 20
	v_readlane_b32 s97, v13, 21
	s_or_b64 exec, exec, s[96:97]
.LBB53_176:                             ;   in Loop: Header=BB53_5 Depth=1
	v_readlane_b32 s96, v13, 18
	v_readlane_b32 s97, v13, 19
	s_or_b64 exec, exec, s[96:97]
.LBB53_177:                             ;   in Loop: Header=BB53_5 Depth=1
	v_readlane_b32 s96, v13, 16
	v_readlane_b32 s97, v13, 17
	s_or_b64 exec, exec, s[96:97]
.LBB53_178:                             ;   in Loop: Header=BB53_5 Depth=1
	v_readlane_b32 s96, v13, 14
	v_readlane_b32 s97, v13, 15
	s_or_b64 exec, exec, s[96:97]
.LBB53_179:                             ;   in Loop: Header=BB53_5 Depth=1
	v_readlane_b32 s96, v13, 12
	v_readlane_b32 s97, v13, 13
	s_or_b64 exec, exec, s[96:97]
.LBB53_180:                             ;   in Loop: Header=BB53_5 Depth=1
	v_readlane_b32 s96, v13, 10
	v_readlane_b32 s97, v13, 11
	s_or_b64 exec, exec, s[96:97]
.LBB53_181:                             ;   in Loop: Header=BB53_5 Depth=1
	v_readlane_b32 s96, v13, 8
	v_readlane_b32 s97, v13, 9
	s_or_b64 exec, exec, s[96:97]
.LBB53_182:                             ;   in Loop: Header=BB53_5 Depth=1
	v_readlane_b32 s96, v13, 6
	v_readlane_b32 s97, v13, 7
	s_or_b64 exec, exec, s[96:97]
.LBB53_183:                             ;   in Loop: Header=BB53_5 Depth=1
	v_readlane_b32 s96, v13, 4
	v_readlane_b32 s97, v13, 5
	s_or_b64 exec, exec, s[96:97]
.LBB53_184:                             ;   in Loop: Header=BB53_5 Depth=1
	v_readlane_b32 s96, v13, 2
	v_readlane_b32 s97, v13, 3
	s_or_b64 exec, exec, s[96:97]
.LBB53_185:                             ;   in Loop: Header=BB53_5 Depth=1
	v_readlane_b32 s96, v13, 0
	v_readlane_b32 s97, v13, 1
	s_or_b64 exec, exec, s[96:97]
.LBB53_186:                             ;   in Loop: Header=BB53_5 Depth=1
	v_readlane_b32 s96, v14, 62
	v_readlane_b32 s97, v14, 63
	s_or_b64 exec, exec, s[96:97]
.LBB53_187:                             ;   in Loop: Header=BB53_5 Depth=1
	v_readlane_b32 s96, v14, 60
	v_readlane_b32 s97, v14, 61
	s_or_b64 exec, exec, s[96:97]
.LBB53_188:                             ;   in Loop: Header=BB53_5 Depth=1
	v_readlane_b32 s96, v14, 58
	v_readlane_b32 s97, v14, 59
	s_or_b64 exec, exec, s[96:97]
.LBB53_189:                             ;   in Loop: Header=BB53_5 Depth=1
	v_readlane_b32 s96, v14, 56
	v_readlane_b32 s97, v14, 57
	s_or_b64 exec, exec, s[96:97]
.LBB53_190:                             ;   in Loop: Header=BB53_5 Depth=1
	v_readlane_b32 s96, v14, 54
	v_readlane_b32 s97, v14, 55
	s_or_b64 exec, exec, s[96:97]
.LBB53_191:                             ;   in Loop: Header=BB53_5 Depth=1
	v_readlane_b32 s96, v14, 52
	v_readlane_b32 s97, v14, 53
	s_or_b64 exec, exec, s[96:97]
.LBB53_192:                             ;   in Loop: Header=BB53_5 Depth=1
	v_readlane_b32 s96, v14, 50
	v_readlane_b32 s97, v14, 51
	s_or_b64 exec, exec, s[96:97]
.LBB53_193:                             ;   in Loop: Header=BB53_5 Depth=1
	v_readlane_b32 s96, v14, 48
	v_readlane_b32 s97, v14, 49
	s_or_b64 exec, exec, s[96:97]
.LBB53_194:                             ;   in Loop: Header=BB53_5 Depth=1
	v_readlane_b32 s96, v14, 46
	v_readlane_b32 s97, v14, 47
	s_or_b64 exec, exec, s[96:97]
.LBB53_195:                             ;   in Loop: Header=BB53_5 Depth=1
	v_readlane_b32 s96, v14, 44
	v_readlane_b32 s97, v14, 45
	s_or_b64 exec, exec, s[96:97]
.LBB53_196:                             ;   in Loop: Header=BB53_5 Depth=1
	v_readlane_b32 s96, v14, 42
	v_readlane_b32 s97, v14, 43
	s_or_b64 exec, exec, s[96:97]
.LBB53_197:                             ;   in Loop: Header=BB53_5 Depth=1
	v_readlane_b32 s96, v14, 40
	v_readlane_b32 s97, v14, 41
	s_or_b64 exec, exec, s[96:97]
.LBB53_198:                             ;   in Loop: Header=BB53_5 Depth=1
	v_readlane_b32 s96, v14, 38
	v_readlane_b32 s97, v14, 39
	s_or_b64 exec, exec, s[96:97]
.LBB53_199:                             ;   in Loop: Header=BB53_5 Depth=1
	v_readlane_b32 s96, v14, 36
	v_readlane_b32 s97, v14, 37
	s_or_b64 exec, exec, s[96:97]
.LBB53_200:                             ;   in Loop: Header=BB53_5 Depth=1
	v_readlane_b32 s96, v14, 34
	v_readlane_b32 s97, v14, 35
	s_or_b64 exec, exec, s[96:97]
.LBB53_201:                             ;   in Loop: Header=BB53_5 Depth=1
	v_readlane_b32 s96, v14, 32
	v_readlane_b32 s97, v14, 33
	s_or_b64 exec, exec, s[96:97]
.LBB53_202:                             ;   in Loop: Header=BB53_5 Depth=1
	v_readlane_b32 s96, v14, 30
	v_readlane_b32 s97, v14, 31
	s_or_b64 exec, exec, s[96:97]
.LBB53_203:                             ;   in Loop: Header=BB53_5 Depth=1
	v_readlane_b32 s96, v14, 28
	v_readlane_b32 s97, v14, 29
	s_or_b64 exec, exec, s[96:97]
.LBB53_204:                             ;   in Loop: Header=BB53_5 Depth=1
	v_readlane_b32 s96, v14, 26
	v_readlane_b32 s97, v14, 27
	s_or_b64 exec, exec, s[96:97]
.LBB53_205:                             ;   in Loop: Header=BB53_5 Depth=1
	v_readlane_b32 s96, v14, 24
	v_readlane_b32 s97, v14, 25
	s_or_b64 exec, exec, s[96:97]
.LBB53_206:                             ;   in Loop: Header=BB53_5 Depth=1
	v_readlane_b32 s96, v14, 22
	v_readlane_b32 s97, v14, 23
	s_or_b64 exec, exec, s[96:97]
.LBB53_207:                             ;   in Loop: Header=BB53_5 Depth=1
	v_readlane_b32 s96, v14, 20
	v_readlane_b32 s97, v14, 21
	s_or_b64 exec, exec, s[96:97]
.LBB53_208:                             ;   in Loop: Header=BB53_5 Depth=1
	v_readlane_b32 s96, v14, 18
	v_readlane_b32 s97, v14, 19
	s_or_b64 exec, exec, s[96:97]
.LBB53_209:                             ;   in Loop: Header=BB53_5 Depth=1
	v_readlane_b32 s96, v14, 16
	v_readlane_b32 s97, v14, 17
	s_or_b64 exec, exec, s[96:97]
.LBB53_210:                             ;   in Loop: Header=BB53_5 Depth=1
	v_readlane_b32 s96, v14, 14
	v_readlane_b32 s97, v14, 15
	s_or_b64 exec, exec, s[96:97]
.LBB53_211:                             ;   in Loop: Header=BB53_5 Depth=1
	v_readlane_b32 s96, v14, 12
	v_readlane_b32 s97, v14, 13
	s_or_b64 exec, exec, s[96:97]
.LBB53_212:                             ;   in Loop: Header=BB53_5 Depth=1
	v_readlane_b32 s96, v14, 10
	v_readlane_b32 s97, v14, 11
	s_or_b64 exec, exec, s[96:97]
.LBB53_213:                             ;   in Loop: Header=BB53_5 Depth=1
	v_readlane_b32 s96, v14, 8
	v_readlane_b32 s97, v14, 9
	s_or_b64 exec, exec, s[96:97]
.LBB53_214:                             ;   in Loop: Header=BB53_5 Depth=1
	v_readlane_b32 s96, v14, 6
	v_readlane_b32 s97, v14, 7
	s_or_b64 exec, exec, s[96:97]
.LBB53_215:                             ;   in Loop: Header=BB53_5 Depth=1
	v_readlane_b32 s96, v14, 4
	v_readlane_b32 s97, v14, 5
	s_or_b64 exec, exec, s[96:97]
.LBB53_216:                             ;   in Loop: Header=BB53_5 Depth=1
	v_readlane_b32 s96, v14, 2
	v_readlane_b32 s97, v14, 3
	s_or_b64 exec, exec, s[96:97]
.LBB53_217:                             ;   in Loop: Header=BB53_5 Depth=1
	v_readlane_b32 s96, v14, 0
	v_readlane_b32 s97, v14, 1
	s_or_b64 exec, exec, s[96:97]
.LBB53_218:                             ;   in Loop: Header=BB53_5 Depth=1
	s_or_b64 exec, exec, s[94:95]
.LBB53_219:                             ;   in Loop: Header=BB53_5 Depth=1
	s_or_b64 exec, exec, s[92:93]
.LBB53_220:                             ;   in Loop: Header=BB53_5 Depth=1
	s_or_b64 exec, exec, s[90:91]
.LBB53_221:                             ;   in Loop: Header=BB53_5 Depth=1
	s_or_b64 exec, exec, s[88:89]
.LBB53_222:                             ;   in Loop: Header=BB53_5 Depth=1
	s_or_b64 exec, exec, s[86:87]
.LBB53_223:                             ;   in Loop: Header=BB53_5 Depth=1
	s_or_b64 exec, exec, s[84:85]
.LBB53_224:                             ;   in Loop: Header=BB53_5 Depth=1
	s_or_b64 exec, exec, s[82:83]
.LBB53_225:                             ;   in Loop: Header=BB53_5 Depth=1
	s_or_b64 exec, exec, s[80:81]
.LBB53_226:                             ;   in Loop: Header=BB53_5 Depth=1
	s_or_b64 exec, exec, s[78:79]
.LBB53_227:                             ;   in Loop: Header=BB53_5 Depth=1
	s_or_b64 exec, exec, s[76:77]
.LBB53_228:                             ;   in Loop: Header=BB53_5 Depth=1
	s_or_b64 exec, exec, s[74:75]
.LBB53_229:                             ;   in Loop: Header=BB53_5 Depth=1
	s_or_b64 exec, exec, s[72:73]
.LBB53_230:                             ;   in Loop: Header=BB53_5 Depth=1
	s_or_b64 exec, exec, s[70:71]
.LBB53_231:                             ;   in Loop: Header=BB53_5 Depth=1
	s_or_b64 exec, exec, s[68:69]
.LBB53_232:                             ;   in Loop: Header=BB53_5 Depth=1
	s_or_b64 exec, exec, s[66:67]
.LBB53_233:                             ;   in Loop: Header=BB53_5 Depth=1
	s_or_b64 exec, exec, s[64:65]
.LBB53_234:                             ;   in Loop: Header=BB53_5 Depth=1
	s_or_b64 exec, exec, s[62:63]
.LBB53_235:                             ;   in Loop: Header=BB53_5 Depth=1
	s_or_b64 exec, exec, s[60:61]
.LBB53_236:                             ;   in Loop: Header=BB53_5 Depth=1
	s_or_b64 exec, exec, s[58:59]
.LBB53_237:                             ;   in Loop: Header=BB53_5 Depth=1
	s_or_b64 exec, exec, s[56:57]
.LBB53_238:                             ;   in Loop: Header=BB53_5 Depth=1
	s_or_b64 exec, exec, s[54:55]
.LBB53_239:                             ;   in Loop: Header=BB53_5 Depth=1
	s_or_b64 exec, exec, s[52:53]
.LBB53_240:                             ;   in Loop: Header=BB53_5 Depth=1
	s_or_b64 exec, exec, s[50:51]
.LBB53_241:                             ;   in Loop: Header=BB53_5 Depth=1
	s_or_b64 exec, exec, s[48:49]
.LBB53_242:                             ;   in Loop: Header=BB53_5 Depth=1
	s_or_b64 exec, exec, s[46:47]
.LBB53_243:                             ;   in Loop: Header=BB53_5 Depth=1
	s_or_b64 exec, exec, s[44:45]
.LBB53_244:                             ;   in Loop: Header=BB53_5 Depth=1
	s_or_b64 exec, exec, s[42:43]
.LBB53_245:                             ;   in Loop: Header=BB53_5 Depth=1
	s_or_b64 exec, exec, s[40:41]
.LBB53_246:                             ;   in Loop: Header=BB53_5 Depth=1
	s_or_b64 exec, exec, s[38:39]
.LBB53_247:                             ;   in Loop: Header=BB53_5 Depth=1
	s_or_b64 exec, exec, s[36:37]
.LBB53_248:                             ;   in Loop: Header=BB53_5 Depth=1
	s_or_b64 exec, exec, s[34:35]
.LBB53_249:                             ;   in Loop: Header=BB53_5 Depth=1
	s_or_b64 exec, exec, s[30:31]
.LBB53_250:                             ;   in Loop: Header=BB53_5 Depth=1
	s_or_b64 exec, exec, s[28:29]
.LBB53_251:                             ;   in Loop: Header=BB53_5 Depth=1
	s_or_b64 exec, exec, s[26:27]
.LBB53_252:                             ;   in Loop: Header=BB53_5 Depth=1
	s_or_b64 exec, exec, s[24:25]
.LBB53_253:                             ;   in Loop: Header=BB53_5 Depth=1
	s_or_b64 exec, exec, s[22:23]
.LBB53_254:                             ;   in Loop: Header=BB53_5 Depth=1
	s_or_b64 exec, exec, s[20:21]
.LBB53_255:                             ;   in Loop: Header=BB53_5 Depth=1
	s_or_b64 exec, exec, s[18:19]
.LBB53_256:                             ;   in Loop: Header=BB53_5 Depth=1
	s_or_b64 exec, exec, s[16:17]
.LBB53_257:                             ;   in Loop: Header=BB53_5 Depth=1
	s_or_b64 exec, exec, s[14:15]
.LBB53_258:                             ;   in Loop: Header=BB53_5 Depth=1
	s_or_b64 exec, exec, s[4:5]
	v_and_b32_e32 v2, 0x60, v7
	v_add_u32_e32 v9, 32, v2
	v_xor_b32_e32 v2, 16, v7
	v_cmp_lt_i32_e32 vcc, v2, v9
	v_xor_b32_e32 v11, 1, v7
	s_nop 0
	v_cndmask_b32_e32 v2, v7, v2, vcc
	v_lshlrev_b32_e32 v2, 2, v2
	ds_bpermute_b32 v4, v2, v5
	v_cmp_ne_u32_e32 vcc, 0, v5
	s_waitcnt lgkmcnt(0)
	v_cmp_ne_u32_e64 s[4:5], 0, v4
	v_xor_b32_e32 v4, 8, v7
	s_and_b64 s[4:5], vcc, s[4:5]
	v_cmp_lt_i32_e32 vcc, v4, v9
	v_cndmask_b32_e64 v5, 0, 1, s[4:5]
	s_nop 0
	v_cndmask_b32_e32 v4, v7, v4, vcc
	v_lshlrev_b32_e32 v4, 2, v4
	ds_bpermute_b32 v5, v4, v5
	s_waitcnt lgkmcnt(0)
	v_cmp_ne_u32_e32 vcc, 0, v5
	v_xor_b32_e32 v5, 4, v7
	s_and_b64 s[4:5], vcc, s[4:5]
	v_cmp_lt_i32_e32 vcc, v5, v9
	v_cndmask_b32_e64 v8, 0, 1, s[4:5]
	s_nop 0
	v_cndmask_b32_e32 v5, v7, v5, vcc
	v_lshlrev_b32_e32 v5, 2, v5
	ds_bpermute_b32 v8, v5, v8
	s_waitcnt lgkmcnt(0)
	v_cmp_ne_u32_e32 vcc, 0, v8
	;; [unrolled: 10-line block ×3, first 2 shown]
	s_and_b64 s[4:5], vcc, s[4:5]
	v_cmp_lt_i32_e32 vcc, v11, v9
	v_cndmask_b32_e64 v10, 0, 1, s[4:5]
	s_nop 0
	v_cndmask_b32_e32 v9, v7, v11, vcc
	v_lshlrev_b32_e32 v9, 2, v9
	ds_bpermute_b32 v10, v9, v10
	s_and_saveexec_b64 s[14:15], s[0:1]
	s_cbranch_execz .LBB53_3
; %bb.259:                              ;   in Loop: Header=BB53_5 Depth=1
	s_waitcnt lgkmcnt(0)
	v_cmp_ne_u32_e32 vcc, 0, v10
	s_and_b64 s[4:5], vcc, s[4:5]
	v_cndmask_b32_e64 v10, 0, 1, s[4:5]
	ds_write_b32 v1, v10
	s_branch .LBB53_3
.LBB53_260:
	s_or_b64 exec, exec, s[12:13]
	v_cmp_eq_u32_e32 vcc, 0, v0
	s_and_saveexec_b64 s[0:1], vcc
	s_cbranch_execz .LBB53_262
; %bb.261:
	s_mul_i32 s0, s33, s3
	s_add_i32 s0, s0, s2
	s_ashr_i32 s1, s0, 31
	s_lshl_b64 s[0:1], s[0:1], 2
	s_add_u32 s0, s6, s0
	s_addc_u32 s1, s7, s1
	v_mov_b32_e32 v0, 0
	global_store_dword v0, v2, s[0:1]
.LBB53_262:
	s_endpgm
	.section	.rodata,"a",@progbits
	.p2align	6, 0x0
	.amdhsa_kernel _ZL25flash_attn_mask_to_KV_maxILi64EEvPK7__half2Piiii
		.amdhsa_group_segment_fixed_size 128
		.amdhsa_private_segment_fixed_size 0
		.amdhsa_kernarg_size 288
		.amdhsa_user_sgpr_count 2
		.amdhsa_user_sgpr_dispatch_ptr 0
		.amdhsa_user_sgpr_queue_ptr 0
		.amdhsa_user_sgpr_kernarg_segment_ptr 1
		.amdhsa_user_sgpr_dispatch_id 0
		.amdhsa_user_sgpr_kernarg_preload_length 0
		.amdhsa_user_sgpr_kernarg_preload_offset 0
		.amdhsa_user_sgpr_private_segment_size 0
		.amdhsa_uses_dynamic_stack 0
		.amdhsa_enable_private_segment 0
		.amdhsa_system_sgpr_workgroup_id_x 1
		.amdhsa_system_sgpr_workgroup_id_y 1
		.amdhsa_system_sgpr_workgroup_id_z 0
		.amdhsa_system_sgpr_workgroup_info 0
		.amdhsa_system_vgpr_workitem_id 0
		.amdhsa_next_free_vgpr 15
		.amdhsa_next_free_sgpr 100
		.amdhsa_accum_offset 16
		.amdhsa_reserve_vcc 1
		.amdhsa_float_round_mode_32 0
		.amdhsa_float_round_mode_16_64 0
		.amdhsa_float_denorm_mode_32 3
		.amdhsa_float_denorm_mode_16_64 3
		.amdhsa_dx10_clamp 1
		.amdhsa_ieee_mode 1
		.amdhsa_fp16_overflow 0
		.amdhsa_tg_split 0
		.amdhsa_exception_fp_ieee_invalid_op 0
		.amdhsa_exception_fp_denorm_src 0
		.amdhsa_exception_fp_ieee_div_zero 0
		.amdhsa_exception_fp_ieee_overflow 0
		.amdhsa_exception_fp_ieee_underflow 0
		.amdhsa_exception_fp_ieee_inexact 0
		.amdhsa_exception_int_div_zero 0
	.end_amdhsa_kernel
	.section	.text._ZL25flash_attn_mask_to_KV_maxILi64EEvPK7__half2Piiii,"axG",@progbits,_ZL25flash_attn_mask_to_KV_maxILi64EEvPK7__half2Piiii,comdat
.Lfunc_end53:
	.size	_ZL25flash_attn_mask_to_KV_maxILi64EEvPK7__half2Piiii, .Lfunc_end53-_ZL25flash_attn_mask_to_KV_maxILi64EEvPK7__half2Piiii
                                        ; -- End function
	.set _ZL25flash_attn_mask_to_KV_maxILi64EEvPK7__half2Piiii.num_vgpr, 15
	.set _ZL25flash_attn_mask_to_KV_maxILi64EEvPK7__half2Piiii.num_agpr, 0
	.set _ZL25flash_attn_mask_to_KV_maxILi64EEvPK7__half2Piiii.numbered_sgpr, 100
	.set _ZL25flash_attn_mask_to_KV_maxILi64EEvPK7__half2Piiii.num_named_barrier, 0
	.set _ZL25flash_attn_mask_to_KV_maxILi64EEvPK7__half2Piiii.private_seg_size, 0
	.set _ZL25flash_attn_mask_to_KV_maxILi64EEvPK7__half2Piiii.uses_vcc, 1
	.set _ZL25flash_attn_mask_to_KV_maxILi64EEvPK7__half2Piiii.uses_flat_scratch, 0
	.set _ZL25flash_attn_mask_to_KV_maxILi64EEvPK7__half2Piiii.has_dyn_sized_stack, 0
	.set _ZL25flash_attn_mask_to_KV_maxILi64EEvPK7__half2Piiii.has_recursion, 0
	.set _ZL25flash_attn_mask_to_KV_maxILi64EEvPK7__half2Piiii.has_indirect_call, 0
	.section	.AMDGPU.csdata,"",@progbits
; Kernel info:
; codeLenInByte = 9456
; TotalNumSgprs: 106
; NumVgprs: 15
; NumAgprs: 0
; TotalNumVgprs: 15
; ScratchSize: 0
; MemoryBound: 0
; FloatMode: 240
; IeeeMode: 1
; LDSByteSize: 128 bytes/workgroup (compile time only)
; SGPRBlocks: 13
; VGPRBlocks: 1
; NumSGPRsForWavesPerEU: 106
; NumVGPRsForWavesPerEU: 15
; AccumOffset: 16
; Occupancy: 7
; WaveLimiterHint : 0
; COMPUTE_PGM_RSRC2:SCRATCH_EN: 0
; COMPUTE_PGM_RSRC2:USER_SGPR: 2
; COMPUTE_PGM_RSRC2:TRAP_HANDLER: 0
; COMPUTE_PGM_RSRC2:TGID_X_EN: 1
; COMPUTE_PGM_RSRC2:TGID_Y_EN: 1
; COMPUTE_PGM_RSRC2:TGID_Z_EN: 0
; COMPUTE_PGM_RSRC2:TIDIG_COMP_CNT: 0
; COMPUTE_PGM_RSRC3_GFX90A:ACCUM_OFFSET: 3
; COMPUTE_PGM_RSRC3_GFX90A:TG_SPLIT: 0
	.section	.text._ZL33flash_attn_stream_k_fixup_uniformILi128ELi64ELi1EEvPfPK15HIP_vector_typeIfLj2EEiiiiiiS1_IjLj3EES5_S5_,"axG",@progbits,_ZL33flash_attn_stream_k_fixup_uniformILi128ELi64ELi1EEvPfPK15HIP_vector_typeIfLj2EEiiiiiiS1_IjLj3EES5_S5_,comdat
	.globl	_ZL33flash_attn_stream_k_fixup_uniformILi128ELi64ELi1EEvPfPK15HIP_vector_typeIfLj2EEiiiiiiS1_IjLj3EES5_S5_ ; -- Begin function _ZL33flash_attn_stream_k_fixup_uniformILi128ELi64ELi1EEvPfPK15HIP_vector_typeIfLj2EEiiiiiiS1_IjLj3EES5_S5_
	.p2align	8
	.type	_ZL33flash_attn_stream_k_fixup_uniformILi128ELi64ELi1EEvPfPK15HIP_vector_typeIfLj2EEiiiiiiS1_IjLj3EES5_S5_,@function
_ZL33flash_attn_stream_k_fixup_uniformILi128ELi64ELi1EEvPfPK15HIP_vector_typeIfLj2EEiiiiiiS1_IjLj3EES5_S5_: ; @_ZL33flash_attn_stream_k_fixup_uniformILi128ELi64ELi1EEvPfPK15HIP_vector_typeIfLj2EEiiiiiiS1_IjLj3EES5_S5_
; %bb.0:
	s_load_dwordx8 s[8:15], s[0:1], 0x1c
	s_load_dwordx2 s[6:7], s[0:1], 0x10
	s_load_dwordx4 s[20:23], s[0:1], 0x3c
	s_waitcnt lgkmcnt(0)
	s_mul_hi_u32 s5, s11, s2
	s_add_i32 s5, s2, s5
	s_lshr_b32 s5, s5, s12
	s_mul_i32 s11, s5, s13
	s_sub_i32 s11, s2, s11
	s_mul_hi_u32 s12, s11, s14
	s_add_i32 s12, s11, s12
	s_lshr_b32 s16, s12, s15
	s_mul_i32 s12, s16, s20
	s_sub_i32 s12, s11, s12
	;; [unrolled: 5-line block ×3, first 2 shown]
	s_lshl_b32 s12, s17, 6
	s_add_i32 s12, s12, s3
	s_cmp_lt_i32 s12, s6
	s_cselect_b64 s[12:13], -1, 0
	s_add_i32 s14, s11, s4
	s_cmp_lt_i32 s14, s9
	s_cselect_b64 s[14:15], -1, 0
	s_and_b64 s[12:13], s[12:13], s[14:15]
	s_andn2_b64 vcc, exec, s[12:13]
	s_cbranch_vccnz .LBB54_6
; %bb.1:
	s_load_dwordx4 s[12:15], s[0:1], 0x0
	s_mul_i32 s0, s5, s6
	s_add_i32 s0, s0, s3
	s_mul_i32 s0, s0, s7
	s_mul_i32 s16, s16, s9
	s_add_i32 s0, s0, s4
	s_add_i32 s0, s0, s16
	s_mul_i32 s1, s7, s17
	s_add_i32 s0, s0, s11
	s_lshl_b32 s1, s1, 13
	s_lshl_b32 s0, s0, 7
	s_add_i32 s1, s1, s0
	v_or_b32_e32 v4, s1, v0
	s_waitcnt lgkmcnt(0)
	v_mov_b32_e32 v2, s12
	v_mov_b32_e32 v3, s13
	v_ashrrev_i32_e32 v5, 31, v4
	v_lshl_add_u64 v[2:3], v[4:5], 2, v[2:3]
	global_load_dword v5, v[2:3], off
	s_mul_i32 s6, s10, s2
	s_add_i32 s7, s6, s10
	s_add_i32 s3, s3, s4
	s_lshl_b32 s0, s7, 6
	s_add_i32 s0, s3, s0
	s_sub_i32 s0, s0, 64
	s_ashr_i32 s1, s0, 31
	s_lshl_b64 s[0:1], s[0:1], 3
	s_add_u32 s0, s14, s0
	s_addc_u32 s1, s15, s1
	s_load_dword s9, s[0:1], 0x4
	s_add_i32 s4, s7, -2
	s_cmp_lt_i32 s4, s6
	s_cbranch_scc1 .LBB54_4
; %bb.2:
	s_lshl_b32 s4, s8, 8
	s_ashr_i32 s5, s4, 31
	s_lshl_b64 s[4:5], s[4:5], 2
	s_add_u32 s4, s14, s4
	s_addc_u32 s5, s15, s5
	s_add_i32 s2, s2, 1
	s_mul_i32 s2, s10, s2
	s_load_dword s0, s[0:1], 0x0
	s_lshl_b32 s1, s3, 7
	s_lshl_b32 s10, s2, 13
	s_add_i32 s1, s1, s10
	v_or_b32_e32 v0, s1, v0
	s_lshl_b32 s1, s2, 6
	s_add_i32 s1, s3, s1
	s_lshl_b32 s2, s8, 6
	s_add_i32 s1, s1, s2
	s_add_i32 s7, s7, -1
	v_add_u32_e32 v0, 0xffffc000, v0
	s_add_i32 s2, s1, 0xffffff80
	s_waitcnt lgkmcnt(0)
	v_mov_b32_e32 v7, s0
	v_mov_b32_e32 v4, s9
	s_mov_b32 s8, 0x3fb8aa3b
	s_mov_b32 s9, 0xc2ce8ed0
	;; [unrolled: 1-line block ×3, first 2 shown]
	v_mov_b32_e32 v6, 0x7f800000
	s_mov_b32 s11, 0xc1a00000
.LBB54_3:                               ; =>This Inner Loop Header: Depth=1
	v_ashrrev_i32_e32 v1, 31, v0
	v_lshl_add_u64 v[8:9], v[0:1], 2, s[4:5]
	global_load_dword v9, v[8:9], off
	s_ashr_i32 s3, s2, 31
	s_lshl_b64 s[0:1], s[2:3], 3
	s_add_u32 s0, s14, s0
	s_addc_u32 s1, s15, s1
	s_load_dwordx2 s[0:1], s[0:1], 0x0
	v_max_f32_e32 v1, v7, v7
	s_add_i32 s7, s7, -1
	s_sub_i32 s2, s2, 64
	v_add_u32_e32 v0, 0xffffe000, v0
	s_waitcnt lgkmcnt(0)
	v_max_f32_e64 v10, s0, s0
	v_max_f32_e32 v1, v1, v10
	v_sub_f32_e32 v11, s0, v1
	v_sub_f32_e32 v10, v7, v1
	v_mul_f32_e32 v12, 0x3fb8aa3b, v11
	v_mov_b32_e32 v7, v1
	v_mul_f32_e32 v1, 0x3fb8aa3b, v10
	v_fma_f32 v15, v11, s8, -v12
	v_rndne_f32_e32 v16, v12
	v_fma_f32 v13, v10, s8, -v1
	v_rndne_f32_e32 v14, v1
	v_fmac_f32_e32 v15, 0x32a5705f, v11
	v_sub_f32_e32 v12, v12, v16
	v_fmac_f32_e32 v13, 0x32a5705f, v10
	v_sub_f32_e32 v1, v1, v14
	v_add_f32_e32 v12, v12, v15
	v_cvt_i32_f32_e32 v16, v16
	v_add_f32_e32 v1, v1, v13
	v_exp_f32_e32 v12, v12
	v_cvt_i32_f32_e32 v14, v14
	v_exp_f32_e32 v1, v1
	v_cmp_ngt_f32_e32 vcc, s9, v11
	v_ldexp_f32 v12, v12, v16
	v_mov_b32_e32 v8, s1
	v_ldexp_f32 v1, v1, v14
	v_cmp_ngt_f32_e64 s[0:1], s9, v10
	v_cndmask_b32_e32 v12, 0, v12, vcc
	v_cmp_nlt_f32_e32 vcc, s10, v11
	v_cndmask_b32_e64 v1, 0, v1, s[0:1]
	v_cmp_nlt_f32_e64 s[0:1], s10, v10
	v_cndmask_b32_e32 v12, v6, v12, vcc
	v_cmp_le_f32_e32 vcc, s11, v11
	v_cndmask_b32_e64 v1, v6, v1, s[0:1]
	v_cmp_le_f32_e64 s[0:1], s11, v10
	v_cndmask_b32_e32 v12, 0, v12, vcc
	s_cmp_le_i32 s7, s6
	v_cndmask_b32_e64 v10, 0, v1, s[0:1]
	s_waitcnt vmcnt(0)
	v_pk_mul_f32 v[8:9], v[8:9], v[12:13] op_sel_hi:[1,0]
	s_nop 0
	v_pk_fma_f32 v[4:5], v[4:5], v[10:11], v[8:9] op_sel_hi:[1,0,1]
	s_cbranch_scc0 .LBB54_3
	s_branch .LBB54_5
.LBB54_4:
	s_waitcnt lgkmcnt(0)
	v_mov_b32_e32 v4, s9
.LBB54_5:
	s_waitcnt vmcnt(0)
	v_div_scale_f32 v0, s[0:1], v4, v4, v5
	v_rcp_f32_e32 v1, v0
	v_div_scale_f32 v6, vcc, v5, v4, v5
	v_fma_f32 v7, -v0, v1, 1.0
	v_fmac_f32_e32 v1, v7, v1
	v_mul_f32_e32 v7, v6, v1
	v_fma_f32 v8, -v0, v7, v6
	v_fmac_f32_e32 v7, v8, v1
	v_fma_f32 v0, -v0, v7, v6
	v_div_fmas_f32 v0, v0, v1, v7
	v_div_fixup_f32 v0, v0, v4, v5
	global_store_dword v[2:3], v0, off
.LBB54_6:
	s_endpgm
	.section	.rodata,"a",@progbits
	.p2align	6, 0x0
	.amdhsa_kernel _ZL33flash_attn_stream_k_fixup_uniformILi128ELi64ELi1EEvPfPK15HIP_vector_typeIfLj2EEiiiiiiS1_IjLj3EES5_S5_
		.amdhsa_group_segment_fixed_size 0
		.amdhsa_private_segment_fixed_size 0
		.amdhsa_kernarg_size 76
		.amdhsa_user_sgpr_count 2
		.amdhsa_user_sgpr_dispatch_ptr 0
		.amdhsa_user_sgpr_queue_ptr 0
		.amdhsa_user_sgpr_kernarg_segment_ptr 1
		.amdhsa_user_sgpr_dispatch_id 0
		.amdhsa_user_sgpr_kernarg_preload_length 0
		.amdhsa_user_sgpr_kernarg_preload_offset 0
		.amdhsa_user_sgpr_private_segment_size 0
		.amdhsa_uses_dynamic_stack 0
		.amdhsa_enable_private_segment 0
		.amdhsa_system_sgpr_workgroup_id_x 1
		.amdhsa_system_sgpr_workgroup_id_y 1
		.amdhsa_system_sgpr_workgroup_id_z 1
		.amdhsa_system_sgpr_workgroup_info 0
		.amdhsa_system_vgpr_workitem_id 0
		.amdhsa_next_free_vgpr 17
		.amdhsa_next_free_sgpr 24
		.amdhsa_accum_offset 20
		.amdhsa_reserve_vcc 1
		.amdhsa_float_round_mode_32 0
		.amdhsa_float_round_mode_16_64 0
		.amdhsa_float_denorm_mode_32 3
		.amdhsa_float_denorm_mode_16_64 3
		.amdhsa_dx10_clamp 1
		.amdhsa_ieee_mode 1
		.amdhsa_fp16_overflow 0
		.amdhsa_tg_split 0
		.amdhsa_exception_fp_ieee_invalid_op 0
		.amdhsa_exception_fp_denorm_src 0
		.amdhsa_exception_fp_ieee_div_zero 0
		.amdhsa_exception_fp_ieee_overflow 0
		.amdhsa_exception_fp_ieee_underflow 0
		.amdhsa_exception_fp_ieee_inexact 0
		.amdhsa_exception_int_div_zero 0
	.end_amdhsa_kernel
	.section	.text._ZL33flash_attn_stream_k_fixup_uniformILi128ELi64ELi1EEvPfPK15HIP_vector_typeIfLj2EEiiiiiiS1_IjLj3EES5_S5_,"axG",@progbits,_ZL33flash_attn_stream_k_fixup_uniformILi128ELi64ELi1EEvPfPK15HIP_vector_typeIfLj2EEiiiiiiS1_IjLj3EES5_S5_,comdat
.Lfunc_end54:
	.size	_ZL33flash_attn_stream_k_fixup_uniformILi128ELi64ELi1EEvPfPK15HIP_vector_typeIfLj2EEiiiiiiS1_IjLj3EES5_S5_, .Lfunc_end54-_ZL33flash_attn_stream_k_fixup_uniformILi128ELi64ELi1EEvPfPK15HIP_vector_typeIfLj2EEiiiiiiS1_IjLj3EES5_S5_
                                        ; -- End function
	.set _ZL33flash_attn_stream_k_fixup_uniformILi128ELi64ELi1EEvPfPK15HIP_vector_typeIfLj2EEiiiiiiS1_IjLj3EES5_S5_.num_vgpr, 17
	.set _ZL33flash_attn_stream_k_fixup_uniformILi128ELi64ELi1EEvPfPK15HIP_vector_typeIfLj2EEiiiiiiS1_IjLj3EES5_S5_.num_agpr, 0
	.set _ZL33flash_attn_stream_k_fixup_uniformILi128ELi64ELi1EEvPfPK15HIP_vector_typeIfLj2EEiiiiiiS1_IjLj3EES5_S5_.numbered_sgpr, 24
	.set _ZL33flash_attn_stream_k_fixup_uniformILi128ELi64ELi1EEvPfPK15HIP_vector_typeIfLj2EEiiiiiiS1_IjLj3EES5_S5_.num_named_barrier, 0
	.set _ZL33flash_attn_stream_k_fixup_uniformILi128ELi64ELi1EEvPfPK15HIP_vector_typeIfLj2EEiiiiiiS1_IjLj3EES5_S5_.private_seg_size, 0
	.set _ZL33flash_attn_stream_k_fixup_uniformILi128ELi64ELi1EEvPfPK15HIP_vector_typeIfLj2EEiiiiiiS1_IjLj3EES5_S5_.uses_vcc, 1
	.set _ZL33flash_attn_stream_k_fixup_uniformILi128ELi64ELi1EEvPfPK15HIP_vector_typeIfLj2EEiiiiiiS1_IjLj3EES5_S5_.uses_flat_scratch, 0
	.set _ZL33flash_attn_stream_k_fixup_uniformILi128ELi64ELi1EEvPfPK15HIP_vector_typeIfLj2EEiiiiiiS1_IjLj3EES5_S5_.has_dyn_sized_stack, 0
	.set _ZL33flash_attn_stream_k_fixup_uniformILi128ELi64ELi1EEvPfPK15HIP_vector_typeIfLj2EEiiiiiiS1_IjLj3EES5_S5_.has_recursion, 0
	.set _ZL33flash_attn_stream_k_fixup_uniformILi128ELi64ELi1EEvPfPK15HIP_vector_typeIfLj2EEiiiiiiS1_IjLj3EES5_S5_.has_indirect_call, 0
	.section	.AMDGPU.csdata,"",@progbits
; Kernel info:
; codeLenInByte = 820
; TotalNumSgprs: 30
; NumVgprs: 17
; NumAgprs: 0
; TotalNumVgprs: 17
; ScratchSize: 0
; MemoryBound: 0
; FloatMode: 240
; IeeeMode: 1
; LDSByteSize: 0 bytes/workgroup (compile time only)
; SGPRBlocks: 3
; VGPRBlocks: 2
; NumSGPRsForWavesPerEU: 30
; NumVGPRsForWavesPerEU: 17
; AccumOffset: 20
; Occupancy: 8
; WaveLimiterHint : 0
; COMPUTE_PGM_RSRC2:SCRATCH_EN: 0
; COMPUTE_PGM_RSRC2:USER_SGPR: 2
; COMPUTE_PGM_RSRC2:TRAP_HANDLER: 0
; COMPUTE_PGM_RSRC2:TGID_X_EN: 1
; COMPUTE_PGM_RSRC2:TGID_Y_EN: 1
; COMPUTE_PGM_RSRC2:TGID_Z_EN: 1
; COMPUTE_PGM_RSRC2:TIDIG_COMP_CNT: 0
; COMPUTE_PGM_RSRC3_GFX90A:ACCUM_OFFSET: 4
; COMPUTE_PGM_RSRC3_GFX90A:TG_SPLIT: 0
	.section	.text._ZL33flash_attn_stream_k_fixup_generalILi128ELi64ELi1EEvPfPK15HIP_vector_typeIfLj2EEiiiiS1_IjLj3EES5_S5_S5_,"axG",@progbits,_ZL33flash_attn_stream_k_fixup_generalILi128ELi64ELi1EEvPfPK15HIP_vector_typeIfLj2EEiiiiS1_IjLj3EES5_S5_S5_,comdat
	.globl	_ZL33flash_attn_stream_k_fixup_generalILi128ELi64ELi1EEvPfPK15HIP_vector_typeIfLj2EEiiiiS1_IjLj3EES5_S5_S5_ ; -- Begin function _ZL33flash_attn_stream_k_fixup_generalILi128ELi64ELi1EEvPfPK15HIP_vector_typeIfLj2EEiiiiS1_IjLj3EES5_S5_S5_
	.p2align	8
	.type	_ZL33flash_attn_stream_k_fixup_generalILi128ELi64ELi1EEvPfPK15HIP_vector_typeIfLj2EEiiiiS1_IjLj3EES5_S5_S5_,@function
_ZL33flash_attn_stream_k_fixup_generalILi128ELi64ELi1EEvPfPK15HIP_vector_typeIfLj2EEiiiiS1_IjLj3EES5_S5_S5_: ; @_ZL33flash_attn_stream_k_fixup_generalILi128ELi64ELi1EEvPfPK15HIP_vector_typeIfLj2EEiiiiS1_IjLj3EES5_S5_S5_
; %bb.0:
	s_load_dwordx4 s[8:11], s[0:1], 0x10
	s_load_dword s22, s[0:1], 0x50
	s_mov_b32 s12, 0
	s_waitcnt lgkmcnt(0)
	s_mul_hi_i32 s13, s11, s2
	s_cmp_lg_u64 s[12:13], 0
	s_mul_i32 s5, s11, s2
	s_cbranch_scc0 .LBB55_20
; %bb.1:
	s_add_u32 s6, s22, 0
	s_addc_u32 s7, 0, 0
	s_xor_b64 s[6:7], s[6:7], 0
	v_cvt_f32_u32_e32 v1, s6
	v_cvt_f32_u32_e32 v2, s7
	s_sub_u32 s12, 0, s6
	s_subb_u32 s18, 0, s7
	v_fmamk_f32 v1, v2, 0x4f800000, v1
	v_rcp_f32_e32 v1, v1
	s_nop 0
	v_mul_f32_e32 v1, 0x5f7ffffc, v1
	v_mul_f32_e32 v2, 0x2f800000, v1
	v_trunc_f32_e32 v2, v2
	v_fmamk_f32 v1, v2, 0xcf800000, v1
	v_cvt_u32_f32_e32 v2, v2
	v_cvt_u32_f32_e32 v1, v1
	v_readfirstlane_b32 s19, v2
	v_readfirstlane_b32 s14, v1
	s_mul_i32 s15, s12, s19
	s_mul_hi_u32 s21, s12, s14
	s_mul_i32 s20, s18, s14
	s_add_i32 s15, s21, s15
	s_add_i32 s15, s15, s20
	s_mul_i32 s23, s12, s14
	s_mul_i32 s21, s14, s15
	s_mul_hi_u32 s24, s14, s23
	s_mul_hi_u32 s20, s14, s15
	s_add_u32 s21, s24, s21
	s_addc_u32 s20, 0, s20
	s_mul_hi_u32 s25, s19, s23
	s_mul_i32 s23, s19, s23
	s_add_u32 s21, s21, s23
	s_mul_hi_u32 s24, s19, s15
	s_addc_u32 s20, s20, s25
	s_addc_u32 s21, s24, 0
	s_mul_i32 s15, s19, s15
	s_add_u32 s15, s20, s15
	s_addc_u32 s20, 0, s21
	s_add_u32 s21, s14, s15
	s_cselect_b64 s[14:15], -1, 0
	s_cmp_lg_u64 s[14:15], 0
	s_addc_u32 s19, s19, s20
	s_mul_i32 s14, s12, s19
	s_mul_hi_u32 s15, s12, s21
	s_add_i32 s14, s15, s14
	s_mul_i32 s18, s18, s21
	s_add_i32 s14, s14, s18
	s_mul_i32 s12, s12, s21
	s_mul_hi_u32 s18, s19, s12
	s_mul_i32 s20, s19, s12
	s_mul_i32 s24, s21, s14
	s_mul_hi_u32 s12, s21, s12
	s_mul_hi_u32 s23, s21, s14
	s_add_u32 s12, s12, s24
	s_addc_u32 s23, 0, s23
	s_add_u32 s12, s12, s20
	s_mul_hi_u32 s15, s19, s14
	s_addc_u32 s12, s23, s18
	s_addc_u32 s15, s15, 0
	s_mul_i32 s14, s19, s14
	s_add_u32 s12, s12, s14
	s_addc_u32 s18, 0, s15
	s_add_u32 s20, s21, s12
	s_cselect_b64 s[14:15], -1, 0
	s_cmp_lg_u64 s[14:15], 0
	s_addc_u32 s18, s19, s18
	s_ashr_i32 s14, s13, 31
	s_add_u32 s12, s5, s14
	s_mov_b32 s15, s14
	s_addc_u32 s13, s13, s14
	s_xor_b64 s[12:13], s[12:13], s[14:15]
	s_mul_i32 s21, s12, s18
	s_mul_hi_u32 s23, s12, s20
	s_mul_hi_u32 s19, s12, s18
	s_add_u32 s21, s23, s21
	s_addc_u32 s19, 0, s19
	s_mul_hi_u32 s24, s13, s20
	s_mul_i32 s20, s13, s20
	s_add_u32 s20, s21, s20
	s_mul_hi_u32 s23, s13, s18
	s_addc_u32 s19, s19, s24
	s_addc_u32 s20, s23, 0
	s_mul_i32 s18, s13, s18
	s_add_u32 s23, s19, s18
	s_addc_u32 s24, 0, s20
	s_mul_i32 s18, s6, s24
	s_mul_hi_u32 s19, s6, s23
	s_add_i32 s18, s19, s18
	s_mul_i32 s19, s7, s23
	s_add_i32 s25, s18, s19
	s_sub_i32 s20, s13, s25
	s_mul_i32 s18, s6, s23
	s_sub_u32 s12, s12, s18
	s_cselect_b64 s[18:19], -1, 0
	s_cmp_lg_u64 s[18:19], 0
	s_subb_u32 s26, s20, s7
	s_sub_u32 s27, s12, s6
	s_cselect_b64 s[20:21], -1, 0
	s_cmp_lg_u64 s[20:21], 0
	s_subb_u32 s20, s26, 0
	s_cmp_ge_u32 s20, s7
	s_cselect_b32 s21, -1, 0
	s_cmp_ge_u32 s27, s6
	s_cselect_b32 s26, -1, 0
	s_cmp_eq_u32 s20, s7
	s_cselect_b32 s20, s26, s21
	s_add_u32 s21, s23, 1
	s_addc_u32 s26, s24, 0
	s_add_u32 s27, s23, 2
	s_addc_u32 s28, s24, 0
	s_cmp_lg_u32 s20, 0
	s_cselect_b32 s20, s27, s21
	s_cselect_b32 s21, s28, s26
	s_cmp_lg_u64 s[18:19], 0
	s_subb_u32 s13, s13, s25
	s_cmp_ge_u32 s13, s7
	s_cselect_b32 s18, -1, 0
	s_cmp_ge_u32 s12, s6
	s_cselect_b32 s6, -1, 0
	s_cmp_eq_u32 s13, s7
	s_cselect_b32 s6, s6, s18
	s_cmp_lg_u32 s6, 0
	s_cselect_b32 s7, s21, s24
	s_cselect_b32 s6, s20, s23
	s_xor_b64 s[12:13], s[14:15], 0
	s_xor_b64 s[6:7], s[6:7], s[12:13]
	s_sub_u32 s6, s6, s12
	s_load_dwordx4 s[12:15], s[0:1], 0x44
	s_cbranch_execnz .LBB55_3
.LBB55_2:
	v_cvt_f32_u32_e32 v1, s22
	s_sub_i32 s6, 0, s22
	v_rcp_iflag_f32_e32 v1, v1
	s_nop 0
	v_mul_f32_e32 v1, 0x4f7ffffe, v1
	v_cvt_u32_f32_e32 v1, v1
	s_nop 0
	v_readfirstlane_b32 s7, v1
	s_mul_i32 s6, s6, s7
	s_mul_hi_u32 s6, s7, s6
	s_add_i32 s7, s7, s6
	s_mul_hi_u32 s6, s5, s7
	s_waitcnt lgkmcnt(0)
	s_mul_i32 s15, s6, s22
	s_sub_i32 s5, s5, s15
	s_add_i32 s7, s6, 1
	s_sub_i32 s15, s5, s22
	s_cmp_ge_u32 s5, s22
	s_cselect_b32 s6, s7, s6
	s_cselect_b32 s5, s15, s5
	s_add_i32 s7, s6, 1
	s_cmp_ge_u32 s5, s22
	s_cselect_b32 s6, s7, s6
.LBB55_3:
	s_add_i32 s5, s2, 1
	s_mul_hi_i32 s21, s11, s5
	s_mov_b32 s20, 0
	s_cmp_lg_u64 s[20:21], 0
	s_mul_i32 s5, s11, s5
	s_cbranch_scc0 .LBB55_21
; %bb.4:
	s_add_u32 s16, s22, 0
	s_addc_u32 s17, 0, 0
	s_xor_b64 s[18:19], s[16:17], 0
	v_cvt_f32_u32_e32 v1, s18
	v_cvt_f32_u32_e32 v2, s19
	s_sub_u32 s7, 0, s18
	s_waitcnt lgkmcnt(0)
	s_subb_u32 s15, 0, s19
	v_fmamk_f32 v1, v2, 0x4f800000, v1
	v_rcp_f32_e32 v1, v1
	s_nop 0
	v_mul_f32_e32 v1, 0x5f7ffffc, v1
	v_mul_f32_e32 v2, 0x2f800000, v1
	v_trunc_f32_e32 v2, v2
	v_fmamk_f32 v1, v2, 0xcf800000, v1
	v_cvt_u32_f32_e32 v2, v2
	v_cvt_u32_f32_e32 v1, v1
	v_readfirstlane_b32 s20, v2
	v_readfirstlane_b32 s23, v1
	s_mul_i32 s24, s7, s20
	s_mul_hi_u32 s26, s7, s23
	s_mul_i32 s25, s15, s23
	s_add_i32 s24, s26, s24
	s_add_i32 s24, s24, s25
	s_mul_i32 s27, s7, s23
	s_mul_i32 s26, s23, s24
	s_mul_hi_u32 s28, s23, s27
	s_mul_hi_u32 s25, s23, s24
	s_add_u32 s26, s28, s26
	s_addc_u32 s25, 0, s25
	s_mul_hi_u32 s29, s20, s27
	s_mul_i32 s27, s20, s27
	s_add_u32 s26, s26, s27
	s_mul_hi_u32 s28, s20, s24
	s_addc_u32 s25, s25, s29
	s_addc_u32 s26, s28, 0
	s_mul_i32 s24, s20, s24
	s_add_u32 s24, s25, s24
	s_addc_u32 s26, 0, s26
	s_add_u32 s23, s23, s24
	s_cselect_b64 s[24:25], -1, 0
	s_cmp_lg_u64 s[24:25], 0
	s_addc_u32 s20, s20, s26
	s_mul_i32 s24, s7, s20
	s_mul_hi_u32 s25, s7, s23
	s_add_i32 s24, s25, s24
	s_mul_i32 s15, s15, s23
	s_add_i32 s24, s24, s15
	s_mul_i32 s7, s7, s23
	s_mul_hi_u32 s25, s20, s7
	s_mul_i32 s26, s20, s7
	s_mul_i32 s28, s23, s24
	s_mul_hi_u32 s7, s23, s7
	s_mul_hi_u32 s27, s23, s24
	s_add_u32 s7, s7, s28
	s_addc_u32 s27, 0, s27
	s_add_u32 s7, s7, s26
	s_mul_hi_u32 s15, s20, s24
	s_addc_u32 s7, s27, s25
	s_addc_u32 s15, s15, 0
	s_mul_i32 s24, s20, s24
	s_add_u32 s7, s7, s24
	s_addc_u32 s15, 0, s15
	s_add_u32 s7, s23, s7
	s_cselect_b64 s[24:25], -1, 0
	s_cmp_lg_u64 s[24:25], 0
	s_addc_u32 s15, s20, s15
	s_ashr_i32 s24, s21, 31
	s_add_u32 s20, s5, s24
	s_mov_b32 s25, s24
	s_addc_u32 s21, s21, s24
	s_xor_b64 s[20:21], s[20:21], s[24:25]
	s_mul_i32 s26, s20, s15
	s_mul_hi_u32 s27, s20, s7
	s_mul_hi_u32 s23, s20, s15
	s_add_u32 s26, s27, s26
	s_addc_u32 s23, 0, s23
	s_mul_hi_u32 s28, s21, s7
	s_mul_i32 s7, s21, s7
	s_add_u32 s7, s26, s7
	s_mul_hi_u32 s27, s21, s15
	s_addc_u32 s7, s23, s28
	s_addc_u32 s23, s27, 0
	s_mul_i32 s15, s21, s15
	s_add_u32 s7, s7, s15
	s_addc_u32 s15, 0, s23
	s_mul_i32 s23, s18, s15
	s_mul_hi_u32 s26, s18, s7
	s_add_i32 s23, s26, s23
	s_mul_i32 s26, s19, s7
	s_add_i32 s23, s23, s26
	s_sub_i32 s28, s21, s23
	s_mul_i32 s26, s18, s7
	s_sub_u32 s20, s20, s26
	s_cselect_b64 s[26:27], -1, 0
	s_cmp_lg_u64 s[26:27], 0
	s_subb_u32 s30, s28, s19
	s_sub_u32 s31, s20, s18
	s_cselect_b64 s[28:29], -1, 0
	s_cmp_lg_u64 s[28:29], 0
	s_subb_u32 s28, s30, 0
	s_cmp_ge_u32 s28, s19
	s_cselect_b32 s29, -1, 0
	s_cmp_ge_u32 s31, s18
	s_cselect_b32 s30, -1, 0
	s_cmp_eq_u32 s28, s19
	s_cselect_b32 s28, s30, s29
	s_add_u32 s29, s7, 1
	s_addc_u32 s30, s15, 0
	s_add_u32 s31, s7, 2
	s_addc_u32 s33, s15, 0
	s_cmp_lg_u32 s28, 0
	s_cselect_b32 s28, s31, s29
	s_cselect_b32 s29, s33, s30
	s_cmp_lg_u64 s[26:27], 0
	s_subb_u32 s21, s21, s23
	s_cmp_ge_u32 s21, s19
	s_cselect_b32 s23, -1, 0
	s_cmp_ge_u32 s20, s18
	s_cselect_b32 s18, -1, 0
	s_cmp_eq_u32 s21, s19
	s_cselect_b32 s18, s18, s23
	s_cmp_lg_u32 s18, 0
	s_cselect_b32 s19, s29, s15
	s_cselect_b32 s18, s28, s7
	s_xor_b64 s[20:21], s[24:25], 0
	s_xor_b64 s[18:19], s[18:19], s[20:21]
	s_sub_u32 s18, s18, s20
	s_cbranch_execnz .LBB55_6
.LBB55_5:
	v_cvt_f32_u32_e32 v1, s22
	s_sub_i32 s7, 0, s22
	v_rcp_iflag_f32_e32 v1, v1
	s_nop 0
	v_mul_f32_e32 v1, 0x4f7ffffe, v1
	v_cvt_u32_f32_e32 v1, v1
	s_waitcnt lgkmcnt(0)
	v_readfirstlane_b32 s15, v1
	s_mul_i32 s7, s7, s15
	s_mul_hi_u32 s7, s15, s7
	s_add_i32 s15, s15, s7
	s_mul_hi_u32 s7, s5, s15
	s_mul_i32 s16, s7, s22
	s_sub_i32 s5, s5, s16
	s_add_i32 s15, s7, 1
	s_sub_i32 s16, s5, s22
	s_cmp_ge_u32 s5, s22
	s_cselect_b32 s7, s15, s7
	s_cselect_b32 s5, s16, s5
	s_add_i32 s15, s7, 1
	s_cmp_ge_u32 s5, s22
	s_cselect_b32 s18, s15, s7
.LBB55_6:
	s_cmp_eq_u32 s6, s18
	s_waitcnt lgkmcnt(0)
	s_mul_hi_u32 s5, s6, s12
	s_cselect_b64 s[16:17], -1, 0
	s_add_i32 s5, s5, s6
	s_lshr_b32 s7, s5, s13
	s_mul_i32 s5, s7, s14
	s_cmp_eq_u32 s5, s6
	s_mul_hi_u32 s5, s18, s12
	s_cselect_b64 s[20:21], -1, 0
	s_add_i32 s5, s5, s18
	s_lshr_b32 s5, s5, s13
	s_cmp_eq_u32 s7, s5
	s_mul_i32 s5, s5, s14
	s_cselect_b64 s[24:25], -1, 0
	s_cmp_lg_u32 s5, s18
	s_cselect_b64 s[18:19], -1, 0
	s_and_b64 s[18:19], s[24:25], s[18:19]
	s_or_b64 s[16:17], s[16:17], s[20:21]
	s_or_b64 s[16:17], s[16:17], s[18:19]
	s_and_b64 vcc, exec, s[16:17]
	s_cbranch_vccnz .LBB55_23
; %bb.7:
	s_load_dwordx8 s[24:31], s[0:1], 0x20
	s_load_dword s15, s[0:1], 0x40
	s_waitcnt lgkmcnt(0)
	s_mul_hi_u32 s5, s6, s24
	s_add_i32 s5, s5, s6
	s_lshr_b32 s5, s5, s25
	s_mul_i32 s16, s5, s26
	s_sub_i32 s16, s6, s16
	s_mul_hi_u32 s17, s16, s27
	s_add_i32 s17, s16, s17
	s_lshr_b32 s21, s17, s28
	s_mul_i32 s17, s21, s29
	s_sub_i32 s16, s16, s17
	;; [unrolled: 5-line block ×3, first 2 shown]
	s_mul_hi_u32 s16, s15, s12
	s_add_i32 s15, s15, s16
	s_lshr_b32 s23, s15, s13
	s_lshl_b32 s15, s23, 6
	s_add_i32 s15, s15, s3
	s_cmp_lt_i32 s15, s8
	s_cselect_b64 s[16:17], -1, 0
	s_add_i32 s15, s20, s4
	s_cmp_lt_i32 s15, s10
	s_cselect_b64 s[18:19], -1, 0
	s_and_b64 s[16:17], s[16:17], s[18:19]
	s_andn2_b64 vcc, exec, s[16:17]
	s_cbranch_vccnz .LBB55_23
; %bb.8:
	s_load_dwordx4 s[16:19], s[0:1], 0x0
	s_mov_b32 s0, 0
	s_lshl_b32 s24, s22, 8
	s_mov_b32 s25, s0
	s_add_i32 s15, s3, s4
	s_waitcnt lgkmcnt(0)
	v_mov_b32_e32 v2, s16
	v_mov_b32_e32 v3, s17
	s_lshl_b64 s[16:17], s[24:25], 2
	s_add_u32 s16, s18, s16
	s_mul_i32 s1, s5, s8
	s_addc_u32 s17, s19, s17
	s_add_i32 s1, s1, s3
	s_mul_i32 s1, s1, s9
	s_mul_i32 s21, s21, s10
	s_add_i32 s1, s1, s4
	s_add_i32 s1, s1, s21
	s_mul_i32 s5, s9, s23
	s_add_i32 s1, s1, s20
	s_lshl_b32 s5, s5, 13
	s_lshl_b32 s1, s1, 7
	s_add_i32 s5, s5, s1
	v_or_b32_e32 v4, s5, v0
	v_ashrrev_i32_e32 v5, 31, v4
	v_lshl_add_u64 v[2:3], v[4:5], 2, v[2:3]
	global_load_dword v1, v[2:3], off
	v_cvt_f32_u32_e32 v4, s22
	s_lshl_b32 s1, s2, 6
	s_add_i32 s4, s1, s15
	s_ashr_i32 s5, s4, 31
	s_lshl_b64 s[4:5], s[4:5], 3
	v_rcp_iflag_f32_e32 v4, v4
	s_add_u32 s4, s18, s4
	s_addc_u32 s5, s19, s5
	s_load_dwordx2 s[4:5], s[4:5], 0x0
	v_mul_f32_e32 v4, 0x4f7ffffe, v4
	v_cvt_u32_f32_e32 v7, v4
	s_add_i32 s24, s2, -1
	v_lshl_or_b32 v6, s15, 7, v0
	s_waitcnt lgkmcnt(0)
	v_mov_b32_e32 v0, s5
	v_mov_b32_e32 v9, s4
	s_mov_b32 s10, 0x3fb8aa3b
	s_mov_b32 s20, 0xc2ce8ed0
	;; [unrolled: 1-line block ×4, first 2 shown]
	v_mov_b32_e32 v8, 0x7f800000
	s_mul_hi_i32 s1, s24, s11
	s_cmp_lg_u64 s[0:1], 0
	s_mul_i32 s8, s24, s11
	s_cbranch_scc0 .LBB55_19
.LBB55_9:
	s_add_u32 s2, s22, 0
	s_addc_u32 s3, 0, 0
	s_xor_b64 s[2:3], s[2:3], 0
	v_cvt_f32_u32_e32 v4, s2
	v_cvt_f32_u32_e32 v5, s3
	s_sub_u32 s9, 0, s2
	s_subb_u32 s25, 0, s3
	v_fmac_f32_e32 v4, 0x4f800000, v5
	v_rcp_f32_e32 v4, v4
	s_nop 0
	v_mul_f32_e32 v4, 0x5f7ffffc, v4
	v_mul_f32_e32 v5, 0x2f800000, v4
	v_trunc_f32_e32 v5, v5
	v_fmac_f32_e32 v4, 0xcf800000, v5
	v_cvt_u32_f32_e32 v5, v5
	v_cvt_u32_f32_e32 v4, v4
	v_readfirstlane_b32 s26, v5
	v_readfirstlane_b32 s4, v4
	s_mul_i32 s5, s9, s26
	s_mul_hi_u32 s28, s9, s4
	s_mul_i32 s27, s25, s4
	s_add_i32 s5, s28, s5
	s_mul_i32 s29, s9, s4
	s_add_i32 s5, s5, s27
	s_mul_i32 s28, s4, s5
	s_mul_hi_u32 s30, s4, s29
	s_mul_hi_u32 s27, s4, s5
	s_add_u32 s28, s30, s28
	s_addc_u32 s27, 0, s27
	s_mul_hi_u32 s31, s26, s29
	s_mul_i32 s29, s26, s29
	s_add_u32 s28, s28, s29
	s_mul_hi_u32 s30, s26, s5
	s_addc_u32 s27, s27, s31
	s_addc_u32 s28, s30, 0
	s_mul_i32 s5, s26, s5
	s_add_u32 s5, s27, s5
	s_addc_u32 s27, 0, s28
	s_add_u32 s28, s4, s5
	s_cselect_b64 s[4:5], -1, 0
	s_cmp_lg_u64 s[4:5], 0
	s_addc_u32 s26, s26, s27
	s_mul_i32 s4, s9, s26
	s_mul_hi_u32 s5, s9, s28
	s_add_i32 s4, s5, s4
	s_mul_i32 s25, s25, s28
	s_add_i32 s4, s4, s25
	s_mul_i32 s9, s9, s28
	s_mul_hi_u32 s25, s26, s9
	s_mul_i32 s27, s26, s9
	s_mul_i32 s30, s28, s4
	s_mul_hi_u32 s9, s28, s9
	s_mul_hi_u32 s29, s28, s4
	s_add_u32 s9, s9, s30
	s_addc_u32 s29, 0, s29
	s_add_u32 s9, s9, s27
	s_mul_hi_u32 s5, s26, s4
	s_addc_u32 s9, s29, s25
	s_addc_u32 s5, s5, 0
	s_mul_i32 s4, s26, s4
	s_add_u32 s4, s9, s4
	s_addc_u32 s9, 0, s5
	s_add_u32 s25, s28, s4
	s_cselect_b64 s[4:5], -1, 0
	s_cmp_lg_u64 s[4:5], 0
	s_addc_u32 s9, s26, s9
	s_ashr_i32 s4, s1, 31
	s_add_u32 s26, s8, s4
	s_mov_b32 s5, s4
	s_addc_u32 s27, s1, s4
	s_xor_b64 s[26:27], s[26:27], s[4:5]
	s_mul_i32 s28, s26, s9
	s_mul_hi_u32 s29, s26, s25
	s_mul_hi_u32 s1, s26, s9
	s_add_u32 s28, s29, s28
	s_addc_u32 s1, 0, s1
	s_mul_hi_u32 s30, s27, s25
	s_mul_i32 s25, s27, s25
	s_add_u32 s25, s28, s25
	s_mul_hi_u32 s29, s27, s9
	s_addc_u32 s1, s1, s30
	s_addc_u32 s25, s29, 0
	s_mul_i32 s9, s27, s9
	s_add_u32 s1, s1, s9
	s_addc_u32 s9, 0, s25
	s_mul_i32 s25, s2, s9
	s_mul_hi_u32 s28, s2, s1
	s_add_i32 s25, s28, s25
	s_mul_i32 s28, s3, s1
	s_add_i32 s25, s25, s28
	s_sub_i32 s30, s27, s25
	s_mul_i32 s28, s2, s1
	s_sub_u32 s26, s26, s28
	s_cselect_b64 s[28:29], -1, 0
	s_cmp_lg_u64 s[28:29], 0
	s_subb_u32 s33, s30, s3
	s_sub_u32 s34, s26, s2
	s_cselect_b64 s[30:31], -1, 0
	s_cmp_lg_u64 s[30:31], 0
	s_subb_u32 s30, s33, 0
	s_cmp_ge_u32 s30, s3
	s_cselect_b32 s31, -1, 0
	s_cmp_ge_u32 s34, s2
	s_cselect_b32 s33, -1, 0
	s_cmp_eq_u32 s30, s3
	s_cselect_b32 s30, s33, s31
	s_add_u32 s31, s1, 1
	s_addc_u32 s33, s9, 0
	s_add_u32 s34, s1, 2
	s_addc_u32 s35, s9, 0
	s_cmp_lg_u32 s30, 0
	s_cselect_b32 s30, s34, s31
	s_cselect_b32 s31, s35, s33
	s_cmp_lg_u64 s[28:29], 0
	s_subb_u32 s25, s27, s25
	s_cmp_ge_u32 s25, s3
	s_cselect_b32 s27, -1, 0
	s_cmp_ge_u32 s26, s2
	s_cselect_b32 s2, -1, 0
	s_cmp_eq_u32 s25, s3
	s_cselect_b32 s2, s2, s27
	s_cmp_lg_u32 s2, 0
	s_cselect_b32 s3, s31, s9
	s_cselect_b32 s2, s30, s1
	s_xor_b64 s[4:5], s[4:5], 0
	s_xor_b64 s[2:3], s[2:3], s[4:5]
	s_sub_u32 s4, s2, s4
	s_cbranch_execnz .LBB55_11
.LBB55_10:
	s_sub_i32 s1, 0, s22
	v_readfirstlane_b32 s2, v7
	s_mul_i32 s1, s1, s2
	s_mul_hi_u32 s1, s2, s1
	s_add_i32 s2, s2, s1
	s_mul_hi_u32 s1, s8, s2
	s_mul_i32 s3, s1, s22
	s_sub_i32 s3, s8, s3
	s_add_i32 s2, s1, 1
	s_sub_i32 s4, s3, s22
	s_cmp_ge_u32 s3, s22
	s_cselect_b32 s1, s2, s1
	s_cselect_b32 s3, s4, s3
	s_add_i32 s2, s1, 1
	s_cmp_ge_u32 s3, s22
	s_cselect_b32 s4, s2, s1
.LBB55_11:
	s_cmp_lg_u32 s6, s4
	s_cbranch_scc0 .LBB55_15
; %bb.12:
	s_add_i32 s1, s24, s22
	s_lshl_b32 s1, s1, 6
	s_add_i32 s2, s1, s15
	s_mov_b32 s3, s0
	s_lshl_b64 s[2:3], s[2:3], 3
	s_add_u32 s8, s18, s2
	s_mul_hi_u32 s1, s4, s12
	s_addc_u32 s9, s19, s3
	s_add_i32 s1, s1, s4
	s_lshr_b32 s1, s1, s13
	s_mul_i32 s2, s1, s14
	s_cmp_eq_u32 s2, s4
	s_cselect_b64 s[2:3], -1, 0
	s_cmp_lt_u32 s1, s7
	s_cselect_b64 s[26:27], -1, 0
	s_or_b64 s[26:27], s[26:27], s[2:3]
	s_mov_b64 s[2:3], -1
	s_and_b64 vcc, exec, s[26:27]
	s_mov_b32 s1, s24
	s_mov_b32 s25, s6
	s_cbranch_vccnz .LBB55_14
; %bb.13:
	s_add_i32 s1, s24, -1
	s_mov_b64 s[2:3], 0
	s_mov_b32 s25, s4
.LBB55_14:
	v_lshl_add_u32 v4, s24, 13, v6
	v_ashrrev_i32_e32 v5, 31, v4
	v_lshl_add_u64 v[4:5], v[4:5], 2, s[16:17]
	global_load_dword v5, v[4:5], off
	s_load_dwordx2 s[4:5], s[8:9], 0x0
	v_max_f32_e32 v4, v9, v9
	s_waitcnt lgkmcnt(0)
	v_max_f32_e64 v10, s4, s4
	v_max_f32_e32 v10, v4, v10
	v_sub_f32_e32 v11, v9, v10
	v_sub_f32_e32 v13, s4, v10
	v_mul_f32_e32 v4, 0x3fb8aa3b, v11
	v_mul_f32_e32 v12, 0x3fb8aa3b, v13
	v_fma_f32 v14, v11, s10, -v4
	v_rndne_f32_e32 v15, v4
	v_fma_f32 v16, v13, s10, -v12
	v_rndne_f32_e32 v17, v12
	v_fmac_f32_e32 v14, 0x32a5705f, v11
	v_sub_f32_e32 v4, v4, v15
	v_fmac_f32_e32 v16, 0x32a5705f, v13
	v_sub_f32_e32 v12, v12, v17
	v_add_f32_e32 v4, v4, v14
	v_cvt_i32_f32_e32 v15, v15
	v_add_f32_e32 v12, v12, v16
	v_exp_f32_e32 v14, v4
	v_cvt_i32_f32_e32 v17, v17
	v_exp_f32_e32 v12, v12
	v_cmp_ngt_f32_e32 vcc, s20, v11
	v_ldexp_f32 v14, v14, v15
	v_mov_b32_e32 v4, s5
	v_ldexp_f32 v12, v12, v17
	v_cndmask_b32_e32 v14, 0, v14, vcc
	v_cmp_ngt_f32_e32 vcc, s20, v13
	s_nop 1
	v_cndmask_b32_e32 v12, 0, v12, vcc
	v_cmp_nlt_f32_e32 vcc, s21, v11
	s_nop 1
	v_cndmask_b32_e32 v14, v8, v14, vcc
	v_cmp_nlt_f32_e32 vcc, s21, v13
	s_nop 1
	v_cndmask_b32_e32 v15, v8, v12, vcc
	v_cmp_le_f32_e32 vcc, s23, v11
	s_nop 1
	v_cndmask_b32_e32 v12, 0, v14, vcc
	v_cmp_le_f32_e32 vcc, s23, v13
	s_nop 1
	v_cndmask_b32_e32 v14, 0, v15, vcc
	s_waitcnt vmcnt(0)
	v_pk_mul_f32 v[4:5], v[4:5], v[14:15] op_sel_hi:[1,0]
	s_nop 0
	v_pk_fma_f32 v[4:5], v[0:1], v[12:13], v[4:5] op_sel_hi:[1,0,1]
	s_cbranch_execz .LBB55_16
	s_branch .LBB55_17
.LBB55_15:
                                        ; implicit-def: $vgpr4_vgpr5
                                        ; implicit-def: $sgpr2_sgpr3
                                        ; implicit-def: $vgpr10
                                        ; implicit-def: $sgpr1
                                        ; implicit-def: $sgpr25
.LBB55_16:
	s_add_i32 s1, s24, -1
	s_mov_b64 s[2:3], 0
	s_mov_b32 s25, s6
	v_mov_b32_e32 v10, v9
	s_waitcnt vmcnt(0)
	v_mov_b64_e32 v[4:5], v[0:1]
.LBB55_17:
	s_andn2_b64 vcc, exec, s[2:3]
	s_cbranch_vccz .LBB55_22
; %bb.18:
	s_mov_b32 s6, s25
	s_mov_b32 s24, s1
	v_mov_b32_e32 v9, v10
	s_waitcnt vmcnt(0)
	v_mov_b64_e32 v[0:1], v[4:5]
	s_mul_hi_i32 s1, s24, s11
	s_cmp_lg_u64 s[0:1], 0
	s_mul_i32 s8, s24, s11
	s_cbranch_scc1 .LBB55_9
.LBB55_19:
                                        ; implicit-def: $sgpr4_sgpr5
	s_branch .LBB55_10
.LBB55_20:
                                        ; implicit-def: $sgpr6_sgpr7
	s_load_dwordx4 s[12:15], s[0:1], 0x44
	s_branch .LBB55_2
.LBB55_21:
                                        ; implicit-def: $sgpr18_sgpr19
	s_branch .LBB55_5
.LBB55_22:
	v_div_scale_f32 v0, s[0:1], v4, v4, v5
	s_waitcnt vmcnt(0)
	v_rcp_f32_e32 v1, v0
	v_div_scale_f32 v6, vcc, v5, v4, v5
	v_fma_f32 v7, -v0, v1, 1.0
	v_fmac_f32_e32 v1, v7, v1
	v_mul_f32_e32 v7, v6, v1
	v_fma_f32 v8, -v0, v7, v6
	v_fmac_f32_e32 v7, v8, v1
	v_fma_f32 v0, -v0, v7, v6
	v_div_fmas_f32 v0, v0, v1, v7
	v_div_fixup_f32 v0, v0, v4, v5
	global_store_dword v[2:3], v0, off
.LBB55_23:
	s_endpgm
	.section	.rodata,"a",@progbits
	.p2align	6, 0x0
	.amdhsa_kernel _ZL33flash_attn_stream_k_fixup_generalILi128ELi64ELi1EEvPfPK15HIP_vector_typeIfLj2EEiiiiS1_IjLj3EES5_S5_S5_
		.amdhsa_group_segment_fixed_size 0
		.amdhsa_private_segment_fixed_size 0
		.amdhsa_kernarg_size 336
		.amdhsa_user_sgpr_count 2
		.amdhsa_user_sgpr_dispatch_ptr 0
		.amdhsa_user_sgpr_queue_ptr 0
		.amdhsa_user_sgpr_kernarg_segment_ptr 1
		.amdhsa_user_sgpr_dispatch_id 0
		.amdhsa_user_sgpr_kernarg_preload_length 0
		.amdhsa_user_sgpr_kernarg_preload_offset 0
		.amdhsa_user_sgpr_private_segment_size 0
		.amdhsa_uses_dynamic_stack 0
		.amdhsa_enable_private_segment 0
		.amdhsa_system_sgpr_workgroup_id_x 1
		.amdhsa_system_sgpr_workgroup_id_y 1
		.amdhsa_system_sgpr_workgroup_id_z 1
		.amdhsa_system_sgpr_workgroup_info 0
		.amdhsa_system_vgpr_workitem_id 0
		.amdhsa_next_free_vgpr 18
		.amdhsa_next_free_sgpr 36
		.amdhsa_accum_offset 20
		.amdhsa_reserve_vcc 1
		.amdhsa_float_round_mode_32 0
		.amdhsa_float_round_mode_16_64 0
		.amdhsa_float_denorm_mode_32 3
		.amdhsa_float_denorm_mode_16_64 3
		.amdhsa_dx10_clamp 1
		.amdhsa_ieee_mode 1
		.amdhsa_fp16_overflow 0
		.amdhsa_tg_split 0
		.amdhsa_exception_fp_ieee_invalid_op 0
		.amdhsa_exception_fp_denorm_src 0
		.amdhsa_exception_fp_ieee_div_zero 0
		.amdhsa_exception_fp_ieee_overflow 0
		.amdhsa_exception_fp_ieee_underflow 0
		.amdhsa_exception_fp_ieee_inexact 0
		.amdhsa_exception_int_div_zero 0
	.end_amdhsa_kernel
	.section	.text._ZL33flash_attn_stream_k_fixup_generalILi128ELi64ELi1EEvPfPK15HIP_vector_typeIfLj2EEiiiiS1_IjLj3EES5_S5_S5_,"axG",@progbits,_ZL33flash_attn_stream_k_fixup_generalILi128ELi64ELi1EEvPfPK15HIP_vector_typeIfLj2EEiiiiS1_IjLj3EES5_S5_S5_,comdat
.Lfunc_end55:
	.size	_ZL33flash_attn_stream_k_fixup_generalILi128ELi64ELi1EEvPfPK15HIP_vector_typeIfLj2EEiiiiS1_IjLj3EES5_S5_S5_, .Lfunc_end55-_ZL33flash_attn_stream_k_fixup_generalILi128ELi64ELi1EEvPfPK15HIP_vector_typeIfLj2EEiiiiS1_IjLj3EES5_S5_S5_
                                        ; -- End function
	.set _ZL33flash_attn_stream_k_fixup_generalILi128ELi64ELi1EEvPfPK15HIP_vector_typeIfLj2EEiiiiS1_IjLj3EES5_S5_S5_.num_vgpr, 18
	.set _ZL33flash_attn_stream_k_fixup_generalILi128ELi64ELi1EEvPfPK15HIP_vector_typeIfLj2EEiiiiS1_IjLj3EES5_S5_S5_.num_agpr, 0
	.set _ZL33flash_attn_stream_k_fixup_generalILi128ELi64ELi1EEvPfPK15HIP_vector_typeIfLj2EEiiiiS1_IjLj3EES5_S5_S5_.numbered_sgpr, 36
	.set _ZL33flash_attn_stream_k_fixup_generalILi128ELi64ELi1EEvPfPK15HIP_vector_typeIfLj2EEiiiiS1_IjLj3EES5_S5_S5_.num_named_barrier, 0
	.set _ZL33flash_attn_stream_k_fixup_generalILi128ELi64ELi1EEvPfPK15HIP_vector_typeIfLj2EEiiiiS1_IjLj3EES5_S5_S5_.private_seg_size, 0
	.set _ZL33flash_attn_stream_k_fixup_generalILi128ELi64ELi1EEvPfPK15HIP_vector_typeIfLj2EEiiiiS1_IjLj3EES5_S5_S5_.uses_vcc, 1
	.set _ZL33flash_attn_stream_k_fixup_generalILi128ELi64ELi1EEvPfPK15HIP_vector_typeIfLj2EEiiiiS1_IjLj3EES5_S5_S5_.uses_flat_scratch, 0
	.set _ZL33flash_attn_stream_k_fixup_generalILi128ELi64ELi1EEvPfPK15HIP_vector_typeIfLj2EEiiiiS1_IjLj3EES5_S5_S5_.has_dyn_sized_stack, 0
	.set _ZL33flash_attn_stream_k_fixup_generalILi128ELi64ELi1EEvPfPK15HIP_vector_typeIfLj2EEiiiiS1_IjLj3EES5_S5_S5_.has_recursion, 0
	.set _ZL33flash_attn_stream_k_fixup_generalILi128ELi64ELi1EEvPfPK15HIP_vector_typeIfLj2EEiiiiS1_IjLj3EES5_S5_S5_.has_indirect_call, 0
	.section	.AMDGPU.csdata,"",@progbits
; Kernel info:
; codeLenInByte = 2932
; TotalNumSgprs: 42
; NumVgprs: 18
; NumAgprs: 0
; TotalNumVgprs: 18
; ScratchSize: 0
; MemoryBound: 0
; FloatMode: 240
; IeeeMode: 1
; LDSByteSize: 0 bytes/workgroup (compile time only)
; SGPRBlocks: 5
; VGPRBlocks: 2
; NumSGPRsForWavesPerEU: 42
; NumVGPRsForWavesPerEU: 18
; AccumOffset: 20
; Occupancy: 8
; WaveLimiterHint : 0
; COMPUTE_PGM_RSRC2:SCRATCH_EN: 0
; COMPUTE_PGM_RSRC2:USER_SGPR: 2
; COMPUTE_PGM_RSRC2:TRAP_HANDLER: 0
; COMPUTE_PGM_RSRC2:TGID_X_EN: 1
; COMPUTE_PGM_RSRC2:TGID_Y_EN: 1
; COMPUTE_PGM_RSRC2:TGID_Z_EN: 1
; COMPUTE_PGM_RSRC2:TIDIG_COMP_CNT: 0
; COMPUTE_PGM_RSRC3_GFX90A:ACCUM_OFFSET: 4
; COMPUTE_PGM_RSRC3_GFX90A:TG_SPLIT: 0
	.section	.text._ZL15flash_attn_tileILi128ELi128ELi32ELi1ELb0EEvPKcS1_S1_S1_S1_PKiPfP15HIP_vector_typeIfLj2EEffffjfiS5_IjLj3EEiiiiiiiiiiiliiliiiiil,"axG",@progbits,_ZL15flash_attn_tileILi128ELi128ELi32ELi1ELb0EEvPKcS1_S1_S1_S1_PKiPfP15HIP_vector_typeIfLj2EEffffjfiS5_IjLj3EEiiiiiiiiiiiliiliiiiil,comdat
	.globl	_ZL15flash_attn_tileILi128ELi128ELi32ELi1ELb0EEvPKcS1_S1_S1_S1_PKiPfP15HIP_vector_typeIfLj2EEffffjfiS5_IjLj3EEiiiiiiiiiiiliiliiiiil ; -- Begin function _ZL15flash_attn_tileILi128ELi128ELi32ELi1ELb0EEvPKcS1_S1_S1_S1_PKiPfP15HIP_vector_typeIfLj2EEffffjfiS5_IjLj3EEiiiiiiiiiiiliiliiiiil
	.p2align	8
	.type	_ZL15flash_attn_tileILi128ELi128ELi32ELi1ELb0EEvPKcS1_S1_S1_S1_PKiPfP15HIP_vector_typeIfLj2EEffffjfiS5_IjLj3EEiiiiiiiiiiiliiliiiiil,@function
_ZL15flash_attn_tileILi128ELi128ELi32ELi1ELb0EEvPKcS1_S1_S1_S1_PKiPfP15HIP_vector_typeIfLj2EEffffjfiS5_IjLj3EEiiiiiiiiiiiliiliiiiil: ; @_ZL15flash_attn_tileILi128ELi128ELi32ELi1ELb0EEvPKcS1_S1_S1_S1_PKiPfP15HIP_vector_typeIfLj2EEffffjfiS5_IjLj3EEiiiiiiiiiiiliiliiiiil
; %bb.0:
	s_load_dwordx4 s[24:27], s[0:1], 0x5c
	s_load_dwordx2 s[38:39], s[0:1], 0x80
	s_load_dwordx2 s[40:41], s[0:1], 0xb8
	s_mov_b64 s[36:37], 0
	s_waitcnt lgkmcnt(0)
	v_cvt_f32_u32_e32 v1, s27
	s_sub_i32 s5, 0, s27
	v_rcp_iflag_f32_e32 v1, v1
	s_nop 0
	v_mul_f32_e32 v1, 0x4f7ffffe, v1
	v_cvt_u32_f32_e32 v1, v1
	s_nop 0
	v_readfirstlane_b32 s6, v1
	s_mul_i32 s5, s5, s6
	s_mul_hi_u32 s5, s6, s5
	s_add_i32 s6, s6, s5
	s_mul_hi_u32 s5, s4, s6
	s_mul_i32 s6, s5, s27
	s_sub_i32 s6, s4, s6
	s_add_i32 s7, s5, 1
	s_sub_i32 s8, s6, s27
	s_cmp_ge_u32 s6, s27
	s_cselect_b32 s5, s7, s5
	s_cselect_b32 s6, s8, s6
	s_add_i32 s7, s5, 1
	s_cmp_ge_u32 s6, s27
	s_cselect_b32 s33, s7, s5
	s_abs_i32 s5, s39
	v_cvt_f32_u32_e32 v1, s5
	s_mul_i32 s8, s33, s27
	s_sub_i32 s9, 0, s5
	s_sub_i32 s34, s4, s8
	v_rcp_iflag_f32_e32 v1, v1
	s_abs_i32 s7, s27
	s_xor_b32 s6, s27, s39
	s_ashr_i32 s6, s6, 31
	v_mul_f32_e32 v1, 0x4f7ffffe, v1
	v_cvt_u32_f32_e32 v1, v1
	s_nop 0
	v_readfirstlane_b32 s4, v1
	s_mul_i32 s9, s9, s4
	s_mul_hi_u32 s8, s4, s9
	s_add_i32 s4, s4, s8
	s_mul_hi_u32 s4, s7, s4
	s_mul_i32 s8, s4, s5
	s_sub_i32 s7, s7, s8
	s_add_i32 s9, s4, 1
	s_sub_i32 s8, s7, s5
	s_cmp_ge_u32 s7, s5
	s_cselect_b32 s4, s9, s4
	s_cselect_b32 s7, s8, s7
	s_add_i32 s8, s4, 1
	s_cmp_ge_u32 s7, s5
	s_cselect_b32 s4, s8, s4
	s_xor_b32 s4, s4, s6
	s_sub_i32 s43, s4, s6
	s_abs_i32 s39, s43
	v_cvt_f32_u32_e32 v1, s39
	s_load_dwordx16 s[8:23], s[0:1], 0x0
	s_sub_i32 s4, 0, s39
	s_abs_i32 s42, s34
	v_rcp_iflag_f32_e32 v1, v1
	s_nop 0
	v_mul_f32_e32 v1, 0x4f7ffffe, v1
	v_cvt_u32_f32_e32 v1, v1
	s_nop 0
	v_readfirstlane_b32 s5, v1
	s_mul_i32 s4, s4, s5
	s_mul_hi_u32 s4, s5, s4
	s_add_i32 s4, s5, s4
	s_waitcnt lgkmcnt(0)
	s_cmp_eq_u64 s[14:15], 0
	s_cbranch_scc1 .LBB56_2
; %bb.1:
	s_abs_i32 s5, s40
	v_cvt_f32_u32_e32 v1, s5
	s_sub_i32 s30, 0, s5
	s_abs_i32 s29, s33
	s_ashr_i32 s28, s33, 31
	v_rcp_iflag_f32_e32 v1, v1
	s_load_dwordx2 s[6:7], s[0:1], 0xc8
	v_mul_f32_e32 v1, 0x4f7ffffe, v1
	v_cvt_u32_f32_e32 v1, v1
	s_nop 0
	v_readfirstlane_b32 s31, v1
	s_mul_i32 s30, s30, s31
	s_mul_hi_u32 s30, s31, s30
	s_add_i32 s31, s31, s30
	s_mul_hi_u32 s30, s29, s31
	s_mul_i32 s30, s30, s5
	s_sub_i32 s29, s29, s30
	s_sub_i32 s30, s29, s5
	s_cmp_ge_u32 s29, s5
	s_cselect_b32 s29, s30, s29
	s_sub_i32 s30, s29, s5
	s_cmp_ge_u32 s29, s5
	s_cselect_b32 s5, s30, s29
	s_xor_b32 s5, s5, s28
	s_sub_i32 s5, s5, s28
	s_ashr_i32 s28, s5, 31
	s_waitcnt lgkmcnt(0)
	s_mul_hi_u32 s29, s6, s5
	s_mul_i32 s28, s6, s28
	s_mul_i32 s7, s7, s5
	s_add_i32 s28, s29, s28
	s_add_i32 s28, s28, s7
	s_mul_i32 s5, s6, s5
	s_add_u32 s36, s14, s5
	s_addc_u32 s37, s15, s28
.LBB56_2:
	s_load_dwordx4 s[28:31], s[0:1], 0x40
	s_mul_hi_u32 s15, s42, s4
	s_load_dword s4, s[0:1], 0x50
	v_mov_b32_e32 v43, 1.0
	s_waitcnt lgkmcnt(0)
	v_cmp_le_f32_e64 s[6:7], s29, 0
	s_and_b64 vcc, exec, s[6:7]
	s_cbranch_vccnz .LBB56_4
; %bb.3:
	v_mov_b32_e32 v1, s4
	v_sub_co_u32_e32 v1, vcc, s34, v1
	v_mov_b32_e32 v2, s31
	v_mov_b32_e32 v3, s30
	s_add_i32 s4, s34, 1
	v_lshlrev_b32_e32 v1, 1, v1
	v_cndmask_b32_e32 v2, v2, v3, vcc
	v_or_b32_e32 v1, 1, v1
	v_mov_b32_e32 v3, s4
	v_cndmask_b32_e32 v1, v1, v3, vcc
	v_cvt_f32_i32_e32 v1, v1
	v_cmp_neq_f32_e32 vcc, 1.0, v2
	s_mov_b32 s4, 0x3f2aaaab
	s_movk_i32 s6, 0x204
	v_cndmask_b32_e32 v1, 1.0, v1, vcc
	v_cmp_neq_f32_e32 vcc, 0, v1
	s_mov_b32 s5, 0x42b17218
	s_mov_b32 s7, 0x3fb8aa3b
	v_cndmask_b32_e32 v18, 1.0, v2, vcc
	v_frexp_mant_f32_e64 v2, |v18|
	v_cmp_gt_f32_e32 vcc, s4, v2
	s_mov_b32 s4, 0x3f317218
	s_brev_b32 s14, -2
	v_cndmask_b32_e64 v3, 1.0, 2.0, vcc
	v_mul_f32_e32 v2, v2, v3
	v_add_f32_e32 v5, 1.0, v2
	v_rcp_f32_e32 v10, v5
	v_add_f32_e32 v3, -1.0, v5
	v_sub_f32_e32 v7, v2, v3
	v_add_f32_e32 v3, -1.0, v2
	v_mul_f32_e32 v11, v3, v10
	v_mul_f32_e32 v4, v5, v11
	v_fma_f32 v6, v11, v5, -v4
	v_fmac_f32_e32 v6, v11, v7
	v_add_f32_e32 v2, v4, v6
	v_sub_f32_e32 v5, v3, v2
	v_pk_add_f32 v[8:9], v[2:3], v[4:5] neg_lo:[0,1] neg_hi:[0,1]
	v_mov_b32_e32 v7, v2
	v_pk_add_f32 v[2:3], v[8:9], v[6:7] neg_lo:[0,1] neg_hi:[0,1]
	v_mov_b32_e32 v6, 0x3e91f4c4
	v_add_f32_e32 v2, v2, v3
	v_add_f32_e32 v2, v5, v2
	v_mul_f32_e32 v3, v10, v2
	v_add_f32_e32 v2, v11, v3
	v_sub_f32_e32 v4, v2, v11
	v_sub_f32_e32 v12, v3, v4
	v_mul_f32_e32 v3, v2, v2
	v_fma_f32 v5, v2, v2, -v3
	v_add_f32_e32 v4, v12, v12
	v_fmac_f32_e32 v5, v2, v4
	v_add_f32_e32 v4, v3, v5
	v_fmac_f32_e32 v6, 0x3e76c4e1, v4
	v_fmaak_f32 v6, v4, v6, 0x3ecccdef
	v_sub_f32_e32 v3, v4, v3
	v_sub_f32_e32 v13, v5, v3
	v_mul_f32_e32 v3, v4, v6
	v_fma_f32 v5, v4, v6, -v3
	v_fmac_f32_e32 v5, v13, v6
	v_add_f32_e32 v6, v3, v5
	v_add_f32_e32 v7, 0x3f2aaaaa, v6
	v_sub_f32_e32 v3, v6, v3
	v_sub_f32_e32 v3, v5, v3
	v_add_f32_e32 v5, 0xbf2aaaaa, v7
	v_add_f32_e32 v3, 0x31739010, v3
	v_sub_f32_e32 v5, v6, v5
	v_pk_mul_f32 v[8:9], v[2:3], v[4:5]
	v_pk_add_f32 v[10:11], v[2:3], v[4:5]
	v_fma_f32 v6, v4, v2, -v8
	v_fmac_f32_e32 v6, v4, v12
	v_mov_b32_e32 v9, v11
	v_fmac_f32_e32 v6, v13, v2
	v_pk_add_f32 v[4:5], v[8:9], v[6:7]
	v_ldexp_f32 v14, v12, 1
	v_sub_f32_e32 v3, v4, v8
	v_sub_f32_e32 v3, v6, v3
	;; [unrolled: 1-line block ×3, first 2 shown]
	v_add_f32_e32 v9, v11, v6
	v_pk_mul_f32 v[6:7], v[4:5], v[4:5] op_sel:[0,1] op_sel_hi:[1,0]
	v_cvt_f64_f32_e64 v[10:11], |v18|
	v_frexp_exp_i32_f64_e32 v7, v[10:11]
	v_subbrev_co_u32_e32 v7, vcc, 0, v7, vcc
	v_cvt_f32_i32_e32 v7, v7
	v_fma_f32 v8, v4, v5, -v6
	v_fmac_f32_e32 v8, v4, v9
	v_fmac_f32_e32 v8, v3, v5
	v_mul_f32_e32 v4, 0x3f317218, v7
	v_fma_f32 v3, v7, s4, -v4
	v_fmamk_f32 v10, v7, 0xb102e308, v3
	v_ldexp_f32 v11, v2, 1
	v_add_f32_e32 v5, v6, v8
	v_pk_add_f32 v[2:3], v[4:5], v[10:11]
	v_mov_b32_e32 v12, v5
	v_mov_b32_e32 v13, v3
	;; [unrolled: 1-line block ×3, first 2 shown]
	v_pk_add_f32 v[6:7], v[12:13], v[6:7] neg_lo:[0,1] neg_hi:[0,1]
	v_mov_b32_e32 v9, v5
	v_pk_add_f32 v[6:7], v[8:9], v[6:7] neg_lo:[0,1] neg_hi:[0,1]
	v_mov_b32_e32 v11, v2
	v_add_f32_e32 v5, v14, v6
	v_add_f32_e32 v5, v5, v7
	v_pk_add_f32 v[6:7], v[2:3], v[4:5] neg_lo:[0,1] neg_hi:[0,1]
	v_pk_add_f32 v[8:9], v[2:3], v[4:5]
	v_mov_b32_e32 v16, v3
	v_mov_b32_e32 v7, v9
	v_pk_add_f32 v[12:13], v[10:11], v[6:7] neg_lo:[0,1] neg_hi:[0,1]
	v_pk_add_f32 v[6:7], v[10:11], v[6:7]
	v_mov_b32_e32 v4, v5
	v_pk_add_f32 v[10:11], v[6:7], v[2:3] op_sel:[1,0] op_sel_hi:[0,1] neg_lo:[0,1] neg_hi:[0,1]
	v_pk_add_f32 v[14:15], v[8:9], v[10:11] op_sel_hi:[1,0] neg_lo:[0,1] neg_hi:[0,1]
	v_mov_b32_e32 v8, v9
	v_mov_b32_e32 v9, v7
	;; [unrolled: 1-line block ×3, first 2 shown]
	v_pk_add_f32 v[8:9], v[8:9], v[16:17] neg_lo:[0,1] neg_hi:[0,1]
	v_mov_b32_e32 v5, v2
	v_pk_add_f32 v[2:3], v[4:5], v[8:9] neg_lo:[0,1] neg_hi:[0,1]
	v_mov_b32_e32 v14, v12
	v_pk_add_f32 v[4:5], v[14:15], v[2:3]
	v_mov_b32_e32 v13, v7
	v_pk_add_f32 v[8:9], v[4:5], v[4:5] op_sel:[0,1] op_sel_hi:[1,0]
	s_mov_b32 s4, 0x7f800000
	v_pk_add_f32 v[6:7], v[6:7], v[8:9] op_sel:[1,0] op_sel_hi:[0,1]
	v_mov_b32_e32 v5, v6
	v_pk_add_f32 v[10:11], v[4:5], v[12:13] neg_lo:[0,1] neg_hi:[0,1]
	v_mov_b32_e32 v3, v8
	v_sub_f32_e32 v4, v4, v10
	v_pk_add_f32 v[2:3], v[2:3], v[10:11] neg_lo:[0,1] neg_hi:[0,1]
	v_sub_f32_e32 v4, v12, v4
	v_add_f32_e32 v2, v2, v4
	v_add_f32_e32 v2, v2, v3
	;; [unrolled: 1-line block ×3, first 2 shown]
	v_sub_f32_e32 v4, v3, v6
	v_sub_f32_e32 v2, v2, v4
	v_mul_f32_e32 v4, v1, v3
	v_fma_f32 v3, v1, v3, -v4
	v_fmac_f32_e32 v3, v1, v2
	v_add_f32_e32 v2, v4, v3
	v_cmp_class_f32_e64 vcc, v4, s6
	v_sub_f32_e32 v5, v2, v4
	v_sub_f32_e32 v3, v3, v5
	v_cndmask_b32_e32 v2, v2, v4, vcc
	v_mov_b32_e32 v4, 0x37000000
	v_cmp_eq_f32_e32 vcc, s5, v2
	v_cmp_class_f32_e64 s[30:31], v18, s6
	s_nop 0
	v_cndmask_b32_e32 v4, 0, v4, vcc
	v_sub_f32_e32 v5, v2, v4
	v_mul_f32_e32 v6, 0x3fb8aa3b, v5
	v_fma_f32 v7, v5, s7, -v6
	v_rndne_f32_e32 v8, v6
	v_fmamk_f32 v7, v5, 0x32a5705f, v7
	v_sub_f32_e32 v6, v6, v8
	v_add_f32_e32 v6, v6, v7
	v_exp_f32_e32 v6, v6
	v_cvt_i32_f32_e32 v7, v8
	v_cmp_neq_f32_e64 vcc, |v2|, s4
	s_mov_b32 s4, 0xc2ce8ed0
	s_nop 0
	v_cndmask_b32_e32 v2, 0, v3, vcc
	v_ldexp_f32 v3, v6, v7
	v_cmp_ngt_f32_e32 vcc, s4, v5
	v_add_f32_e32 v2, v4, v2
	v_mov_b32_e32 v4, 0x7f800000
	v_cndmask_b32_e32 v3, 0, v3, vcc
	v_cmp_nlt_f32_e32 vcc, s5, v5
	v_mov_b32_e32 v5, 0x7fc00000
	s_nop 0
	v_cndmask_b32_e32 v3, v4, v3, vcc
	v_fma_f32 v2, v3, v2, v3
	v_cmp_class_f32_e64 vcc, v3, s6
	v_cmp_gt_f32_e64 s[6:7], 0, v1
	s_nop 0
	v_cndmask_b32_e32 v2, v2, v3, vcc
	v_trunc_f32_e32 v3, v1
	v_cmp_eq_f32_e32 vcc, v3, v1
	v_mul_f32_e32 v3, 0.5, v1
	v_trunc_f32_e32 v6, v3
	v_cmp_neq_f32_e64 s[4:5], v6, v3
	s_and_b64 s[4:5], vcc, s[4:5]
	s_nop 0
	v_cndmask_b32_e64 v3, 1.0, v18, s[4:5]
	v_bfi_b32 v2, s14, v2, v3
	v_cndmask_b32_e32 v3, v5, v2, vcc
	v_cmp_gt_f32_e32 vcc, 0, v18
	s_nop 1
	v_cndmask_b32_e32 v2, v2, v3, vcc
	v_cmp_eq_f32_e32 vcc, 0, v18
	s_xor_b64 s[6:7], s[6:7], vcc
	v_cndmask_b32_e64 v1, v4, 0, s[6:7]
	v_cndmask_b32_e64 v3, 0, v18, s[4:5]
	v_bfi_b32 v1, s14, v1, v3
	s_or_b64 vcc, vcc, s[30:31]
	v_cndmask_b32_e32 v1, v2, v1, vcc
	v_cmp_o_f32_e32 vcc, v18, v18
	s_nop 1
	v_cndmask_b32_e32 v43, v5, v1, vcc
.LBB56_4:
	s_load_dwordx4 s[44:47], s[0:1], 0x70
	v_bfe_u32 v23, v0, 10, 10
	v_lshlrev_b32_e32 v38, 2, v23
	s_lshl_b32 s14, s2, 5
	v_or_b32_e32 v36, 1, v38
	s_waitcnt lgkmcnt(0)
	s_mul_i32 s4, s33, s46
	s_ashr_i32 s35, s34, 31
	s_ashr_i32 s6, s43, 31
	;; [unrolled: 1-line block ×3, first 2 shown]
	v_add_u32_e32 v39, s14, v36
	s_mul_i32 s5, s34, s45
	s_add_u32 s4, s8, s4
	v_mul_hi_u32 v1, v39, s24
	s_addc_u32 s7, s9, s7
	s_ashr_i32 s9, s5, 31
	v_add_u32_e32 v40, s14, v38
	v_add_u32_e32 v1, v39, v1
	s_add_u32 s8, s4, s5
	v_and_b32_e32 v20, 0x3ff, v0
	v_mul_hi_u32 v0, v40, s24
	v_lshrrev_b32_e32 v1, s25, v1
	s_addc_u32 s9, s7, s9
	s_ashr_i32 s45, s44, 31
	v_add_u32_e32 v0, v40, v0
	v_mul_lo_u32 v1, v1, s26
	s_lshr_b64 s[4:5], s[44:45], 2
	v_lshlrev_b32_e32 v10, 4, v20
	v_mov_b32_e32 v11, 0
	v_lshrrev_b32_e32 v0, s25, v0
	v_sub_u32_e32 v1, v39, v1
	v_lshl_add_u64 v[16:17], s[8:9], 0, v[10:11]
	v_mul_lo_u32 v0, v0, s26
	v_mad_u64_u32 v[6:7], s[8:9], s4, v1, 0
	v_or_b32_e32 v34, 2, v38
	v_sub_u32_e32 v0, v40, v0
	s_lshr_b32 s7, s45, 2
	v_mov_b32_e32 v8, v7
	v_add_u32_e32 v35, s14, v34
	v_mad_u64_u32 v[2:3], s[8:9], s4, v0, 0
	v_mad_u64_u32 v[8:9], s[8:9], s7, v1, v[8:9]
	v_mul_hi_u32 v1, v35, s24
	v_mov_b32_e32 v4, v3
	v_add_u32_e32 v1, v35, v1
	v_mad_u64_u32 v[4:5], s[8:9], s7, v0, v[4:5]
	v_lshrrev_b32_e32 v1, s25, v1
	v_mov_b32_e32 v3, v4
	v_mul_lo_u32 v1, v1, s26
	v_lshl_add_u64 v[2:3], v[2:3], 2, v[16:17]
	v_sub_u32_e32 v1, v35, v1
	global_load_dwordx4 v[2:5], v[2:3], off
	v_mad_u64_u32 v[12:13], s[8:9], s4, v1, 0
	v_or_b32_e32 v32, 3, v38
	v_mov_b32_e32 v7, v8
	v_mov_b32_e32 v10, v13
	v_add_u32_e32 v33, s14, v32
	v_lshl_add_u64 v[6:7], v[6:7], 2, v[16:17]
	v_mad_u64_u32 v[14:15], s[8:9], s7, v1, v[10:11]
	v_mul_hi_u32 v1, v33, s24
	global_load_dwordx4 v[6:9], v[6:7], off
	v_add_u32_e32 v1, v33, v1
	v_lshrrev_b32_e32 v1, s25, v1
	v_mov_b32_e32 v13, v14
	v_mul_lo_u32 v1, v1, s26
	v_lshl_add_u64 v[12:13], v[12:13], 2, v[16:17]
	v_sub_u32_e32 v1, v33, v1
	global_load_dwordx4 v[12:15], v[12:13], off
	v_mad_u64_u32 v[18:19], s[4:5], s4, v1, 0
	v_mov_b32_e32 v10, v19
	v_mad_u64_u32 v[24:25], s[4:5], s7, v1, v[10:11]
	v_mov_b32_e32 v19, v24
	v_lshl_add_u64 v[16:17], v[18:19], 2, v[16:17]
	global_load_dwordx4 v[16:19], v[16:17], off
	v_lshlrev_b32_e32 v41, 3, v20
	v_lshlrev_b32_e32 v21, 10, v23
	v_add_u32_e32 v1, 0x2400, v41
	v_add_u32_e32 v10, v1, v21
	s_cmp_eq_u64 s[18:19], 0
	s_waitcnt vmcnt(3)
	v_fma_mixlo_f16 v2, s28, v2, 0
	v_fma_mixlo_f16 v3, s28, v3, 0
	;; [unrolled: 1-line block ×4, first 2 shown]
	v_lshlrev_b32_e32 v3, 16, v3
	v_and_b32_e32 v2, 0xffff, v2
	v_lshlrev_b32_e32 v5, 16, v5
	v_and_b32_e32 v4, 0xffff, v4
	v_or_b32_e32 v2, v3, v2
	v_or3_b32 v3, v5, v4, 0
	v_or3_b32 v2, 0, 0, v2
	s_waitcnt vmcnt(2)
	v_fma_mixlo_f16 v6, s28, v6, 0
	v_fma_mixlo_f16 v7, s28, v7, 0
	;; [unrolled: 1-line block ×3, first 2 shown]
	v_lshlrev_b32_e32 v7, 16, v7
	v_and_b32_e32 v6, 0xffff, v6
	ds_write_b64 v10, v[2:3]
	v_fma_mixlo_f16 v2, s28, v9, 0
	v_or_b32_e32 v4, v7, v6
	v_lshlrev_b32_e32 v2, 16, v2
	v_and_b32_e32 v3, 0xffff, v8
	v_lshl_add_u32 v5, v36, 8, v1
	v_or3_b32 v3, v2, v3, 0
	v_or3_b32 v2, 0, 0, v4
	ds_write_b64 v5, v[2:3]
	s_waitcnt vmcnt(1)
	v_fma_mixlo_f16 v2, s28, v12, 0
	v_fma_mixlo_f16 v3, s28, v13, 0
	v_lshlrev_b32_e32 v3, 16, v3
	v_and_b32_e32 v2, 0xffff, v2
	v_or_b32_e32 v2, v3, v2
	v_fma_mixlo_f16 v3, s28, v14, 0
	v_fma_mixlo_f16 v4, s28, v15, 0
	v_lshlrev_b32_e32 v4, 16, v4
	v_and_b32_e32 v3, 0xffff, v3
	v_lshl_add_u32 v5, v34, 8, v1
	v_or3_b32 v3, v4, v3, 0
	v_or3_b32 v2, 0, 0, v2
	ds_write_b64 v5, v[2:3]
	s_waitcnt vmcnt(0)
	v_fma_mixlo_f16 v2, s28, v16, 0
	v_fma_mixlo_f16 v3, s28, v17, 0
	v_lshlrev_b32_e32 v3, 16, v3
	v_and_b32_e32 v2, 0xffff, v2
	v_or_b32_e32 v2, v3, v2
	v_fma_mixlo_f16 v3, s28, v18, 0
	v_fma_mixlo_f16 v4, s28, v19, 0
	v_lshlrev_b32_e32 v4, 16, v4
	v_and_b32_e32 v3, 0xffff, v3
	v_lshl_add_u32 v1, v32, 8, v1
	v_or3_b32 v3, v4, v3, 0
	v_or3_b32 v2, 0, 0, v2
	ds_write_b64 v1, v[2:3]
	s_waitcnt lgkmcnt(0)
	s_barrier
	s_cbranch_scc1 .LBB56_6
; %bb.5:
	s_load_dword s4, s[0:1], 0xd0
	s_mov_b32 s5, 0
	s_waitcnt lgkmcnt(0)
	s_mul_i32 s4, s4, s33
	s_add_i32 s4, s4, s2
	s_lshl_b64 s[4:5], s[4:5], 2
	s_add_u32 s4, s18, s4
	s_addc_u32 s5, s19, s5
	s_load_dword s38, s[4:5], 0x0
.LBB56_6:
	s_nop 0
	s_load_dwordx2 s[4:5], s[0:1], 0x8c
	s_load_dwordx4 s[28:31], s[0:1], 0x98
	s_ashr_i32 s18, s41, 1
	s_load_dwordx2 s[44:45], s[0:1], 0xa8
	v_lshlrev_b32_e32 v37, 2, v20
	s_waitcnt lgkmcnt(0)
	s_ashr_i32 s8, s4, 2
	s_ashr_i32 s4, s33, 31
	s_mul_hi_u32 s7, s28, s33
	s_mul_i32 s9, s28, s4
	s_add_i32 s7, s7, s9
	s_mul_i32 s9, s29, s33
	s_ashr_i32 s2, s30, 2
	s_add_i32 s7, s7, s9
	s_mul_i32 s9, s28, s33
	s_add_u32 s9, s10, s9
	s_mul_i32 s10, s15, s39
	s_addc_u32 s7, s11, s7
	s_sub_i32 s10, s42, s10
	s_xor_b32 s6, s35, s6
	s_add_i32 s11, s15, 1
	s_sub_i32 s19, s10, s39
	s_cmp_ge_u32 s10, s39
	s_cselect_b32 s11, s11, s15
	s_cselect_b32 s10, s19, s10
	s_add_i32 s15, s11, 1
	s_cmp_ge_u32 s10, s39
	s_cselect_b32 s10, s15, s11
	s_xor_b32 s10, s10, s6
	s_sub_i32 s6, s10, s6
	s_mul_i32 s5, s6, s5
	s_ashr_i32 s10, s5, 31
	s_add_u32 s9, s9, s5
	s_mul_hi_u32 s5, s44, s33
	s_mul_i32 s4, s44, s4
	s_addc_u32 s10, s7, s10
	s_add_i32 s4, s5, s4
	s_mul_i32 s5, s45, s33
	s_add_i32 s4, s4, s5
	s_mul_i32 s5, s44, s33
	s_add_u32 s5, s12, s5
	s_mul_i32 s6, s6, s31
	s_addc_u32 s4, s13, s4
	s_ashr_i32 s7, s6, 31
	s_add_u32 s12, s5, s6
	s_addc_u32 s13, s4, s7
	s_lshl_b32 s15, s3, 6
	s_sub_i32 s11, s38, 64
	s_cmp_ge_i32 s15, s11
	v_mul_lo_u32 v55, v0, s18
	v_lshrrev_b32_e32 v1, 3, v20
	v_and_b32_e32 v0, 28, v37
	v_or_b32_e32 v51, 1, v40
	v_or_b32_e32 v47, 2, v40
	;; [unrolled: 1-line block ×3, first 2 shown]
	v_lshrrev_b32_e32 v42, 4, v20
	v_and_b32_e32 v22, 60, v37
	v_mbcnt_lo_u32_b32 v53, -1, 0
	s_cbranch_scc1 .LBB56_27
; %bb.7:
	v_add_u32_e32 v2, v1, v38
	v_lshlrev_b32_e32 v4, 2, v0
	s_movk_i32 s4, 0x90
	v_mad_u32_u24 v56, v2, s4, v4
	v_mul_lo_u32 v4, s8, v2
	v_mul_hi_u32 v2, s24, v51
	v_add_u32_e32 v2, v51, v2
	v_lshrrev_b32_e32 v2, s25, v2
	v_mul_lo_u32 v2, v2, s26
	v_sub_u32_e32 v2, v51, v2
	v_mul_lo_u32 v60, v2, s18
	v_mul_hi_u32 v2, s24, v47
	v_add_u32_e32 v2, v47, v2
	v_lshrrev_b32_e32 v2, s25, v2
	v_mul_lo_u32 v2, v2, s26
	v_sub_u32_e32 v2, v47, v2
	;; [unrolled: 6-line block ×3, first 2 shown]
	v_mul_lo_u32 v62, v2, s18
	v_mov_b32_e32 v2, 0x4400
	v_lshl_add_u32 v63, v23, 9, v2
	v_lshl_add_u32 v2, v23, 1, v42
	v_lshlrev_b32_e32 v8, 2, v22
	s_cmp_lg_u64 s[36:37], 0
	v_lshl_or_b32 v64, v2, 8, v8
	v_mul_lo_u32 v8, s2, v2
	s_cselect_b64 s[4:5], -1, 0
	v_lshl_add_u32 v10, s2, 4, v8
	v_mov_b32_e32 v3, 0
	v_lshl_add_u32 v6, s8, 5, v4
	v_ashrrev_i32_e32 v9, 31, v8
	v_ashrrev_i32_e32 v11, 31, v10
	s_add_u32 s6, s0, 0xd0
	v_cndmask_b32_e64 v12, 0, 1, s[4:5]
	v_ashrrev_i32_e32 v5, 31, v4
	v_add_u32_e32 v57, 0x1200, v56
	v_ashrrev_i32_e32 v7, 31, v6
	v_add_u32_e32 v58, 0x2400, v21
	v_mul_u32_u24_e32 v59, 0x90, v20
	v_add_u32_e32 v65, 0x1000, v64
	s_addc_u32 s7, s1, 0
	v_mov_b32_e32 v26, 0xfeffffff
	v_lshlrev_b32_e32 v16, 2, v0
	v_mov_b32_e32 v17, v3
	s_mov_b32 s19, 0x3fb8aa3b
	s_mov_b32 s28, 0xc2ce8ed0
	;; [unrolled: 1-line block ×4, first 2 shown]
	v_lshlrev_b64 v[18:19], 2, v[8:9]
	v_lshlrev_b32_e32 v2, 2, v22
	v_lshlrev_b64 v[24:25], 2, v[10:11]
	v_cmp_ne_u32_e64 s[4:5], 1, v12
	v_mbcnt_hi_u32_b32 v66, -1, v53
	v_mov_b32_e32 v67, 0x7f800000
	v_mov_b32_e32 v46, v3
	;; [unrolled: 1-line block ×16, first 2 shown]
.LBB56_8:                               ; =>This Inner Loop Header: Depth=1
	s_mul_hi_i32 s41, s15, s8
	s_mul_i32 s40, s15, s8
	s_lshl_b64 s[40:41], s[40:41], 2
	s_add_u32 s40, s9, s40
	s_addc_u32 s41, s10, s41
	v_lshl_add_u64 v[12:13], v[4:5], 2, s[40:41]
	v_lshl_add_u64 v[12:13], v[12:13], 0, v[16:17]
	;; [unrolled: 1-line block ×4, first 2 shown]
	global_load_dwordx4 v[76:79], v[12:13], off
	global_load_dwordx4 v[80:83], v[14:15], off
	v_mov_b32_e32 v73, 0
	v_mov_b32_e32 v70, 0
	;; [unrolled: 1-line block ×8, first 2 shown]
	s_and_b64 vcc, exec, s[4:5]
	s_waitcnt vmcnt(1)
	ds_write_b128 v56, v[76:79]
	s_waitcnt vmcnt(0)
	ds_write_b128 v57, v[80:83]
	s_waitcnt lgkmcnt(0)
	s_barrier
	ds_read_b128 v[76:79], v58
	ds_read_b128 v[80:83], v59
	ds_read_b128 v[84:87], v59 offset:4608
	ds_read_b128 v[88:91], v58 offset:256
	ds_read_b128 v[92:95], v58 offset:512
	ds_read_b128 v[96:99], v58 offset:768
	s_waitcnt lgkmcnt(4)
	;;#ASMSTART
	v_dot2_f32_f16 v73, v80, v76, v73
	;;#ASMEND
	s_nop 0
	;;#ASMSTART
	v_dot2_f32_f16 v73, v81, v77, v73
	;;#ASMEND
	s_nop 0
	;;#ASMSTART
	v_dot2_f32_f16 v73, v82, v78, v73
	;;#ASMEND
	s_nop 0
	;;#ASMSTART
	v_dot2_f32_f16 v73, v83, v79, v73
	;;#ASMEND
	s_waitcnt lgkmcnt(2)
	;;#ASMSTART
	v_dot2_f32_f16 v70, v80, v88, v70
	;;#ASMEND
	s_nop 0
	;;#ASMSTART
	v_dot2_f32_f16 v70, v81, v89, v70
	;;#ASMEND
	s_nop 0
	;;#ASMSTART
	v_dot2_f32_f16 v70, v82, v90, v70
	;;#ASMEND
	s_nop 0
	;;#ASMSTART
	v_dot2_f32_f16 v70, v83, v91, v70
	;;#ASMEND
	;; [unrolled: 16-line block ×4, first 2 shown]
	;;#ASMSTART
	v_dot2_f32_f16 v74, v84, v76, v74
	;;#ASMEND
	s_nop 0
	;;#ASMSTART
	v_dot2_f32_f16 v74, v85, v77, v74
	;;#ASMEND
	s_nop 0
	;;#ASMSTART
	v_dot2_f32_f16 v74, v86, v78, v74
	;;#ASMEND
	s_nop 0
	;;#ASMSTART
	v_dot2_f32_f16 v74, v87, v79, v74
	;;#ASMEND
	;;#ASMSTART
	v_dot2_f32_f16 v72, v84, v88, v72
	;;#ASMEND
	s_nop 0
	;;#ASMSTART
	v_dot2_f32_f16 v72, v85, v89, v72
	;;#ASMEND
	s_nop 0
	;;#ASMSTART
	v_dot2_f32_f16 v72, v86, v90, v72
	;;#ASMEND
	s_nop 0
	;;#ASMSTART
	v_dot2_f32_f16 v72, v87, v91, v72
	;;#ASMEND
	;; [unrolled: 15-line block ×4, first 2 shown]
	ds_read_b128 v[76:79], v58 offset:16
	ds_read_b128 v[80:83], v59 offset:16
	;; [unrolled: 1-line block ×6, first 2 shown]
	s_waitcnt lgkmcnt(4)
	;;#ASMSTART
	v_dot2_f32_f16 v73, v80, v76, v73
	;;#ASMEND
	s_nop 0
	;;#ASMSTART
	v_dot2_f32_f16 v73, v81, v77, v73
	;;#ASMEND
	s_nop 0
	;;#ASMSTART
	v_dot2_f32_f16 v73, v82, v78, v73
	;;#ASMEND
	s_nop 0
	;;#ASMSTART
	v_dot2_f32_f16 v73, v83, v79, v73
	;;#ASMEND
	s_waitcnt lgkmcnt(2)
	;;#ASMSTART
	v_dot2_f32_f16 v70, v80, v88, v70
	;;#ASMEND
	s_nop 0
	;;#ASMSTART
	v_dot2_f32_f16 v70, v81, v89, v70
	;;#ASMEND
	s_nop 0
	;;#ASMSTART
	v_dot2_f32_f16 v70, v82, v90, v70
	;;#ASMEND
	s_nop 0
	;;#ASMSTART
	v_dot2_f32_f16 v70, v83, v91, v70
	;;#ASMEND
	;; [unrolled: 16-line block ×4, first 2 shown]
	;;#ASMSTART
	v_dot2_f32_f16 v74, v84, v76, v74
	;;#ASMEND
	s_nop 0
	;;#ASMSTART
	v_dot2_f32_f16 v74, v85, v77, v74
	;;#ASMEND
	s_nop 0
	;;#ASMSTART
	v_dot2_f32_f16 v74, v86, v78, v74
	;;#ASMEND
	s_nop 0
	;;#ASMSTART
	v_dot2_f32_f16 v74, v87, v79, v74
	;;#ASMEND
	;;#ASMSTART
	v_dot2_f32_f16 v72, v84, v88, v72
	;;#ASMEND
	s_nop 0
	;;#ASMSTART
	v_dot2_f32_f16 v72, v85, v89, v72
	;;#ASMEND
	s_nop 0
	;;#ASMSTART
	v_dot2_f32_f16 v72, v86, v90, v72
	;;#ASMEND
	s_nop 0
	;;#ASMSTART
	v_dot2_f32_f16 v72, v87, v91, v72
	;;#ASMEND
	;; [unrolled: 15-line block ×4, first 2 shown]
	ds_read_b128 v[76:79], v58 offset:32
	ds_read_b128 v[80:83], v59 offset:32
	;; [unrolled: 1-line block ×6, first 2 shown]
	s_waitcnt lgkmcnt(4)
	;;#ASMSTART
	v_dot2_f32_f16 v73, v80, v76, v73
	;;#ASMEND
	s_nop 0
	;;#ASMSTART
	v_dot2_f32_f16 v73, v81, v77, v73
	;;#ASMEND
	s_nop 0
	;;#ASMSTART
	v_dot2_f32_f16 v73, v82, v78, v73
	;;#ASMEND
	s_nop 0
	;;#ASMSTART
	v_dot2_f32_f16 v73, v83, v79, v73
	;;#ASMEND
	s_waitcnt lgkmcnt(2)
	;;#ASMSTART
	v_dot2_f32_f16 v70, v80, v88, v70
	;;#ASMEND
	s_nop 0
	;;#ASMSTART
	v_dot2_f32_f16 v70, v81, v89, v70
	;;#ASMEND
	s_nop 0
	;;#ASMSTART
	v_dot2_f32_f16 v70, v82, v90, v70
	;;#ASMEND
	s_nop 0
	;;#ASMSTART
	v_dot2_f32_f16 v70, v83, v91, v70
	;;#ASMEND
	;; [unrolled: 16-line block ×4, first 2 shown]
	;;#ASMSTART
	v_dot2_f32_f16 v74, v84, v76, v74
	;;#ASMEND
	s_nop 0
	;;#ASMSTART
	v_dot2_f32_f16 v74, v85, v77, v74
	;;#ASMEND
	s_nop 0
	;;#ASMSTART
	v_dot2_f32_f16 v74, v86, v78, v74
	;;#ASMEND
	s_nop 0
	;;#ASMSTART
	v_dot2_f32_f16 v74, v87, v79, v74
	;;#ASMEND
	;;#ASMSTART
	v_dot2_f32_f16 v72, v84, v88, v72
	;;#ASMEND
	s_nop 0
	;;#ASMSTART
	v_dot2_f32_f16 v72, v85, v89, v72
	;;#ASMEND
	s_nop 0
	;;#ASMSTART
	v_dot2_f32_f16 v72, v86, v90, v72
	;;#ASMEND
	s_nop 0
	;;#ASMSTART
	v_dot2_f32_f16 v72, v87, v91, v72
	;;#ASMEND
	;; [unrolled: 15-line block ×4, first 2 shown]
	ds_read_b128 v[76:79], v58 offset:48
	ds_read_b128 v[80:83], v59 offset:48
	;; [unrolled: 1-line block ×6, first 2 shown]
	s_waitcnt lgkmcnt(4)
	;;#ASMSTART
	v_dot2_f32_f16 v73, v80, v76, v73
	;;#ASMEND
	s_nop 0
	;;#ASMSTART
	v_dot2_f32_f16 v73, v81, v77, v73
	;;#ASMEND
	s_nop 0
	;;#ASMSTART
	v_dot2_f32_f16 v73, v82, v78, v73
	;;#ASMEND
	s_nop 0
	;;#ASMSTART
	v_dot2_f32_f16 v73, v83, v79, v73
	;;#ASMEND
	s_waitcnt lgkmcnt(2)
	;;#ASMSTART
	v_dot2_f32_f16 v70, v80, v88, v70
	;;#ASMEND
	s_nop 0
	;;#ASMSTART
	v_dot2_f32_f16 v70, v81, v89, v70
	;;#ASMEND
	s_nop 0
	;;#ASMSTART
	v_dot2_f32_f16 v70, v82, v90, v70
	;;#ASMEND
	s_nop 0
	;;#ASMSTART
	v_dot2_f32_f16 v70, v83, v91, v70
	;;#ASMEND
	;; [unrolled: 16-line block ×4, first 2 shown]
	;;#ASMSTART
	v_dot2_f32_f16 v74, v84, v76, v74
	;;#ASMEND
	s_nop 0
	;;#ASMSTART
	v_dot2_f32_f16 v74, v85, v77, v74
	;;#ASMEND
	s_nop 0
	;;#ASMSTART
	v_dot2_f32_f16 v74, v86, v78, v74
	;;#ASMEND
	s_nop 0
	;;#ASMSTART
	v_dot2_f32_f16 v74, v87, v79, v74
	;;#ASMEND
	;;#ASMSTART
	v_dot2_f32_f16 v72, v84, v88, v72
	;;#ASMEND
	s_nop 0
	;;#ASMSTART
	v_dot2_f32_f16 v72, v85, v89, v72
	;;#ASMEND
	s_nop 0
	;;#ASMSTART
	v_dot2_f32_f16 v72, v86, v90, v72
	;;#ASMEND
	s_nop 0
	;;#ASMSTART
	v_dot2_f32_f16 v72, v87, v91, v72
	;;#ASMEND
	;; [unrolled: 15-line block ×4, first 2 shown]
	ds_read_b128 v[76:79], v58 offset:64
	ds_read_b128 v[80:83], v59 offset:64
	;; [unrolled: 1-line block ×6, first 2 shown]
	s_waitcnt lgkmcnt(4)
	;;#ASMSTART
	v_dot2_f32_f16 v73, v80, v76, v73
	;;#ASMEND
	s_nop 0
	;;#ASMSTART
	v_dot2_f32_f16 v73, v81, v77, v73
	;;#ASMEND
	s_nop 0
	;;#ASMSTART
	v_dot2_f32_f16 v73, v82, v78, v73
	;;#ASMEND
	s_nop 0
	;;#ASMSTART
	v_dot2_f32_f16 v73, v83, v79, v73
	;;#ASMEND
	s_waitcnt lgkmcnt(2)
	;;#ASMSTART
	v_dot2_f32_f16 v70, v80, v88, v70
	;;#ASMEND
	s_nop 0
	;;#ASMSTART
	v_dot2_f32_f16 v70, v81, v89, v70
	;;#ASMEND
	s_nop 0
	;;#ASMSTART
	v_dot2_f32_f16 v70, v82, v90, v70
	;;#ASMEND
	s_nop 0
	;;#ASMSTART
	v_dot2_f32_f16 v70, v83, v91, v70
	;;#ASMEND
	;; [unrolled: 16-line block ×4, first 2 shown]
	;;#ASMSTART
	v_dot2_f32_f16 v74, v84, v76, v74
	;;#ASMEND
	s_nop 0
	;;#ASMSTART
	v_dot2_f32_f16 v74, v85, v77, v74
	;;#ASMEND
	s_nop 0
	;;#ASMSTART
	v_dot2_f32_f16 v74, v86, v78, v74
	;;#ASMEND
	s_nop 0
	;;#ASMSTART
	v_dot2_f32_f16 v74, v87, v79, v74
	;;#ASMEND
	;;#ASMSTART
	v_dot2_f32_f16 v72, v84, v88, v72
	;;#ASMEND
	s_nop 0
	;;#ASMSTART
	v_dot2_f32_f16 v72, v85, v89, v72
	;;#ASMEND
	s_nop 0
	;;#ASMSTART
	v_dot2_f32_f16 v72, v86, v90, v72
	;;#ASMEND
	s_nop 0
	;;#ASMSTART
	v_dot2_f32_f16 v72, v87, v91, v72
	;;#ASMEND
	;; [unrolled: 15-line block ×4, first 2 shown]
	ds_read_b128 v[76:79], v58 offset:80
	ds_read_b128 v[80:83], v59 offset:80
	;; [unrolled: 1-line block ×6, first 2 shown]
	s_waitcnt lgkmcnt(4)
	;;#ASMSTART
	v_dot2_f32_f16 v73, v80, v76, v73
	;;#ASMEND
	s_nop 0
	;;#ASMSTART
	v_dot2_f32_f16 v73, v81, v77, v73
	;;#ASMEND
	s_nop 0
	;;#ASMSTART
	v_dot2_f32_f16 v73, v82, v78, v73
	;;#ASMEND
	s_nop 0
	;;#ASMSTART
	v_dot2_f32_f16 v73, v83, v79, v73
	;;#ASMEND
	s_waitcnt lgkmcnt(2)
	;;#ASMSTART
	v_dot2_f32_f16 v70, v80, v88, v70
	;;#ASMEND
	s_nop 0
	;;#ASMSTART
	v_dot2_f32_f16 v70, v81, v89, v70
	;;#ASMEND
	s_nop 0
	;;#ASMSTART
	v_dot2_f32_f16 v70, v82, v90, v70
	;;#ASMEND
	s_nop 0
	;;#ASMSTART
	v_dot2_f32_f16 v70, v83, v91, v70
	;;#ASMEND
	;; [unrolled: 16-line block ×4, first 2 shown]
	;;#ASMSTART
	v_dot2_f32_f16 v74, v84, v76, v74
	;;#ASMEND
	s_nop 0
	;;#ASMSTART
	v_dot2_f32_f16 v74, v85, v77, v74
	;;#ASMEND
	s_nop 0
	;;#ASMSTART
	v_dot2_f32_f16 v74, v86, v78, v74
	;;#ASMEND
	s_nop 0
	;;#ASMSTART
	v_dot2_f32_f16 v74, v87, v79, v74
	;;#ASMEND
	;;#ASMSTART
	v_dot2_f32_f16 v72, v84, v88, v72
	;;#ASMEND
	s_nop 0
	;;#ASMSTART
	v_dot2_f32_f16 v72, v85, v89, v72
	;;#ASMEND
	s_nop 0
	;;#ASMSTART
	v_dot2_f32_f16 v72, v86, v90, v72
	;;#ASMEND
	s_nop 0
	;;#ASMSTART
	v_dot2_f32_f16 v72, v87, v91, v72
	;;#ASMEND
	;; [unrolled: 15-line block ×4, first 2 shown]
	ds_read_b128 v[76:79], v58 offset:96
	ds_read_b128 v[80:83], v59 offset:96
	;; [unrolled: 1-line block ×6, first 2 shown]
	s_waitcnt lgkmcnt(4)
	;;#ASMSTART
	v_dot2_f32_f16 v73, v80, v76, v73
	;;#ASMEND
	s_nop 0
	;;#ASMSTART
	v_dot2_f32_f16 v73, v81, v77, v73
	;;#ASMEND
	s_nop 0
	;;#ASMSTART
	v_dot2_f32_f16 v73, v82, v78, v73
	;;#ASMEND
	s_nop 0
	;;#ASMSTART
	v_dot2_f32_f16 v73, v83, v79, v73
	;;#ASMEND
	s_waitcnt lgkmcnt(2)
	;;#ASMSTART
	v_dot2_f32_f16 v70, v80, v88, v70
	;;#ASMEND
	s_nop 0
	;;#ASMSTART
	v_dot2_f32_f16 v70, v81, v89, v70
	;;#ASMEND
	s_nop 0
	;;#ASMSTART
	v_dot2_f32_f16 v70, v82, v90, v70
	;;#ASMEND
	s_nop 0
	;;#ASMSTART
	v_dot2_f32_f16 v70, v83, v91, v70
	;;#ASMEND
	;; [unrolled: 16-line block ×4, first 2 shown]
	;;#ASMSTART
	v_dot2_f32_f16 v74, v84, v76, v74
	;;#ASMEND
	s_nop 0
	;;#ASMSTART
	v_dot2_f32_f16 v74, v85, v77, v74
	;;#ASMEND
	s_nop 0
	;;#ASMSTART
	v_dot2_f32_f16 v74, v86, v78, v74
	;;#ASMEND
	s_nop 0
	;;#ASMSTART
	v_dot2_f32_f16 v74, v87, v79, v74
	;;#ASMEND
	;;#ASMSTART
	v_dot2_f32_f16 v72, v84, v88, v72
	;;#ASMEND
	s_nop 0
	;;#ASMSTART
	v_dot2_f32_f16 v72, v85, v89, v72
	;;#ASMEND
	s_nop 0
	;;#ASMSTART
	v_dot2_f32_f16 v72, v86, v90, v72
	;;#ASMEND
	s_nop 0
	;;#ASMSTART
	v_dot2_f32_f16 v72, v87, v91, v72
	;;#ASMEND
	;; [unrolled: 15-line block ×4, first 2 shown]
	ds_read_b128 v[76:79], v58 offset:112
	ds_read_b128 v[80:83], v59 offset:112
	;; [unrolled: 1-line block ×6, first 2 shown]
	s_waitcnt lgkmcnt(4)
	;;#ASMSTART
	v_dot2_f32_f16 v73, v80, v76, v73
	;;#ASMEND
	s_nop 0
	;;#ASMSTART
	v_dot2_f32_f16 v73, v81, v77, v73
	;;#ASMEND
	s_nop 0
	;;#ASMSTART
	v_dot2_f32_f16 v73, v82, v78, v73
	;;#ASMEND
	s_nop 0
	;;#ASMSTART
	v_dot2_f32_f16 v73, v83, v79, v73
	;;#ASMEND
	s_waitcnt lgkmcnt(2)
	;;#ASMSTART
	v_dot2_f32_f16 v70, v80, v88, v70
	;;#ASMEND
	s_nop 0
	;;#ASMSTART
	v_dot2_f32_f16 v70, v81, v89, v70
	;;#ASMEND
	s_nop 0
	;;#ASMSTART
	v_dot2_f32_f16 v70, v82, v90, v70
	;;#ASMEND
	s_nop 0
	;;#ASMSTART
	v_dot2_f32_f16 v70, v83, v91, v70
	;;#ASMEND
	;; [unrolled: 16-line block ×4, first 2 shown]
	;;#ASMSTART
	v_dot2_f32_f16 v74, v84, v76, v74
	;;#ASMEND
	s_nop 0
	;;#ASMSTART
	v_dot2_f32_f16 v74, v85, v77, v74
	;;#ASMEND
	s_nop 0
	;;#ASMSTART
	v_dot2_f32_f16 v74, v86, v78, v74
	;;#ASMEND
	s_nop 0
	;;#ASMSTART
	v_dot2_f32_f16 v74, v87, v79, v74
	;;#ASMEND
	;;#ASMSTART
	v_dot2_f32_f16 v72, v84, v88, v72
	;;#ASMEND
	s_nop 0
	;;#ASMSTART
	v_dot2_f32_f16 v72, v85, v89, v72
	;;#ASMEND
	s_nop 0
	;;#ASMSTART
	v_dot2_f32_f16 v72, v86, v90, v72
	;;#ASMEND
	s_nop 0
	;;#ASMSTART
	v_dot2_f32_f16 v72, v87, v91, v72
	;;#ASMEND
	;; [unrolled: 15-line block ×4, first 2 shown]
	s_barrier
	global_load_dwordx4 v[76:79], v[12:13], off offset:128
	global_load_dwordx4 v[80:83], v[14:15], off offset:128
	s_waitcnt vmcnt(1)
	ds_write_b128 v56, v[76:79]
	s_waitcnt vmcnt(0)
	ds_write_b128 v57, v[80:83]
	s_waitcnt lgkmcnt(0)
	s_barrier
	ds_read_b128 v[12:15], v58 offset:128
	ds_read_b128 v[76:79], v59
	ds_read_b128 v[80:83], v59 offset:4608
	ds_read_b128 v[84:87], v58 offset:384
	;; [unrolled: 1-line block ×4, first 2 shown]
	s_waitcnt lgkmcnt(4)
	;;#ASMSTART
	v_dot2_f32_f16 v73, v76, v12, v73
	;;#ASMEND
	s_nop 0
	;;#ASMSTART
	v_dot2_f32_f16 v73, v77, v13, v73
	;;#ASMEND
	s_nop 0
	;;#ASMSTART
	v_dot2_f32_f16 v73, v78, v14, v73
	;;#ASMEND
	s_nop 0
	;;#ASMSTART
	v_dot2_f32_f16 v73, v79, v15, v73
	;;#ASMEND
	s_waitcnt lgkmcnt(2)
	;;#ASMSTART
	v_dot2_f32_f16 v70, v76, v84, v70
	;;#ASMEND
	s_nop 0
	;;#ASMSTART
	v_dot2_f32_f16 v70, v77, v85, v70
	;;#ASMEND
	s_nop 0
	;;#ASMSTART
	v_dot2_f32_f16 v70, v78, v86, v70
	;;#ASMEND
	s_nop 0
	;;#ASMSTART
	v_dot2_f32_f16 v70, v79, v87, v70
	;;#ASMEND
	;; [unrolled: 16-line block ×4, first 2 shown]
	;;#ASMSTART
	v_dot2_f32_f16 v74, v80, v12, v74
	;;#ASMEND
	s_nop 0
	;;#ASMSTART
	v_dot2_f32_f16 v74, v81, v13, v74
	;;#ASMEND
	s_nop 0
	;;#ASMSTART
	v_dot2_f32_f16 v74, v82, v14, v74
	;;#ASMEND
	s_nop 0
	;;#ASMSTART
	v_dot2_f32_f16 v74, v83, v15, v74
	;;#ASMEND
	;;#ASMSTART
	v_dot2_f32_f16 v72, v80, v84, v72
	;;#ASMEND
	s_nop 0
	;;#ASMSTART
	v_dot2_f32_f16 v72, v81, v85, v72
	;;#ASMEND
	s_nop 0
	;;#ASMSTART
	v_dot2_f32_f16 v72, v82, v86, v72
	;;#ASMEND
	s_nop 0
	;;#ASMSTART
	v_dot2_f32_f16 v72, v83, v87, v72
	;;#ASMEND
	;; [unrolled: 15-line block ×4, first 2 shown]
	ds_read_b128 v[12:15], v58 offset:144
	ds_read_b128 v[76:79], v59 offset:16
	;; [unrolled: 1-line block ×6, first 2 shown]
	s_waitcnt lgkmcnt(4)
	;;#ASMSTART
	v_dot2_f32_f16 v73, v76, v12, v73
	;;#ASMEND
	s_nop 0
	;;#ASMSTART
	v_dot2_f32_f16 v73, v77, v13, v73
	;;#ASMEND
	s_nop 0
	;;#ASMSTART
	v_dot2_f32_f16 v73, v78, v14, v73
	;;#ASMEND
	s_nop 0
	;;#ASMSTART
	v_dot2_f32_f16 v73, v79, v15, v73
	;;#ASMEND
	s_waitcnt lgkmcnt(2)
	;;#ASMSTART
	v_dot2_f32_f16 v70, v76, v84, v70
	;;#ASMEND
	s_nop 0
	;;#ASMSTART
	v_dot2_f32_f16 v70, v77, v85, v70
	;;#ASMEND
	s_nop 0
	;;#ASMSTART
	v_dot2_f32_f16 v70, v78, v86, v70
	;;#ASMEND
	s_nop 0
	;;#ASMSTART
	v_dot2_f32_f16 v70, v79, v87, v70
	;;#ASMEND
	;; [unrolled: 16-line block ×4, first 2 shown]
	;;#ASMSTART
	v_dot2_f32_f16 v74, v80, v12, v74
	;;#ASMEND
	s_nop 0
	;;#ASMSTART
	v_dot2_f32_f16 v74, v81, v13, v74
	;;#ASMEND
	s_nop 0
	;;#ASMSTART
	v_dot2_f32_f16 v74, v82, v14, v74
	;;#ASMEND
	s_nop 0
	;;#ASMSTART
	v_dot2_f32_f16 v74, v83, v15, v74
	;;#ASMEND
	;;#ASMSTART
	v_dot2_f32_f16 v72, v80, v84, v72
	;;#ASMEND
	s_nop 0
	;;#ASMSTART
	v_dot2_f32_f16 v72, v81, v85, v72
	;;#ASMEND
	s_nop 0
	;;#ASMSTART
	v_dot2_f32_f16 v72, v82, v86, v72
	;;#ASMEND
	s_nop 0
	;;#ASMSTART
	v_dot2_f32_f16 v72, v83, v87, v72
	;;#ASMEND
	;; [unrolled: 15-line block ×4, first 2 shown]
	ds_read_b128 v[12:15], v58 offset:160
	ds_read_b128 v[76:79], v59 offset:32
	;; [unrolled: 1-line block ×6, first 2 shown]
	s_waitcnt lgkmcnt(4)
	;;#ASMSTART
	v_dot2_f32_f16 v73, v76, v12, v73
	;;#ASMEND
	s_nop 0
	;;#ASMSTART
	v_dot2_f32_f16 v73, v77, v13, v73
	;;#ASMEND
	s_nop 0
	;;#ASMSTART
	v_dot2_f32_f16 v73, v78, v14, v73
	;;#ASMEND
	s_nop 0
	;;#ASMSTART
	v_dot2_f32_f16 v73, v79, v15, v73
	;;#ASMEND
	s_waitcnt lgkmcnt(2)
	;;#ASMSTART
	v_dot2_f32_f16 v70, v76, v84, v70
	;;#ASMEND
	s_nop 0
	;;#ASMSTART
	v_dot2_f32_f16 v70, v77, v85, v70
	;;#ASMEND
	s_nop 0
	;;#ASMSTART
	v_dot2_f32_f16 v70, v78, v86, v70
	;;#ASMEND
	s_nop 0
	;;#ASMSTART
	v_dot2_f32_f16 v70, v79, v87, v70
	;;#ASMEND
	;; [unrolled: 16-line block ×4, first 2 shown]
	;;#ASMSTART
	v_dot2_f32_f16 v74, v80, v12, v74
	;;#ASMEND
	s_nop 0
	;;#ASMSTART
	v_dot2_f32_f16 v74, v81, v13, v74
	;;#ASMEND
	s_nop 0
	;;#ASMSTART
	v_dot2_f32_f16 v74, v82, v14, v74
	;;#ASMEND
	s_nop 0
	;;#ASMSTART
	v_dot2_f32_f16 v74, v83, v15, v74
	;;#ASMEND
	;;#ASMSTART
	v_dot2_f32_f16 v72, v80, v84, v72
	;;#ASMEND
	s_nop 0
	;;#ASMSTART
	v_dot2_f32_f16 v72, v81, v85, v72
	;;#ASMEND
	s_nop 0
	;;#ASMSTART
	v_dot2_f32_f16 v72, v82, v86, v72
	;;#ASMEND
	s_nop 0
	;;#ASMSTART
	v_dot2_f32_f16 v72, v83, v87, v72
	;;#ASMEND
	;; [unrolled: 15-line block ×4, first 2 shown]
	ds_read_b128 v[12:15], v58 offset:176
	ds_read_b128 v[76:79], v59 offset:48
	;; [unrolled: 1-line block ×6, first 2 shown]
	s_waitcnt lgkmcnt(4)
	;;#ASMSTART
	v_dot2_f32_f16 v73, v76, v12, v73
	;;#ASMEND
	s_nop 0
	;;#ASMSTART
	v_dot2_f32_f16 v73, v77, v13, v73
	;;#ASMEND
	s_nop 0
	;;#ASMSTART
	v_dot2_f32_f16 v73, v78, v14, v73
	;;#ASMEND
	s_nop 0
	;;#ASMSTART
	v_dot2_f32_f16 v73, v79, v15, v73
	;;#ASMEND
	s_waitcnt lgkmcnt(2)
	;;#ASMSTART
	v_dot2_f32_f16 v70, v76, v84, v70
	;;#ASMEND
	s_nop 0
	;;#ASMSTART
	v_dot2_f32_f16 v70, v77, v85, v70
	;;#ASMEND
	s_nop 0
	;;#ASMSTART
	v_dot2_f32_f16 v70, v78, v86, v70
	;;#ASMEND
	s_nop 0
	;;#ASMSTART
	v_dot2_f32_f16 v70, v79, v87, v70
	;;#ASMEND
	;; [unrolled: 16-line block ×4, first 2 shown]
	;;#ASMSTART
	v_dot2_f32_f16 v74, v80, v12, v74
	;;#ASMEND
	s_nop 0
	;;#ASMSTART
	v_dot2_f32_f16 v74, v81, v13, v74
	;;#ASMEND
	s_nop 0
	;;#ASMSTART
	v_dot2_f32_f16 v74, v82, v14, v74
	;;#ASMEND
	s_nop 0
	;;#ASMSTART
	v_dot2_f32_f16 v74, v83, v15, v74
	;;#ASMEND
	;;#ASMSTART
	v_dot2_f32_f16 v72, v80, v84, v72
	;;#ASMEND
	s_nop 0
	;;#ASMSTART
	v_dot2_f32_f16 v72, v81, v85, v72
	;;#ASMEND
	s_nop 0
	;;#ASMSTART
	v_dot2_f32_f16 v72, v82, v86, v72
	;;#ASMEND
	s_nop 0
	;;#ASMSTART
	v_dot2_f32_f16 v72, v83, v87, v72
	;;#ASMEND
	;; [unrolled: 15-line block ×4, first 2 shown]
	ds_read_b128 v[12:15], v58 offset:192
	ds_read_b128 v[76:79], v59 offset:64
	;; [unrolled: 1-line block ×6, first 2 shown]
	s_waitcnt lgkmcnt(4)
	;;#ASMSTART
	v_dot2_f32_f16 v73, v76, v12, v73
	;;#ASMEND
	s_nop 0
	;;#ASMSTART
	v_dot2_f32_f16 v73, v77, v13, v73
	;;#ASMEND
	s_nop 0
	;;#ASMSTART
	v_dot2_f32_f16 v73, v78, v14, v73
	;;#ASMEND
	s_nop 0
	;;#ASMSTART
	v_dot2_f32_f16 v73, v79, v15, v73
	;;#ASMEND
	s_waitcnt lgkmcnt(2)
	;;#ASMSTART
	v_dot2_f32_f16 v70, v76, v84, v70
	;;#ASMEND
	s_nop 0
	;;#ASMSTART
	v_dot2_f32_f16 v70, v77, v85, v70
	;;#ASMEND
	s_nop 0
	;;#ASMSTART
	v_dot2_f32_f16 v70, v78, v86, v70
	;;#ASMEND
	s_nop 0
	;;#ASMSTART
	v_dot2_f32_f16 v70, v79, v87, v70
	;;#ASMEND
	;; [unrolled: 16-line block ×4, first 2 shown]
	;;#ASMSTART
	v_dot2_f32_f16 v74, v80, v12, v74
	;;#ASMEND
	s_nop 0
	;;#ASMSTART
	v_dot2_f32_f16 v74, v81, v13, v74
	;;#ASMEND
	s_nop 0
	;;#ASMSTART
	v_dot2_f32_f16 v74, v82, v14, v74
	;;#ASMEND
	s_nop 0
	;;#ASMSTART
	v_dot2_f32_f16 v74, v83, v15, v74
	;;#ASMEND
	;;#ASMSTART
	v_dot2_f32_f16 v72, v80, v84, v72
	;;#ASMEND
	s_nop 0
	;;#ASMSTART
	v_dot2_f32_f16 v72, v81, v85, v72
	;;#ASMEND
	s_nop 0
	;;#ASMSTART
	v_dot2_f32_f16 v72, v82, v86, v72
	;;#ASMEND
	s_nop 0
	;;#ASMSTART
	v_dot2_f32_f16 v72, v83, v87, v72
	;;#ASMEND
	;; [unrolled: 15-line block ×4, first 2 shown]
	ds_read_b128 v[12:15], v58 offset:208
	ds_read_b128 v[76:79], v59 offset:80
	;; [unrolled: 1-line block ×6, first 2 shown]
	s_waitcnt lgkmcnt(4)
	;;#ASMSTART
	v_dot2_f32_f16 v73, v76, v12, v73
	;;#ASMEND
	s_nop 0
	;;#ASMSTART
	v_dot2_f32_f16 v73, v77, v13, v73
	;;#ASMEND
	s_nop 0
	;;#ASMSTART
	v_dot2_f32_f16 v73, v78, v14, v73
	;;#ASMEND
	s_nop 0
	;;#ASMSTART
	v_dot2_f32_f16 v73, v79, v15, v73
	;;#ASMEND
	s_waitcnt lgkmcnt(2)
	;;#ASMSTART
	v_dot2_f32_f16 v70, v76, v84, v70
	;;#ASMEND
	s_nop 0
	;;#ASMSTART
	v_dot2_f32_f16 v70, v77, v85, v70
	;;#ASMEND
	s_nop 0
	;;#ASMSTART
	v_dot2_f32_f16 v70, v78, v86, v70
	;;#ASMEND
	s_nop 0
	;;#ASMSTART
	v_dot2_f32_f16 v70, v79, v87, v70
	;;#ASMEND
	;; [unrolled: 16-line block ×4, first 2 shown]
	;;#ASMSTART
	v_dot2_f32_f16 v74, v80, v12, v74
	;;#ASMEND
	s_nop 0
	;;#ASMSTART
	v_dot2_f32_f16 v74, v81, v13, v74
	;;#ASMEND
	s_nop 0
	;;#ASMSTART
	v_dot2_f32_f16 v74, v82, v14, v74
	;;#ASMEND
	s_nop 0
	;;#ASMSTART
	v_dot2_f32_f16 v74, v83, v15, v74
	;;#ASMEND
	;;#ASMSTART
	v_dot2_f32_f16 v72, v80, v84, v72
	;;#ASMEND
	s_nop 0
	;;#ASMSTART
	v_dot2_f32_f16 v72, v81, v85, v72
	;;#ASMEND
	s_nop 0
	;;#ASMSTART
	v_dot2_f32_f16 v72, v82, v86, v72
	;;#ASMEND
	s_nop 0
	;;#ASMSTART
	v_dot2_f32_f16 v72, v83, v87, v72
	;;#ASMEND
	;; [unrolled: 15-line block ×4, first 2 shown]
	ds_read_b128 v[12:15], v58 offset:224
	ds_read_b128 v[76:79], v59 offset:96
	;; [unrolled: 1-line block ×6, first 2 shown]
	s_waitcnt lgkmcnt(4)
	;;#ASMSTART
	v_dot2_f32_f16 v73, v76, v12, v73
	;;#ASMEND
	s_nop 0
	;;#ASMSTART
	v_dot2_f32_f16 v73, v77, v13, v73
	;;#ASMEND
	s_nop 0
	;;#ASMSTART
	v_dot2_f32_f16 v73, v78, v14, v73
	;;#ASMEND
	s_nop 0
	;;#ASMSTART
	v_dot2_f32_f16 v73, v79, v15, v73
	;;#ASMEND
	s_waitcnt lgkmcnt(2)
	;;#ASMSTART
	v_dot2_f32_f16 v70, v76, v84, v70
	;;#ASMEND
	s_nop 0
	;;#ASMSTART
	v_dot2_f32_f16 v70, v77, v85, v70
	;;#ASMEND
	s_nop 0
	;;#ASMSTART
	v_dot2_f32_f16 v70, v78, v86, v70
	;;#ASMEND
	s_nop 0
	;;#ASMSTART
	v_dot2_f32_f16 v70, v79, v87, v70
	;;#ASMEND
	;; [unrolled: 16-line block ×4, first 2 shown]
	;;#ASMSTART
	v_dot2_f32_f16 v74, v80, v12, v74
	;;#ASMEND
	s_nop 0
	;;#ASMSTART
	v_dot2_f32_f16 v74, v81, v13, v74
	;;#ASMEND
	s_nop 0
	;;#ASMSTART
	v_dot2_f32_f16 v74, v82, v14, v74
	;;#ASMEND
	s_nop 0
	;;#ASMSTART
	v_dot2_f32_f16 v74, v83, v15, v74
	;;#ASMEND
	;;#ASMSTART
	v_dot2_f32_f16 v72, v80, v84, v72
	;;#ASMEND
	s_nop 0
	;;#ASMSTART
	v_dot2_f32_f16 v72, v81, v85, v72
	;;#ASMEND
	s_nop 0
	;;#ASMSTART
	v_dot2_f32_f16 v72, v82, v86, v72
	;;#ASMEND
	s_nop 0
	;;#ASMSTART
	v_dot2_f32_f16 v72, v83, v87, v72
	;;#ASMEND
	;; [unrolled: 15-line block ×4, first 2 shown]
	ds_read_b128 v[12:15], v58 offset:240
	ds_read_b128 v[76:79], v59 offset:112
	;; [unrolled: 1-line block ×6, first 2 shown]
	s_waitcnt lgkmcnt(4)
	;;#ASMSTART
	v_dot2_f32_f16 v73, v76, v12, v73
	;;#ASMEND
	s_nop 0
	;;#ASMSTART
	v_dot2_f32_f16 v73, v77, v13, v73
	;;#ASMEND
	s_nop 0
	;;#ASMSTART
	v_dot2_f32_f16 v73, v78, v14, v73
	;;#ASMEND
	s_nop 0
	;;#ASMSTART
	v_dot2_f32_f16 v73, v79, v15, v73
	;;#ASMEND
	s_waitcnt lgkmcnt(2)
	;;#ASMSTART
	v_dot2_f32_f16 v70, v76, v84, v70
	;;#ASMEND
	s_nop 0
	;;#ASMSTART
	v_dot2_f32_f16 v70, v77, v85, v70
	;;#ASMEND
	s_nop 0
	;;#ASMSTART
	v_dot2_f32_f16 v70, v78, v86, v70
	;;#ASMEND
	s_nop 0
	;;#ASMSTART
	v_dot2_f32_f16 v70, v79, v87, v70
	;;#ASMEND
	;; [unrolled: 16-line block ×3, first 2 shown]
	s_waitcnt lgkmcnt(0)
	;;#ASMSTART
	v_dot2_f32_f16 v28, v76, v92, v28
	;;#ASMEND
	s_nop 0
	;;#ASMSTART
	v_dot2_f32_f16 v28, v77, v93, v28
	;;#ASMEND
	v_add_u32_e32 v77, s15, v20
	;;#ASMSTART
	v_dot2_f32_f16 v28, v78, v94, v28
	;;#ASMEND
	s_nop 0
	;;#ASMSTART
	v_dot2_f32_f16 v28, v79, v95, v28
	;;#ASMEND
	;;#ASMSTART
	v_dot2_f32_f16 v74, v80, v12, v74
	;;#ASMEND
	v_add_u32_e32 v12, v77, v55
	;;#ASMSTART
	v_dot2_f32_f16 v74, v81, v13, v74
	;;#ASMEND
	v_ashrrev_i32_e32 v13, 31, v12
	;;#ASMSTART
	v_dot2_f32_f16 v74, v82, v14, v74
	;;#ASMEND
	v_mov_b32_e32 v14, 0
	;;#ASMSTART
	v_dot2_f32_f16 v74, v83, v15, v74
	;;#ASMEND
	;;#ASMSTART
	v_dot2_f32_f16 v72, v80, v84, v72
	;;#ASMEND
	s_nop 0
	;;#ASMSTART
	v_dot2_f32_f16 v72, v81, v85, v72
	;;#ASMEND
	s_nop 0
	;;#ASMSTART
	v_dot2_f32_f16 v72, v82, v86, v72
	;;#ASMEND
	s_nop 0
	;;#ASMSTART
	v_dot2_f32_f16 v72, v83, v87, v72
	;;#ASMEND
	;;#ASMSTART
	v_dot2_f32_f16 v71, v80, v88, v71
	;;#ASMEND
	s_nop 0
	;;#ASMSTART
	v_dot2_f32_f16 v71, v81, v89, v71
	;;#ASMEND
	s_nop 0
	;;#ASMSTART
	v_dot2_f32_f16 v71, v82, v90, v71
	;;#ASMEND
	s_nop 0
	;; [unrolled: 15-line block ×3, first 2 shown]
	;;#ASMSTART
	v_dot2_f32_f16 v30, v83, v95, v30
	;;#ASMEND
	s_cbranch_vccnz .LBB56_10
; %bb.9:                                ;   in Loop: Header=BB56_8 Depth=1
	v_lshl_add_u64 v[14:15], v[12:13], 1, s[36:37]
	global_load_ushort v14, v[14:15], off
	s_waitcnt vmcnt(0)
	v_cvt_f32_f16_e32 v14, v14
	v_mul_f32_e32 v14, v43, v14
.LBB56_10:                              ;   in Loop: Header=BB56_8 Depth=1
	v_mov_b32_e32 v75, 0
	s_and_b64 vcc, exec, s[4:5]
	v_mov_b32_e32 v76, 0
	s_cbranch_vccnz .LBB56_12
; %bb.11:                               ;   in Loop: Header=BB56_8 Depth=1
	v_lshl_add_u64 v[12:13], v[12:13], 1, s[36:37]
	global_load_ushort v12, v[12:13], off offset:64
	s_waitcnt vmcnt(0)
	v_cvt_f32_f16_e32 v12, v12
	v_mul_f32_e32 v76, v43, v12
.LBB56_12:                              ;   in Loop: Header=BB56_8 Depth=1
	v_and_b32_e32 v13, 0x60, v66
	v_add_f32_e32 v15, v73, v14
	v_add_u32_e32 v13, 32, v13
	v_xor_b32_e32 v14, 16, v66
	v_cmp_lt_i32_e32 vcc, v14, v13
	v_add_f32_e32 v73, v74, v76
	v_add_f32_e32 v12, 0x40051340, v15
	v_cndmask_b32_e32 v14, v66, v14, vcc
	v_add_f32_e32 v74, 0x40051340, v73
	v_lshlrev_b32_e32 v14, 2, v14
	v_max3_f32 v12, v26, v12, v74
	ds_bpermute_b32 v74, v14, v12
	v_xor_b32_e32 v76, 8, v66
	v_cmp_lt_i32_e32 vcc, v76, v13
	s_waitcnt lgkmcnt(0)
	v_max_f32_e32 v74, v74, v74
	v_cndmask_b32_e32 v76, v66, v76, vcc
	v_lshlrev_b32_e32 v79, 2, v76
	v_max_f32_e32 v12, v12, v74
	ds_bpermute_b32 v74, v79, v12
	v_xor_b32_e32 v76, 4, v66
	v_cmp_lt_i32_e32 vcc, v76, v13
	s_waitcnt lgkmcnt(0)
	v_max_f32_e32 v74, v74, v74
	v_cndmask_b32_e32 v76, v66, v76, vcc
	v_lshlrev_b32_e32 v80, 2, v76
	v_max_f32_e32 v12, v12, v74
	;; [unrolled: 8-line block ×3, first 2 shown]
	ds_bpermute_b32 v74, v78, v12
	v_xor_b32_e32 v76, 1, v66
	v_cmp_lt_i32_e32 vcc, v76, v13
	s_nop 1
	v_cndmask_b32_e32 v13, v66, v76, vcc
	v_lshlrev_b32_e32 v76, 2, v13
	s_waitcnt lgkmcnt(0)
	v_max_f32_e32 v13, v74, v74
	v_max_f32_e32 v81, v12, v13
	ds_bpermute_b32 v82, v76, v81
	v_add_u32_e32 v12, v77, v60
	s_and_b64 vcc, exec, s[4:5]
	v_ashrrev_i32_e32 v13, 31, v12
	s_cbranch_vccnz .LBB56_14
; %bb.13:                               ;   in Loop: Header=BB56_8 Depth=1
	v_lshl_add_u64 v[74:75], v[12:13], 1, s[36:37]
	global_load_ushort v74, v[74:75], off
	s_waitcnt vmcnt(0)
	v_cvt_f32_f16_e32 v74, v74
	v_mul_f32_e32 v75, v43, v74
.LBB56_14:                              ;   in Loop: Header=BB56_8 Depth=1
	v_mov_b32_e32 v74, 0
	s_and_b64 vcc, exec, s[4:5]
	v_mov_b32_e32 v83, 0
	s_cbranch_vccnz .LBB56_16
; %bb.15:                               ;   in Loop: Header=BB56_8 Depth=1
	v_lshl_add_u64 v[12:13], v[12:13], 1, s[36:37]
	global_load_ushort v12, v[12:13], off offset:64
	s_waitcnt vmcnt(0)
	v_cvt_f32_f16_e32 v12, v12
	v_mul_f32_e32 v83, v43, v12
.LBB56_16:                              ;   in Loop: Header=BB56_8 Depth=1
	v_add_f32_e32 v75, v70, v75
	v_add_f32_e32 v72, v72, v83
	;; [unrolled: 1-line block ×4, first 2 shown]
	v_max3_f32 v12, v27, v12, v13
	ds_bpermute_b32 v13, v14, v12
	s_and_b64 vcc, exec, s[4:5]
	s_waitcnt lgkmcnt(0)
	v_max_f32_e32 v13, v13, v13
	v_max_f32_e32 v12, v12, v13
	ds_bpermute_b32 v13, v79, v12
	s_waitcnt lgkmcnt(0)
	v_max_f32_e32 v13, v13, v13
	v_max_f32_e32 v12, v12, v13
	ds_bpermute_b32 v13, v80, v12
	;; [unrolled: 4-line block ×4, first 2 shown]
	v_add_u32_e32 v12, v77, v61
	v_ashrrev_i32_e32 v13, 31, v12
	s_cbranch_vccnz .LBB56_18
; %bb.17:                               ;   in Loop: Header=BB56_8 Depth=1
	v_lshl_add_u64 v[86:87], v[12:13], 1, s[36:37]
	global_load_ushort v70, v[86:87], off
	s_waitcnt vmcnt(0)
	v_cvt_f32_f16_e32 v70, v70
	v_mul_f32_e32 v74, v43, v70
.LBB56_18:                              ;   in Loop: Header=BB56_8 Depth=1
	v_mov_b32_e32 v85, 0
	s_and_b64 vcc, exec, s[4:5]
	v_mov_b32_e32 v70, 0
	s_cbranch_vccnz .LBB56_20
; %bb.19:                               ;   in Loop: Header=BB56_8 Depth=1
	v_lshl_add_u64 v[12:13], v[12:13], 1, s[36:37]
	global_load_ushort v12, v[12:13], off offset:64
	s_waitcnt vmcnt(0)
	v_cvt_f32_f16_e32 v12, v12
	v_mul_f32_e32 v70, v43, v12
.LBB56_20:                              ;   in Loop: Header=BB56_8 Depth=1
	v_add_f32_e32 v74, v29, v74
	v_add_f32_e32 v70, v71, v70
	;; [unrolled: 1-line block ×4, first 2 shown]
	v_max3_f32 v12, v69, v12, v13
	ds_bpermute_b32 v13, v14, v12
	s_and_b64 vcc, exec, s[4:5]
	s_waitcnt lgkmcnt(0)
	v_max_f32_e32 v13, v13, v13
	v_max_f32_e32 v12, v12, v13
	ds_bpermute_b32 v13, v79, v12
	s_waitcnt lgkmcnt(0)
	v_max_f32_e32 v13, v13, v13
	v_max_f32_e32 v12, v12, v13
	ds_bpermute_b32 v13, v80, v12
	;; [unrolled: 4-line block ×4, first 2 shown]
	v_add_u32_e32 v12, v77, v62
	v_ashrrev_i32_e32 v13, 31, v12
	s_cbranch_vccnz .LBB56_22
; %bb.21:                               ;   in Loop: Header=BB56_8 Depth=1
	v_lshl_add_u64 v[86:87], v[12:13], 1, s[36:37]
	global_load_ushort v77, v[86:87], off
	s_waitcnt vmcnt(0)
	v_cvt_f32_f16_e32 v77, v77
	v_mul_f32_e32 v85, v43, v77
.LBB56_22:                              ;   in Loop: Header=BB56_8 Depth=1
	s_and_b64 vcc, exec, s[4:5]
	s_cbranch_vccnz .LBB56_24
; %bb.23:                               ;   in Loop: Header=BB56_8 Depth=1
	v_lshl_add_u64 v[12:13], v[12:13], 1, s[36:37]
	global_load_ushort v12, v[12:13], off offset:64
	s_waitcnt vmcnt(0)
	v_cvt_f32_f16_e32 v12, v12
	v_mul_f32_e32 v12, v43, v12
	s_branch .LBB56_25
.LBB56_24:                              ;   in Loop: Header=BB56_8 Depth=1
	v_mov_b32_e32 v12, 0
.LBB56_25:                              ;   in Loop: Header=BB56_8 Depth=1
	v_add_f32_e32 v85, v28, v85
	v_add_f32_e32 v86, v30, v12
	;; [unrolled: 1-line block ×4, first 2 shown]
	v_max3_f32 v12, v68, v13, v12
	ds_bpermute_b32 v13, v14, v12
	s_waitcnt lgkmcnt(1)
	v_max_f32_e32 v14, v71, v71
	v_max_f32_e32 v28, v29, v29
	;; [unrolled: 1-line block ×4, first 2 shown]
	s_waitcnt lgkmcnt(0)
	v_max_f32_e32 v13, v13, v13
	v_max_f32_e32 v12, v12, v13
	ds_bpermute_b32 v13, v79, v12
	v_max_f32_e32 v30, v83, v83
	v_max_f32_e32 v71, v82, v82
	;; [unrolled: 1-line block ×3, first 2 shown]
	v_sub_f32_e32 v82, v74, v14
	s_waitcnt lgkmcnt(0)
	v_max_f32_e32 v13, v13, v13
	v_max_f32_e32 v79, v12, v13
	ds_bpermute_b32 v80, v80, v79
	v_max_f32_e32 v13, v30, v29
	v_max_f32_e32 v12, v77, v71
	v_sub_f32_e32 v30, v15, v12
	v_mul_f32_e32 v15, 0x3fb8aa3b, v30
	s_waitcnt lgkmcnt(0)
	v_max_f32_e32 v28, v80, v80
	v_max_f32_e32 v28, v79, v28
	ds_bpermute_b32 v29, v78, v28
	v_fma_f32 v71, v30, s19, -v15
	v_rndne_f32_e32 v77, v15
	v_fmac_f32_e32 v71, 0x32a5705f, v30
	v_sub_f32_e32 v15, v15, v77
	s_waitcnt lgkmcnt(0)
	v_max_f32_e32 v29, v29, v29
	v_max_f32_e32 v28, v28, v29
	ds_bpermute_b32 v29, v76, v28
	v_add_f32_e32 v15, v15, v71
	v_exp_f32_e32 v71, v15
	v_cmp_ngt_f32_e32 vcc, s28, v30
	v_sub_f32_e32 v84, v70, v14
	s_waitcnt lgkmcnt(0)
	v_max_f32_e32 v15, v29, v29
	v_max_f32_e32 v15, v28, v15
	v_cvt_i32_f32_e32 v28, v77
	v_sub_f32_e32 v29, v26, v12
	v_mul_f32_e32 v70, 0x3fb8aa3b, v84
	s_mul_hi_i32 s41, s15, s2
	v_ldexp_f32 v26, v71, v28
	v_sub_f32_e32 v28, v73, v12
	v_mul_f32_e32 v71, 0x3fb8aa3b, v28
	v_fma_f32 v73, v28, s19, -v71
	v_rndne_f32_e32 v76, v71
	v_fmac_f32_e32 v73, 0x32a5705f, v28
	v_sub_f32_e32 v71, v71, v76
	v_add_f32_e32 v71, v71, v73
	v_exp_f32_e32 v71, v71
	v_cvt_i32_f32_e32 v73, v76
	v_cndmask_b32_e32 v26, 0, v26, vcc
	v_cmp_nlt_f32_e32 vcc, s29, v30
	s_mul_i32 s40, s15, s2
	v_ldexp_f32 v30, v71, v73
	v_mul_f32_e32 v71, 0x3fb8aa3b, v29
	v_fma_f32 v73, v29, s19, -v71
	v_rndne_f32_e32 v76, v71
	v_fmac_f32_e32 v73, 0x32a5705f, v29
	v_sub_f32_e32 v71, v71, v76
	v_add_f32_e32 v71, v71, v73
	v_exp_f32_e32 v71, v71
	v_cvt_i32_f32_e32 v73, v76
	v_cndmask_b32_e32 v26, v67, v26, vcc
	v_cmp_ngt_f32_e32 vcc, s28, v28
	s_lshl_b64 s[40:41], s[40:41], 2
	s_add_u32 s40, s12, s40
	v_cndmask_b32_e32 v30, 0, v30, vcc
	v_cmp_nlt_f32_e32 vcc, s29, v28
	s_addc_u32 s41, s13, s41
	s_nop 0
	v_cndmask_b32_e32 v28, v67, v30, vcc
	v_ldexp_f32 v30, v71, v73
	v_cmp_ngt_f32_e32 vcc, s28, v29
	v_sub_f32_e32 v71, v75, v13
	v_mul_f32_e32 v73, 0x3fb8aa3b, v71
	v_cndmask_b32_e32 v30, 0, v30, vcc
	v_cmp_nlt_f32_e32 vcc, s29, v29
	v_fma_f32 v75, v71, s19, -v73
	v_rndne_f32_e32 v76, v73
	v_cndmask_b32_e32 v30, v67, v30, vcc
	v_cvt_f16_f32_e32 v29, v30
	v_fmac_f32_e32 v75, 0x32a5705f, v71
	v_sub_f32_e32 v73, v73, v76
	v_add_f32_e32 v73, v73, v75
	v_exp_f32_e32 v73, v73
	v_cvt_i32_f32_e32 v75, v76
	v_mul_u32_u24_e32 v87, 0x10001, v29
	v_sub_f32_e32 v29, v72, v13
	v_mul_f32_e32 v72, 0x3fb8aa3b, v29
	v_pk_mul_f16 v88, v31, v87
	v_sub_f32_e32 v31, v27, v13
	v_ldexp_f32 v27, v73, v75
	v_fma_f32 v73, v29, s19, -v72
	v_rndne_f32_e32 v75, v72
	v_fmac_f32_e32 v73, 0x32a5705f, v29
	v_sub_f32_e32 v72, v72, v75
	v_add_f32_e32 v72, v72, v73
	v_exp_f32_e32 v72, v72
	v_cvt_i32_f32_e32 v73, v75
	v_cmp_ngt_f32_e32 vcc, s28, v71
	s_barrier
	s_nop 0
	v_cndmask_b32_e32 v27, 0, v27, vcc
	v_cmp_nlt_f32_e32 vcc, s29, v71
	v_ldexp_f32 v71, v72, v73
	v_mul_f32_e32 v72, 0x3fb8aa3b, v31
	v_fma_f32 v73, v31, s19, -v72
	v_rndne_f32_e32 v75, v72
	v_fmac_f32_e32 v73, 0x32a5705f, v31
	v_sub_f32_e32 v72, v72, v75
	v_add_f32_e32 v72, v72, v73
	v_exp_f32_e32 v72, v72
	v_cvt_i32_f32_e32 v73, v75
	v_cndmask_b32_e32 v27, v67, v27, vcc
	v_cmp_ngt_f32_e32 vcc, s28, v29
	v_sub_f32_e32 v69, v69, v14
	v_sub_f32_e32 v68, v68, v15
	v_cndmask_b32_e32 v71, 0, v71, vcc
	v_cmp_nlt_f32_e32 vcc, s29, v29
	s_or_b32 s31, s15, 32
	s_nop 0
	v_cndmask_b32_e32 v29, v67, v71, vcc
	v_ldexp_f32 v71, v72, v73
	v_mul_f32_e32 v72, 0x3fb8aa3b, v82
	v_cmp_ngt_f32_e32 vcc, s28, v31
	v_fma_f32 v73, v82, s19, -v72
	v_rndne_f32_e32 v74, v72
	v_cndmask_b32_e32 v71, 0, v71, vcc
	v_cmp_nlt_f32_e32 vcc, s29, v31
	v_fmac_f32_e32 v73, 0x32a5705f, v82
	v_sub_f32_e32 v72, v72, v74
	v_cndmask_b32_e32 v31, v67, v71, vcc
	v_add_f32_e32 v72, v72, v73
	v_cvt_f16_f32_e32 v71, v31
	v_exp_f32_e32 v72, v72
	v_cvt_i32_f32_e32 v73, v74
	v_cmp_ngt_f32_e32 vcc, s28, v82
	v_mul_u32_u24_e32 v89, 0x10001, v71
	v_pk_mul_f16 v54, v54, v89
	v_ldexp_f32 v71, v72, v73
	v_cndmask_b32_e32 v83, 0, v71, vcc
	v_fma_f32 v71, v84, s19, -v70
	v_rndne_f32_e32 v72, v70
	v_fmac_f32_e32 v71, 0x32a5705f, v84
	v_sub_f32_e32 v70, v70, v72
	v_add_f32_e32 v70, v70, v71
	v_exp_f32_e32 v90, v70
	v_lshl_add_u64 v[70:71], s[40:41], 0, v[18:19]
	v_lshl_add_u64 v[78:79], v[70:71], 0, v[2:3]
	;; [unrolled: 1-line block ×3, first 2 shown]
	v_cvt_i32_f32_e32 v91, v72
	v_lshl_add_u64 v[80:81], v[70:71], 0, v[2:3]
	global_load_dwordx4 v[70:73], v[78:79], off
	global_load_dwordx4 v[74:77], v[80:81], off
	v_mul_f32_e32 v80, 0x3fb8aa3b, v69
	v_cmp_nlt_f32_e32 vcc, s29, v82
	v_fma_f32 v81, v69, s19, -v80
	v_rndne_f32_e32 v82, v80
	v_fmac_f32_e32 v81, 0x32a5705f, v69
	v_sub_f32_e32 v80, v80, v82
	v_add_f32_e32 v80, v80, v81
	v_exp_f32_e32 v81, v80
	v_cvt_i32_f32_e32 v82, v82
	v_cndmask_b32_e32 v78, v67, v83, vcc
	v_ldexp_f32 v79, v90, v91
	v_cmp_ngt_f32_e32 vcc, s28, v84
	s_mul_hi_i32 s41, s31, s2
	s_mul_i32 s40, s31, s2
	v_cndmask_b32_e32 v79, 0, v79, vcc
	v_cmp_nlt_f32_e32 vcc, s29, v84
	s_lshl_b64 s[40:41], s[40:41], 2
	s_add_u32 s40, s12, s40
	v_cndmask_b32_e32 v80, v67, v79, vcc
	v_ldexp_f32 v79, v81, v82
	v_cmp_ngt_f32_e32 vcc, s28, v69
	s_addc_u32 s41, s13, s41
	s_nop 0
	v_cndmask_b32_e32 v79, 0, v79, vcc
	v_cmp_nlt_f32_e32 vcc, s29, v69
	s_nop 1
	v_cndmask_b32_e32 v82, v67, v79, vcc
	v_sub_f32_e32 v79, v85, v15
	v_mul_f32_e32 v81, 0x3fb8aa3b, v79
	v_fma_f32 v83, v79, s19, -v81
	v_rndne_f32_e32 v84, v81
	v_fmac_f32_e32 v83, 0x32a5705f, v79
	v_sub_f32_e32 v81, v81, v84
	v_add_f32_e32 v81, v81, v83
	v_cvt_f16_f32_e32 v69, v82
	v_exp_f32_e32 v81, v81
	v_cvt_i32_f32_e32 v83, v84
	v_cmp_ngt_f32_e32 vcc, s28, v79
	v_mul_u32_u24_e32 v90, 0x10001, v69
	v_pk_mul_f16 v50, v50, v90
	v_ldexp_f32 v69, v81, v83
	v_sub_f32_e32 v81, v86, v15
	v_mul_f32_e32 v83, 0x3fb8aa3b, v81
	v_fma_f32 v84, v81, s19, -v83
	v_rndne_f32_e32 v85, v83
	v_fmac_f32_e32 v84, 0x32a5705f, v81
	v_sub_f32_e32 v83, v83, v85
	v_add_f32_e32 v83, v83, v84
	v_exp_f32_e32 v83, v83
	v_cvt_i32_f32_e32 v84, v85
	v_cndmask_b32_e32 v69, 0, v69, vcc
	v_cmp_nlt_f32_e32 vcc, s29, v79
	s_nop 1
	v_cndmask_b32_e32 v79, v67, v69, vcc
	v_ldexp_f32 v69, v83, v84
	v_mul_f32_e32 v83, 0x3fb8aa3b, v68
	v_fma_f32 v84, v68, s19, -v83
	v_rndne_f32_e32 v85, v83
	v_fmac_f32_e32 v84, 0x32a5705f, v68
	v_sub_f32_e32 v83, v83, v85
	v_add_f32_e32 v83, v83, v84
	v_exp_f32_e32 v83, v83
	v_cvt_i32_f32_e32 v84, v85
	v_cmp_ngt_f32_e32 vcc, s28, v81
	s_nop 1
	v_cndmask_b32_e32 v69, 0, v69, vcc
	v_cmp_nlt_f32_e32 vcc, s29, v81
	s_nop 1
	v_cndmask_b32_e32 v81, v67, v69, vcc
	v_ldexp_f32 v69, v83, v84
	v_cmp_ngt_f32_e32 vcc, s28, v68
	v_pk_add_f32 v[84:85], v[78:79], v[80:81]
	s_nop 0
	v_cndmask_b32_e32 v69, 0, v69, vcc
	v_cmp_nlt_f32_e32 vcc, s29, v68
	s_nop 1
	v_cndmask_b32_e32 v83, v67, v69, vcc
	v_cvt_f16_f32_e32 v86, v83
	v_pk_add_f32 v[68:69], v[26:27], v[28:29]
	v_pk_fma_f32 v[10:11], v[10:11], v[82:83], v[84:85]
	v_pk_fma_f32 v[8:9], v[8:9], v[30:31], v[68:69]
	v_mul_u32_u24_e32 v30, 0x10001, v86
	v_pk_mul_f16 v45, v45, v30
	v_pk_mul_f16 v46, v46, v30
	v_add_u32_e32 v68, v63, v41
	v_cvt_pk_f16_f32 v31, v78, v79
	v_cvt_pk_f16_f32 v30, v26, v27
	;; [unrolled: 1-line block ×4, first 2 shown]
	ds_write2_b64 v68, v[30:31], v[26:27] offset1:32
	s_waitcnt vmcnt(1)
	ds_write_b128 v64, v[70:73]
	s_waitcnt vmcnt(0)
	ds_write_b128 v65, v[74:77]
	s_waitcnt lgkmcnt(0)
	s_barrier
	ds_read_b128 v[26:29], v63
	ds_read2_b64 v[68:71], v41 offset1:32
	ds_read_b128 v[72:75], v63 offset:16
	ds_read_b128 v[76:79], v63 offset:32
	;; [unrolled: 1-line block ×3, first 2 shown]
	s_waitcnt lgkmcnt(4)
	v_mul_u32_u24_sdwa v30, v26, s30 dst_sel:DWORD dst_unused:UNUSED_PAD src0_sel:WORD_0 src1_sel:DWORD
	v_mul_u32_u24_sdwa v26, v26, s30 dst_sel:DWORD dst_unused:UNUSED_PAD src0_sel:WORD_1 src1_sel:DWORD
	s_waitcnt lgkmcnt(3)
	v_pk_mul_f16 v84, v68, v30
	v_mul_u32_u24_sdwa v31, v27, s30 dst_sel:DWORD dst_unused:UNUSED_PAD src0_sel:WORD_0 src1_sel:DWORD
	v_pk_fma_f16 v52, v52, v87, v84
	v_pk_mul_f16 v84, v68, v26
	v_mul_u32_u24_sdwa v27, v27, s30 dst_sel:DWORD dst_unused:UNUSED_PAD src0_sel:WORD_1 src1_sel:DWORD
	v_pk_fma_f16 v49, v49, v89, v84
	v_pk_mul_f16 v84, v68, v31
	v_pk_fma_f16 v45, v68, v27, v45
	v_pk_fma_f16 v48, v48, v90, v84
	;; [unrolled: 1-line block ×6, first 2 shown]
	v_mul_u32_u24_sdwa v46, v28, s30 dst_sel:DWORD dst_unused:UNUSED_PAD src0_sel:WORD_0 src1_sel:DWORD
	v_mul_u32_u24_sdwa v28, v28, s30 dst_sel:DWORD dst_unused:UNUSED_PAD src0_sel:WORD_1 src1_sel:DWORD
	v_mul_u32_u24_sdwa v50, v29, s30 dst_sel:DWORD dst_unused:UNUSED_PAD src0_sel:WORD_0 src1_sel:DWORD
	v_mul_u32_u24_sdwa v29, v29, s30 dst_sel:DWORD dst_unused:UNUSED_PAD src0_sel:WORD_1 src1_sel:DWORD
	v_pk_fma_f16 v52, v70, v46, v52
	v_pk_fma_f16 v49, v70, v28, v49
	;; [unrolled: 1-line block ×8, first 2 shown]
	ds_read2_b64 v[26:29], v41 offset0:64 offset1:96
	s_waitcnt lgkmcnt(3)
	v_mul_u32_u24_sdwa v54, v72, s30 dst_sel:DWORD dst_unused:UNUSED_PAD src0_sel:WORD_0 src1_sel:DWORD
	v_mul_u32_u24_sdwa v68, v72, s30 dst_sel:DWORD dst_unused:UNUSED_PAD src0_sel:WORD_1 src1_sel:DWORD
	v_mul_u32_u24_sdwa v69, v73, s30 dst_sel:DWORD dst_unused:UNUSED_PAD src0_sel:WORD_0 src1_sel:DWORD
	v_mul_u32_u24_sdwa v70, v73, s30 dst_sel:DWORD dst_unused:UNUSED_PAD src0_sel:WORD_1 src1_sel:DWORD
	s_waitcnt lgkmcnt(0)
	v_pk_fma_f16 v52, v26, v54, v52
	v_pk_fma_f16 v49, v26, v68, v49
	;; [unrolled: 1-line block ×8, first 2 shown]
	v_mul_u32_u24_sdwa v46, v74, s30 dst_sel:DWORD dst_unused:UNUSED_PAD src0_sel:WORD_0 src1_sel:DWORD
	v_mul_u32_u24_sdwa v50, v74, s30 dst_sel:DWORD dst_unused:UNUSED_PAD src0_sel:WORD_1 src1_sel:DWORD
	v_mul_u32_u24_sdwa v54, v75, s30 dst_sel:DWORD dst_unused:UNUSED_PAD src0_sel:WORD_0 src1_sel:DWORD
	v_mul_u32_u24_sdwa v68, v75, s30 dst_sel:DWORD dst_unused:UNUSED_PAD src0_sel:WORD_1 src1_sel:DWORD
	v_pk_fma_f16 v52, v28, v46, v52
	v_pk_fma_f16 v49, v28, v50, v49
	;; [unrolled: 1-line block ×8, first 2 shown]
	ds_read2_b64 v[26:29], v41 offset0:128 offset1:160
	v_mul_u32_u24_sdwa v50, v76, s30 dst_sel:DWORD dst_unused:UNUSED_PAD src0_sel:WORD_0 src1_sel:DWORD
	v_mul_u32_u24_sdwa v54, v76, s30 dst_sel:DWORD dst_unused:UNUSED_PAD src0_sel:WORD_1 src1_sel:DWORD
	v_mul_u32_u24_sdwa v68, v77, s30 dst_sel:DWORD dst_unused:UNUSED_PAD src0_sel:WORD_0 src1_sel:DWORD
	v_mul_u32_u24_sdwa v70, v77, s30 dst_sel:DWORD dst_unused:UNUSED_PAD src0_sel:WORD_1 src1_sel:DWORD
	s_waitcnt lgkmcnt(0)
	v_pk_fma_f16 v52, v26, v50, v52
	v_pk_fma_f16 v49, v26, v54, v49
	v_pk_fma_f16 v48, v26, v68, v48
	v_pk_fma_f16 v26, v26, v70, v69
	v_pk_fma_f16 v30, v27, v50, v30
	v_pk_fma_f16 v45, v27, v54, v45
	v_pk_fma_f16 v31, v27, v68, v31
	v_pk_fma_f16 v27, v27, v70, v46
	v_mul_u32_u24_sdwa v46, v78, s30 dst_sel:DWORD dst_unused:UNUSED_PAD src0_sel:WORD_0 src1_sel:DWORD
	v_mul_u32_u24_sdwa v50, v78, s30 dst_sel:DWORD dst_unused:UNUSED_PAD src0_sel:WORD_1 src1_sel:DWORD
	v_mul_u32_u24_sdwa v54, v79, s30 dst_sel:DWORD dst_unused:UNUSED_PAD src0_sel:WORD_0 src1_sel:DWORD
	v_mul_u32_u24_sdwa v68, v79, s30 dst_sel:DWORD dst_unused:UNUSED_PAD src0_sel:WORD_1 src1_sel:DWORD
	v_pk_fma_f16 v52, v28, v46, v52
	v_pk_fma_f16 v49, v28, v50, v49
	;; [unrolled: 1-line block ×8, first 2 shown]
	ds_read2_b64 v[26:29], v41 offset0:192 offset1:224
	v_mul_u32_u24_sdwa v50, v80, s30 dst_sel:DWORD dst_unused:UNUSED_PAD src0_sel:WORD_0 src1_sel:DWORD
	v_mul_u32_u24_sdwa v54, v80, s30 dst_sel:DWORD dst_unused:UNUSED_PAD src0_sel:WORD_1 src1_sel:DWORD
	v_mul_u32_u24_sdwa v68, v81, s30 dst_sel:DWORD dst_unused:UNUSED_PAD src0_sel:WORD_0 src1_sel:DWORD
	v_mul_u32_u24_sdwa v70, v81, s30 dst_sel:DWORD dst_unused:UNUSED_PAD src0_sel:WORD_1 src1_sel:DWORD
	s_waitcnt lgkmcnt(0)
	v_pk_fma_f16 v52, v26, v50, v52
	v_pk_fma_f16 v49, v26, v54, v49
	;; [unrolled: 1-line block ×8, first 2 shown]
	v_mul_u32_u24_sdwa v72, v83, s30 dst_sel:DWORD dst_unused:UNUSED_PAD src0_sel:WORD_1 src1_sel:DWORD
	ds_read_b128 v[68:71], v63 offset:64
	v_mul_u32_u24_sdwa v46, v82, s30 dst_sel:DWORD dst_unused:UNUSED_PAD src0_sel:WORD_0 src1_sel:DWORD
	v_mul_u32_u24_sdwa v50, v82, s30 dst_sel:DWORD dst_unused:UNUSED_PAD src0_sel:WORD_1 src1_sel:DWORD
	v_mul_u32_u24_sdwa v54, v83, s30 dst_sel:DWORD dst_unused:UNUSED_PAD src0_sel:WORD_0 src1_sel:DWORD
	v_pk_fma_f16 v76, v28, v72, v26
	v_add_u32_e32 v26, 0x800, v41
	v_pk_fma_f16 v52, v28, v46, v52
	v_pk_fma_f16 v49, v28, v50, v49
	;; [unrolled: 1-line block ×7, first 2 shown]
	ds_read2_b64 v[28:31], v26 offset1:32
	ds_read_b128 v[72:75], v63 offset:80
	s_waitcnt lgkmcnt(2)
	v_mul_u32_u24_sdwa v54, v68, s30 dst_sel:DWORD dst_unused:UNUSED_PAD src0_sel:WORD_0 src1_sel:DWORD
	v_mul_u32_u24_sdwa v68, v68, s30 dst_sel:DWORD dst_unused:UNUSED_PAD src0_sel:WORD_1 src1_sel:DWORD
	v_mul_u32_u24_sdwa v77, v69, s30 dst_sel:DWORD dst_unused:UNUSED_PAD src0_sel:WORD_0 src1_sel:DWORD
	v_mul_u32_u24_sdwa v69, v69, s30 dst_sel:DWORD dst_unused:UNUSED_PAD src0_sel:WORD_1 src1_sel:DWORD
	s_waitcnt lgkmcnt(1)
	v_pk_fma_f16 v52, v28, v54, v52
	v_pk_fma_f16 v49, v28, v68, v49
	;; [unrolled: 1-line block ×8, first 2 shown]
	v_mul_u32_u24_sdwa v29, v70, s30 dst_sel:DWORD dst_unused:UNUSED_PAD src0_sel:WORD_0 src1_sel:DWORD
	v_mul_u32_u24_sdwa v54, v70, s30 dst_sel:DWORD dst_unused:UNUSED_PAD src0_sel:WORD_1 src1_sel:DWORD
	v_mul_u32_u24_sdwa v68, v71, s30 dst_sel:DWORD dst_unused:UNUSED_PAD src0_sel:WORD_0 src1_sel:DWORD
	v_mul_u32_u24_sdwa v69, v71, s30 dst_sel:DWORD dst_unused:UNUSED_PAD src0_sel:WORD_1 src1_sel:DWORD
	v_pk_fma_f16 v52, v30, v29, v52
	v_pk_fma_f16 v49, v30, v54, v49
	;; [unrolled: 1-line block ×8, first 2 shown]
	ds_read2_b64 v[28:31], v26 offset0:64 offset1:96
	s_waitcnt lgkmcnt(1)
	v_mul_u32_u24_sdwa v54, v72, s30 dst_sel:DWORD dst_unused:UNUSED_PAD src0_sel:WORD_0 src1_sel:DWORD
	v_mul_u32_u24_sdwa v68, v72, s30 dst_sel:DWORD dst_unused:UNUSED_PAD src0_sel:WORD_1 src1_sel:DWORD
	v_mul_u32_u24_sdwa v69, v73, s30 dst_sel:DWORD dst_unused:UNUSED_PAD src0_sel:WORD_0 src1_sel:DWORD
	v_mul_u32_u24_sdwa v71, v73, s30 dst_sel:DWORD dst_unused:UNUSED_PAD src0_sel:WORD_1 src1_sel:DWORD
	s_waitcnt lgkmcnt(0)
	v_pk_fma_f16 v52, v28, v54, v52
	v_pk_fma_f16 v49, v28, v68, v49
	;; [unrolled: 1-line block ×7, first 2 shown]
	ds_read_b128 v[68:71], v63 offset:96
	v_pk_fma_f16 v46, v29, v54, v46
	v_mul_u32_u24_sdwa v29, v74, s30 dst_sel:DWORD dst_unused:UNUSED_PAD src0_sel:WORD_0 src1_sel:DWORD
	v_mul_u32_u24_sdwa v54, v74, s30 dst_sel:DWORD dst_unused:UNUSED_PAD src0_sel:WORD_1 src1_sel:DWORD
	v_mul_u32_u24_sdwa v72, v75, s30 dst_sel:DWORD dst_unused:UNUSED_PAD src0_sel:WORD_0 src1_sel:DWORD
	v_mul_u32_u24_sdwa v73, v75, s30 dst_sel:DWORD dst_unused:UNUSED_PAD src0_sel:WORD_1 src1_sel:DWORD
	v_pk_fma_f16 v52, v30, v29, v52
	v_pk_fma_f16 v49, v30, v54, v49
	;; [unrolled: 1-line block ×8, first 2 shown]
	ds_read2_b64 v[28:31], v26 offset0:128 offset1:160
	ds_read_b128 v[72:75], v63 offset:112
	s_waitcnt lgkmcnt(2)
	v_mul_u32_u24_sdwa v54, v68, s30 dst_sel:DWORD dst_unused:UNUSED_PAD src0_sel:WORD_0 src1_sel:DWORD
	v_mul_u32_u24_sdwa v68, v68, s30 dst_sel:DWORD dst_unused:UNUSED_PAD src0_sel:WORD_1 src1_sel:DWORD
	v_mul_u32_u24_sdwa v77, v69, s30 dst_sel:DWORD dst_unused:UNUSED_PAD src0_sel:WORD_0 src1_sel:DWORD
	v_mul_u32_u24_sdwa v69, v69, s30 dst_sel:DWORD dst_unused:UNUSED_PAD src0_sel:WORD_1 src1_sel:DWORD
	s_waitcnt lgkmcnt(1)
	v_pk_fma_f16 v52, v28, v54, v52
	v_pk_fma_f16 v49, v28, v68, v49
	;; [unrolled: 1-line block ×8, first 2 shown]
	v_mul_u32_u24_sdwa v29, v70, s30 dst_sel:DWORD dst_unused:UNUSED_PAD src0_sel:WORD_0 src1_sel:DWORD
	v_mul_u32_u24_sdwa v54, v70, s30 dst_sel:DWORD dst_unused:UNUSED_PAD src0_sel:WORD_1 src1_sel:DWORD
	v_mul_u32_u24_sdwa v68, v71, s30 dst_sel:DWORD dst_unused:UNUSED_PAD src0_sel:WORD_0 src1_sel:DWORD
	v_mul_u32_u24_sdwa v69, v71, s30 dst_sel:DWORD dst_unused:UNUSED_PAD src0_sel:WORD_1 src1_sel:DWORD
	v_pk_fma_f16 v52, v30, v29, v52
	v_pk_fma_f16 v49, v30, v54, v49
	v_pk_fma_f16 v48, v30, v68, v48
	v_pk_fma_f16 v70, v30, v69, v28
	v_pk_fma_f16 v46, v31, v29, v46
	v_pk_fma_f16 v45, v31, v54, v45
	v_pk_fma_f16 v50, v31, v68, v50
	v_pk_fma_f16 v27, v31, v69, v27
	ds_read2_b64 v[28:31], v26 offset0:192 offset1:224
	s_waitcnt lgkmcnt(1)
	v_mul_u32_u24_sdwa v68, v72, s30 dst_sel:DWORD dst_unused:UNUSED_PAD src0_sel:WORD_1 src1_sel:DWORD
	v_mul_u32_u24_sdwa v69, v73, s30 dst_sel:DWORD dst_unused:UNUSED_PAD src0_sel:WORD_0 src1_sel:DWORD
	v_mul_u32_u24_sdwa v54, v72, s30 dst_sel:DWORD dst_unused:UNUSED_PAD src0_sel:WORD_0 src1_sel:DWORD
	v_mul_u32_u24_sdwa v71, v73, s30 dst_sel:DWORD dst_unused:UNUSED_PAD src0_sel:WORD_1 src1_sel:DWORD
	s_waitcnt lgkmcnt(0)
	v_pk_fma_f16 v49, v28, v68, v49
	v_pk_fma_f16 v48, v28, v69, v48
	;; [unrolled: 1-line block ×4, first 2 shown]
	v_mul_u32_u24_sdwa v68, v75, s30 dst_sel:DWORD dst_unused:UNUSED_PAD src0_sel:WORD_0 src1_sel:DWORD
	v_pk_fma_f16 v52, v28, v54, v52
	v_pk_fma_f16 v28, v28, v71, v70
	;; [unrolled: 1-line block ×4, first 2 shown]
	v_mul_u32_u24_sdwa v54, v74, s30 dst_sel:DWORD dst_unused:UNUSED_PAD src0_sel:WORD_1 src1_sel:DWORD
	v_mul_u32_u24_sdwa v72, v75, s30 dst_sel:DWORD dst_unused:UNUSED_PAD src0_sel:WORD_1 src1_sel:DWORD
	v_pk_fma_f16 v48, v30, v68, v48
	v_pk_fma_f16 v50, v31, v68, v50
	ds_read_b128 v[68:71], v63 offset:128
	v_mul_u32_u24_sdwa v29, v74, s30 dst_sel:DWORD dst_unused:UNUSED_PAD src0_sel:WORD_0 src1_sel:DWORD
	v_pk_fma_f16 v49, v30, v54, v49
	v_pk_fma_f16 v45, v31, v54, v45
	;; [unrolled: 1-line block ×3, first 2 shown]
	v_add_u32_e32 v27, 0x1000, v41
	v_pk_fma_f16 v52, v30, v29, v52
	v_pk_fma_f16 v76, v30, v72, v28
	;; [unrolled: 1-line block ×3, first 2 shown]
	ds_read2_b64 v[28:31], v27 offset1:32
	ds_read_b128 v[72:75], v63 offset:144
	s_waitcnt lgkmcnt(2)
	v_mul_u32_u24_sdwa v77, v68, s30 dst_sel:DWORD dst_unused:UNUSED_PAD src0_sel:WORD_0 src1_sel:DWORD
	v_mul_u32_u24_sdwa v68, v68, s30 dst_sel:DWORD dst_unused:UNUSED_PAD src0_sel:WORD_1 src1_sel:DWORD
	v_mul_u32_u24_sdwa v78, v69, s30 dst_sel:DWORD dst_unused:UNUSED_PAD src0_sel:WORD_0 src1_sel:DWORD
	v_mul_u32_u24_sdwa v69, v69, s30 dst_sel:DWORD dst_unused:UNUSED_PAD src0_sel:WORD_1 src1_sel:DWORD
	s_waitcnt lgkmcnt(1)
	v_pk_fma_f16 v52, v28, v77, v52
	v_pk_fma_f16 v49, v28, v68, v49
	;; [unrolled: 1-line block ×8, first 2 shown]
	v_mul_u32_u24_sdwa v54, v70, s30 dst_sel:DWORD dst_unused:UNUSED_PAD src0_sel:WORD_0 src1_sel:DWORD
	v_mul_u32_u24_sdwa v68, v70, s30 dst_sel:DWORD dst_unused:UNUSED_PAD src0_sel:WORD_1 src1_sel:DWORD
	v_mul_u32_u24_sdwa v69, v71, s30 dst_sel:DWORD dst_unused:UNUSED_PAD src0_sel:WORD_0 src1_sel:DWORD
	v_mul_u32_u24_sdwa v70, v71, s30 dst_sel:DWORD dst_unused:UNUSED_PAD src0_sel:WORD_1 src1_sel:DWORD
	v_pk_fma_f16 v52, v30, v54, v52
	v_pk_fma_f16 v49, v30, v68, v49
	;; [unrolled: 1-line block ×8, first 2 shown]
	ds_read2_b64 v[28:31], v27 offset0:64 offset1:96
	s_waitcnt lgkmcnt(1)
	v_mul_u32_u24_sdwa v68, v72, s30 dst_sel:DWORD dst_unused:UNUSED_PAD src0_sel:WORD_0 src1_sel:DWORD
	v_mul_u32_u24_sdwa v69, v72, s30 dst_sel:DWORD dst_unused:UNUSED_PAD src0_sel:WORD_1 src1_sel:DWORD
	v_mul_u32_u24_sdwa v70, v73, s30 dst_sel:DWORD dst_unused:UNUSED_PAD src0_sel:WORD_0 src1_sel:DWORD
	v_mul_u32_u24_sdwa v72, v73, s30 dst_sel:DWORD dst_unused:UNUSED_PAD src0_sel:WORD_1 src1_sel:DWORD
	s_waitcnt lgkmcnt(0)
	v_pk_fma_f16 v52, v28, v68, v52
	v_pk_fma_f16 v49, v28, v69, v49
	;; [unrolled: 1-line block ×4, first 2 shown]
	v_mul_u32_u24_sdwa v68, v74, s30 dst_sel:DWORD dst_unused:UNUSED_PAD src0_sel:WORD_1 src1_sel:DWORD
	v_pk_fma_f16 v48, v28, v70, v48
	v_pk_fma_f16 v28, v28, v72, v71
	;; [unrolled: 1-line block ×5, first 2 shown]
	ds_read_b128 v[68:71], v63 offset:160
	v_pk_fma_f16 v29, v29, v72, v54
	v_mul_u32_u24_sdwa v54, v74, s30 dst_sel:DWORD dst_unused:UNUSED_PAD src0_sel:WORD_0 src1_sel:DWORD
	v_mul_u32_u24_sdwa v72, v75, s30 dst_sel:DWORD dst_unused:UNUSED_PAD src0_sel:WORD_0 src1_sel:DWORD
	v_mul_u32_u24_sdwa v73, v75, s30 dst_sel:DWORD dst_unused:UNUSED_PAD src0_sel:WORD_1 src1_sel:DWORD
	v_pk_fma_f16 v52, v30, v54, v52
	v_pk_fma_f16 v48, v30, v72, v48
	;; [unrolled: 1-line block ×6, first 2 shown]
	ds_read2_b64 v[28:31], v27 offset0:128 offset1:160
	ds_read_b128 v[72:75], v63 offset:176
	s_waitcnt lgkmcnt(2)
	v_mul_u32_u24_sdwa v77, v68, s30 dst_sel:DWORD dst_unused:UNUSED_PAD src0_sel:WORD_0 src1_sel:DWORD
	v_mul_u32_u24_sdwa v68, v68, s30 dst_sel:DWORD dst_unused:UNUSED_PAD src0_sel:WORD_1 src1_sel:DWORD
	v_mul_u32_u24_sdwa v78, v69, s30 dst_sel:DWORD dst_unused:UNUSED_PAD src0_sel:WORD_0 src1_sel:DWORD
	v_mul_u32_u24_sdwa v69, v69, s30 dst_sel:DWORD dst_unused:UNUSED_PAD src0_sel:WORD_1 src1_sel:DWORD
	s_waitcnt lgkmcnt(1)
	v_pk_fma_f16 v52, v28, v77, v52
	v_pk_fma_f16 v49, v28, v68, v49
	v_pk_fma_f16 v48, v28, v78, v48
	v_pk_fma_f16 v28, v28, v69, v76
	v_pk_fma_f16 v46, v29, v77, v46
	v_pk_fma_f16 v45, v29, v68, v45
	v_pk_fma_f16 v50, v29, v78, v50
	v_pk_fma_f16 v29, v29, v69, v54
	v_mul_u32_u24_sdwa v54, v70, s30 dst_sel:DWORD dst_unused:UNUSED_PAD src0_sel:WORD_0 src1_sel:DWORD
	v_mul_u32_u24_sdwa v68, v70, s30 dst_sel:DWORD dst_unused:UNUSED_PAD src0_sel:WORD_1 src1_sel:DWORD
	v_mul_u32_u24_sdwa v69, v71, s30 dst_sel:DWORD dst_unused:UNUSED_PAD src0_sel:WORD_0 src1_sel:DWORD
	v_mul_u32_u24_sdwa v70, v71, s30 dst_sel:DWORD dst_unused:UNUSED_PAD src0_sel:WORD_1 src1_sel:DWORD
	v_pk_fma_f16 v52, v30, v54, v52
	v_pk_fma_f16 v49, v30, v68, v49
	;; [unrolled: 1-line block ×8, first 2 shown]
	ds_read2_b64 v[28:31], v27 offset0:192 offset1:224
	s_waitcnt lgkmcnt(1)
	v_mul_u32_u24_sdwa v68, v72, s30 dst_sel:DWORD dst_unused:UNUSED_PAD src0_sel:WORD_0 src1_sel:DWORD
	v_mul_u32_u24_sdwa v69, v72, s30 dst_sel:DWORD dst_unused:UNUSED_PAD src0_sel:WORD_1 src1_sel:DWORD
	v_mul_u32_u24_sdwa v70, v73, s30 dst_sel:DWORD dst_unused:UNUSED_PAD src0_sel:WORD_0 src1_sel:DWORD
	v_mul_u32_u24_sdwa v72, v73, s30 dst_sel:DWORD dst_unused:UNUSED_PAD src0_sel:WORD_1 src1_sel:DWORD
	s_waitcnt lgkmcnt(0)
	v_pk_fma_f16 v52, v28, v68, v52
	v_pk_fma_f16 v49, v28, v69, v49
	;; [unrolled: 1-line block ×6, first 2 shown]
	v_mul_u32_u24_sdwa v68, v74, s30 dst_sel:DWORD dst_unused:UNUSED_PAD src0_sel:WORD_1 src1_sel:DWORD
	v_mul_u32_u24_sdwa v69, v75, s30 dst_sel:DWORD dst_unused:UNUSED_PAD src0_sel:WORD_0 src1_sel:DWORD
	v_pk_fma_f16 v28, v28, v72, v71
	v_pk_fma_f16 v29, v29, v72, v54
	v_mul_u32_u24_sdwa v54, v74, s30 dst_sel:DWORD dst_unused:UNUSED_PAD src0_sel:WORD_0 src1_sel:DWORD
	v_mul_u32_u24_sdwa v72, v75, s30 dst_sel:DWORD dst_unused:UNUSED_PAD src0_sel:WORD_1 src1_sel:DWORD
	v_pk_fma_f16 v49, v30, v68, v49
	v_pk_fma_f16 v48, v30, v69, v48
	v_pk_fma_f16 v45, v31, v68, v45
	v_pk_fma_f16 v50, v31, v69, v50
	ds_read_b128 v[68:71], v63 offset:192
	v_pk_fma_f16 v52, v30, v54, v52
	v_pk_fma_f16 v30, v30, v72, v28
	v_add_u32_e32 v28, 0x1800, v41
	v_pk_fma_f16 v29, v31, v72, v29
	ds_read2_b64 v[72:75], v28 offset1:32
	ds_read_b128 v[76:79], v63 offset:208
	v_pk_fma_f16 v46, v31, v54, v46
	s_waitcnt lgkmcnt(2)
	v_mul_u32_u24_sdwa v31, v68, s30 dst_sel:DWORD dst_unused:UNUSED_PAD src0_sel:WORD_0 src1_sel:DWORD
	v_mul_u32_u24_sdwa v54, v68, s30 dst_sel:DWORD dst_unused:UNUSED_PAD src0_sel:WORD_1 src1_sel:DWORD
	v_mul_u32_u24_sdwa v68, v69, s30 dst_sel:DWORD dst_unused:UNUSED_PAD src0_sel:WORD_0 src1_sel:DWORD
	v_mul_u32_u24_sdwa v69, v69, s30 dst_sel:DWORD dst_unused:UNUSED_PAD src0_sel:WORD_1 src1_sel:DWORD
	s_waitcnt lgkmcnt(1)
	v_pk_fma_f16 v52, v72, v31, v52
	v_pk_fma_f16 v49, v72, v54, v49
	;; [unrolled: 1-line block ×8, first 2 shown]
	v_mul_u32_u24_sdwa v73, v70, s30 dst_sel:DWORD dst_unused:UNUSED_PAD src0_sel:WORD_1 src1_sel:DWORD
	v_lshl_add_u64 v[30:31], s[40:41], 0, v[18:19]
	v_pk_fma_f16 v107, v74, v73, v49
	v_lshl_add_u64 v[30:31], v[30:31], 0, v[2:3]
	v_lshl_add_u64 v[48:49], s[40:41], 0, v[24:25]
	v_mul_u32_u24_sdwa v54, v70, s30 dst_sel:DWORD dst_unused:UNUSED_PAD src0_sel:WORD_0 src1_sel:DWORD
	v_mul_u32_u24_sdwa v105, v71, s30 dst_sel:DWORD dst_unused:UNUSED_PAD src0_sel:WORD_0 src1_sel:DWORD
	v_mul_u32_u24_sdwa v106, v71, s30 dst_sel:DWORD dst_unused:UNUSED_PAD src0_sel:WORD_1 src1_sel:DWORD
	ds_read2_b64 v[68:71], v28 offset0:64 offset1:96
	ds_read2_b64 v[80:83], v28 offset0:128 offset1:160
	;; [unrolled: 1-line block ×3, first 2 shown]
	ds_read_b128 v[88:91], v63 offset:224
	ds_read_b128 v[92:95], v63 offset:240
	s_waitcnt lgkmcnt(0)
	s_barrier
	v_lshl_add_u64 v[48:49], v[48:49], 0, v[2:3]
	global_load_dwordx4 v[96:99], v[30:31], off
	global_load_dwordx4 v[100:103], v[48:49], off
	v_pk_fma_f16 v52, v74, v54, v52
	v_pk_fma_f16 v30, v74, v105, v104
	v_pk_fma_f16 v31, v74, v106, v72
	v_pk_fma_f16 v46, v75, v54, v46
	v_pk_fma_f16 v45, v75, v73, v45
	v_pk_fma_f16 v48, v75, v105, v50
	v_pk_fma_f16 v29, v75, v106, v29
	v_mul_u32_u24_sdwa v49, v76, s30 dst_sel:DWORD dst_unused:UNUSED_PAD src0_sel:WORD_0 src1_sel:DWORD
	v_mul_u32_u24_sdwa v50, v76, s30 dst_sel:DWORD dst_unused:UNUSED_PAD src0_sel:WORD_1 src1_sel:DWORD
	v_mul_u32_u24_sdwa v54, v77, s30 dst_sel:DWORD dst_unused:UNUSED_PAD src0_sel:WORD_0 src1_sel:DWORD
	v_mul_u32_u24_sdwa v72, v77, s30 dst_sel:DWORD dst_unused:UNUSED_PAD src0_sel:WORD_1 src1_sel:DWORD
	v_pk_fma_f16 v52, v68, v49, v52
	v_pk_fma_f16 v73, v68, v50, v107
	v_pk_fma_f16 v30, v68, v54, v30
	v_pk_fma_f16 v31, v68, v72, v31
	v_pk_fma_f16 v46, v69, v49, v46
	v_pk_fma_f16 v45, v69, v50, v45
	v_pk_fma_f16 v48, v69, v54, v48
	v_pk_fma_f16 v29, v69, v72, v29
	v_mul_u32_u24_sdwa v49, v78, s30 dst_sel:DWORD dst_unused:UNUSED_PAD src0_sel:WORD_0 src1_sel:DWORD
	v_mul_u32_u24_sdwa v50, v78, s30 dst_sel:DWORD dst_unused:UNUSED_PAD src0_sel:WORD_1 src1_sel:DWORD
	v_mul_u32_u24_sdwa v54, v79, s30 dst_sel:DWORD dst_unused:UNUSED_PAD src0_sel:WORD_0 src1_sel:DWORD
	v_mul_u32_u24_sdwa v68, v79, s30 dst_sel:DWORD dst_unused:UNUSED_PAD src0_sel:WORD_1 src1_sel:DWORD
	v_pk_fma_f16 v52, v70, v49, v52
	;; [unrolled: 12-line block ×6, first 2 shown]
	v_pk_fma_f16 v88, v86, v50, v69
	v_pk_fma_f16 v30, v86, v54, v30
	;; [unrolled: 1-line block ×7, first 2 shown]
	s_waitcnt vmcnt(1)
	ds_write_b128 v64, v[96:99]
	s_waitcnt vmcnt(0)
	ds_write_b128 v65, v[100:103]
	s_waitcnt lgkmcnt(0)
	s_barrier
	ds_read_b128 v[68:71], v63 offset:256
	ds_read2_b64 v[72:75], v41 offset1:32
	ds_read_b128 v[76:79], v63 offset:272
	ds_read_b128 v[80:83], v63 offset:288
	;; [unrolled: 1-line block ×3, first 2 shown]
	s_waitcnt lgkmcnt(4)
	v_mul_u32_u24_sdwa v49, v68, s30 dst_sel:DWORD dst_unused:UNUSED_PAD src0_sel:WORD_0 src1_sel:DWORD
	v_mul_u32_u24_sdwa v50, v68, s30 dst_sel:DWORD dst_unused:UNUSED_PAD src0_sel:WORD_1 src1_sel:DWORD
	v_mul_u32_u24_sdwa v68, v69, s30 dst_sel:DWORD dst_unused:UNUSED_PAD src0_sel:WORD_1 src1_sel:DWORD
	v_mul_u32_u24_sdwa v54, v69, s30 dst_sel:DWORD dst_unused:UNUSED_PAD src0_sel:WORD_0 src1_sel:DWORD
	s_waitcnt lgkmcnt(3)
	v_pk_fma_f16 v69, v72, v50, v88
	v_pk_fma_f16 v31, v72, v68, v31
	;; [unrolled: 1-line block ×4, first 2 shown]
	v_mul_u32_u24_sdwa v50, v70, s30 dst_sel:DWORD dst_unused:UNUSED_PAD src0_sel:WORD_1 src1_sel:DWORD
	v_mul_u32_u24_sdwa v68, v71, s30 dst_sel:DWORD dst_unused:UNUSED_PAD src0_sel:WORD_1 src1_sel:DWORD
	v_pk_fma_f16 v52, v72, v49, v52
	v_pk_fma_f16 v30, v72, v54, v30
	v_pk_fma_f16 v46, v73, v49, v46
	v_pk_fma_f16 v48, v73, v54, v48
	v_mul_u32_u24_sdwa v49, v70, s30 dst_sel:DWORD dst_unused:UNUSED_PAD src0_sel:WORD_0 src1_sel:DWORD
	v_mul_u32_u24_sdwa v54, v71, s30 dst_sel:DWORD dst_unused:UNUSED_PAD src0_sel:WORD_0 src1_sel:DWORD
	v_pk_fma_f16 v72, v74, v50, v69
	v_pk_fma_f16 v31, v74, v68, v31
	;; [unrolled: 1-line block ×3, first 2 shown]
	ds_read2_b64 v[68:71], v41 offset0:64 offset1:96
	v_pk_fma_f16 v52, v74, v49, v52
	v_pk_fma_f16 v30, v74, v54, v30
	;; [unrolled: 1-line block ×5, first 2 shown]
	s_waitcnt lgkmcnt(3)
	v_mul_u32_u24_sdwa v49, v76, s30 dst_sel:DWORD dst_unused:UNUSED_PAD src0_sel:WORD_0 src1_sel:DWORD
	v_mul_u32_u24_sdwa v50, v76, s30 dst_sel:DWORD dst_unused:UNUSED_PAD src0_sel:WORD_1 src1_sel:DWORD
	v_mul_u32_u24_sdwa v54, v77, s30 dst_sel:DWORD dst_unused:UNUSED_PAD src0_sel:WORD_0 src1_sel:DWORD
	v_mul_u32_u24_sdwa v73, v77, s30 dst_sel:DWORD dst_unused:UNUSED_PAD src0_sel:WORD_1 src1_sel:DWORD
	s_waitcnt lgkmcnt(0)
	v_pk_fma_f16 v52, v68, v49, v52
	v_pk_fma_f16 v72, v68, v50, v72
	;; [unrolled: 1-line block ×8, first 2 shown]
	v_mul_u32_u24_sdwa v49, v78, s30 dst_sel:DWORD dst_unused:UNUSED_PAD src0_sel:WORD_0 src1_sel:DWORD
	v_mul_u32_u24_sdwa v50, v78, s30 dst_sel:DWORD dst_unused:UNUSED_PAD src0_sel:WORD_1 src1_sel:DWORD
	v_mul_u32_u24_sdwa v54, v79, s30 dst_sel:DWORD dst_unused:UNUSED_PAD src0_sel:WORD_0 src1_sel:DWORD
	v_mul_u32_u24_sdwa v68, v79, s30 dst_sel:DWORD dst_unused:UNUSED_PAD src0_sel:WORD_1 src1_sel:DWORD
	v_pk_fma_f16 v52, v70, v49, v52
	v_pk_fma_f16 v72, v70, v50, v72
	;; [unrolled: 1-line block ×8, first 2 shown]
	ds_read2_b64 v[68:71], v41 offset0:128 offset1:160
	v_mul_u32_u24_sdwa v49, v80, s30 dst_sel:DWORD dst_unused:UNUSED_PAD src0_sel:WORD_0 src1_sel:DWORD
	v_mul_u32_u24_sdwa v50, v80, s30 dst_sel:DWORD dst_unused:UNUSED_PAD src0_sel:WORD_1 src1_sel:DWORD
	v_mul_u32_u24_sdwa v54, v81, s30 dst_sel:DWORD dst_unused:UNUSED_PAD src0_sel:WORD_0 src1_sel:DWORD
	v_mul_u32_u24_sdwa v73, v81, s30 dst_sel:DWORD dst_unused:UNUSED_PAD src0_sel:WORD_1 src1_sel:DWORD
	s_waitcnt lgkmcnt(0)
	v_pk_fma_f16 v52, v68, v49, v52
	v_pk_fma_f16 v72, v68, v50, v72
	v_pk_fma_f16 v30, v68, v54, v30
	v_pk_fma_f16 v31, v68, v73, v31
	v_pk_fma_f16 v46, v69, v49, v46
	v_pk_fma_f16 v45, v69, v50, v45
	v_pk_fma_f16 v48, v69, v54, v48
	v_pk_fma_f16 v29, v69, v73, v29
	v_mul_u32_u24_sdwa v49, v82, s30 dst_sel:DWORD dst_unused:UNUSED_PAD src0_sel:WORD_0 src1_sel:DWORD
	v_mul_u32_u24_sdwa v50, v82, s30 dst_sel:DWORD dst_unused:UNUSED_PAD src0_sel:WORD_1 src1_sel:DWORD
	v_mul_u32_u24_sdwa v54, v83, s30 dst_sel:DWORD dst_unused:UNUSED_PAD src0_sel:WORD_0 src1_sel:DWORD
	v_mul_u32_u24_sdwa v68, v83, s30 dst_sel:DWORD dst_unused:UNUSED_PAD src0_sel:WORD_1 src1_sel:DWORD
	v_pk_fma_f16 v52, v70, v49, v52
	v_pk_fma_f16 v72, v70, v50, v72
	v_pk_fma_f16 v30, v70, v54, v30
	v_pk_fma_f16 v31, v70, v68, v31
	v_pk_fma_f16 v46, v71, v49, v46
	v_pk_fma_f16 v45, v71, v50, v45
	v_pk_fma_f16 v48, v71, v54, v48
	v_pk_fma_f16 v29, v71, v68, v29
	ds_read2_b64 v[68:71], v41 offset0:192 offset1:224
	v_mul_u32_u24_sdwa v50, v84, s30 dst_sel:DWORD dst_unused:UNUSED_PAD src0_sel:WORD_1 src1_sel:DWORD
	v_mul_u32_u24_sdwa v73, v85, s30 dst_sel:DWORD dst_unused:UNUSED_PAD src0_sel:WORD_1 src1_sel:DWORD
	v_mul_u32_u24_sdwa v49, v84, s30 dst_sel:DWORD dst_unused:UNUSED_PAD src0_sel:WORD_0 src1_sel:DWORD
	v_mul_u32_u24_sdwa v54, v85, s30 dst_sel:DWORD dst_unused:UNUSED_PAD src0_sel:WORD_0 src1_sel:DWORD
	s_waitcnt lgkmcnt(0)
	v_pk_fma_f16 v72, v68, v50, v72
	v_pk_fma_f16 v45, v69, v50, v45
	v_mul_u32_u24_sdwa v50, v86, s30 dst_sel:DWORD dst_unused:UNUSED_PAD src0_sel:WORD_1 src1_sel:DWORD
	v_pk_fma_f16 v31, v68, v73, v31
	v_pk_fma_f16 v29, v69, v73, v29
	;; [unrolled: 1-line block ×3, first 2 shown]
	ds_read_b128 v[72:75], v63 offset:320
	v_pk_fma_f16 v52, v68, v49, v52
	v_pk_fma_f16 v30, v68, v54, v30
	;; [unrolled: 1-line block ×4, first 2 shown]
	v_mul_u32_u24_sdwa v49, v86, s30 dst_sel:DWORD dst_unused:UNUSED_PAD src0_sel:WORD_0 src1_sel:DWORD
	v_mul_u32_u24_sdwa v54, v87, s30 dst_sel:DWORD dst_unused:UNUSED_PAD src0_sel:WORD_0 src1_sel:DWORD
	v_mul_u32_u24_sdwa v68, v87, s30 dst_sel:DWORD dst_unused:UNUSED_PAD src0_sel:WORD_1 src1_sel:DWORD
	v_pk_fma_f16 v52, v70, v49, v52
	v_pk_fma_f16 v30, v70, v54, v30
	;; [unrolled: 1-line block ×7, first 2 shown]
	ds_read2_b64 v[68:71], v26 offset1:32
	ds_read_b128 v[76:79], v63 offset:336
	s_waitcnt lgkmcnt(2)
	v_mul_u32_u24_sdwa v49, v72, s30 dst_sel:DWORD dst_unused:UNUSED_PAD src0_sel:WORD_0 src1_sel:DWORD
	v_mul_u32_u24_sdwa v50, v72, s30 dst_sel:DWORD dst_unused:UNUSED_PAD src0_sel:WORD_1 src1_sel:DWORD
	v_mul_u32_u24_sdwa v54, v73, s30 dst_sel:DWORD dst_unused:UNUSED_PAD src0_sel:WORD_0 src1_sel:DWORD
	v_mul_u32_u24_sdwa v72, v73, s30 dst_sel:DWORD dst_unused:UNUSED_PAD src0_sel:WORD_1 src1_sel:DWORD
	s_waitcnt lgkmcnt(1)
	v_pk_fma_f16 v52, v68, v49, v52
	v_pk_fma_f16 v73, v68, v50, v80
	;; [unrolled: 1-line block ×8, first 2 shown]
	v_mul_u32_u24_sdwa v49, v74, s30 dst_sel:DWORD dst_unused:UNUSED_PAD src0_sel:WORD_0 src1_sel:DWORD
	v_mul_u32_u24_sdwa v50, v74, s30 dst_sel:DWORD dst_unused:UNUSED_PAD src0_sel:WORD_1 src1_sel:DWORD
	v_mul_u32_u24_sdwa v54, v75, s30 dst_sel:DWORD dst_unused:UNUSED_PAD src0_sel:WORD_0 src1_sel:DWORD
	v_mul_u32_u24_sdwa v68, v75, s30 dst_sel:DWORD dst_unused:UNUSED_PAD src0_sel:WORD_1 src1_sel:DWORD
	v_pk_fma_f16 v52, v70, v49, v52
	v_pk_fma_f16 v72, v70, v50, v73
	;; [unrolled: 1-line block ×8, first 2 shown]
	ds_read2_b64 v[68:71], v26 offset0:64 offset1:96
	s_waitcnt lgkmcnt(1)
	v_mul_u32_u24_sdwa v50, v76, s30 dst_sel:DWORD dst_unused:UNUSED_PAD src0_sel:WORD_1 src1_sel:DWORD
	v_mul_u32_u24_sdwa v73, v77, s30 dst_sel:DWORD dst_unused:UNUSED_PAD src0_sel:WORD_1 src1_sel:DWORD
	v_mul_u32_u24_sdwa v49, v76, s30 dst_sel:DWORD dst_unused:UNUSED_PAD src0_sel:WORD_0 src1_sel:DWORD
	v_mul_u32_u24_sdwa v54, v77, s30 dst_sel:DWORD dst_unused:UNUSED_PAD src0_sel:WORD_0 src1_sel:DWORD
	s_waitcnt lgkmcnt(0)
	v_pk_fma_f16 v72, v68, v50, v72
	v_pk_fma_f16 v45, v69, v50, v45
	v_mul_u32_u24_sdwa v50, v78, s30 dst_sel:DWORD dst_unused:UNUSED_PAD src0_sel:WORD_1 src1_sel:DWORD
	v_pk_fma_f16 v31, v68, v73, v31
	v_pk_fma_f16 v29, v69, v73, v29
	;; [unrolled: 1-line block ×3, first 2 shown]
	ds_read_b128 v[72:75], v63 offset:352
	v_pk_fma_f16 v52, v68, v49, v52
	v_pk_fma_f16 v30, v68, v54, v30
	;; [unrolled: 1-line block ×4, first 2 shown]
	v_mul_u32_u24_sdwa v49, v78, s30 dst_sel:DWORD dst_unused:UNUSED_PAD src0_sel:WORD_0 src1_sel:DWORD
	v_mul_u32_u24_sdwa v54, v79, s30 dst_sel:DWORD dst_unused:UNUSED_PAD src0_sel:WORD_0 src1_sel:DWORD
	v_mul_u32_u24_sdwa v68, v79, s30 dst_sel:DWORD dst_unused:UNUSED_PAD src0_sel:WORD_1 src1_sel:DWORD
	v_pk_fma_f16 v52, v70, v49, v52
	v_pk_fma_f16 v30, v70, v54, v30
	;; [unrolled: 1-line block ×7, first 2 shown]
	ds_read2_b64 v[68:71], v26 offset0:128 offset1:160
	ds_read_b128 v[76:79], v63 offset:368
	s_waitcnt lgkmcnt(2)
	v_mul_u32_u24_sdwa v49, v72, s30 dst_sel:DWORD dst_unused:UNUSED_PAD src0_sel:WORD_0 src1_sel:DWORD
	v_mul_u32_u24_sdwa v50, v72, s30 dst_sel:DWORD dst_unused:UNUSED_PAD src0_sel:WORD_1 src1_sel:DWORD
	v_mul_u32_u24_sdwa v54, v73, s30 dst_sel:DWORD dst_unused:UNUSED_PAD src0_sel:WORD_0 src1_sel:DWORD
	v_mul_u32_u24_sdwa v72, v73, s30 dst_sel:DWORD dst_unused:UNUSED_PAD src0_sel:WORD_1 src1_sel:DWORD
	s_waitcnt lgkmcnt(1)
	v_pk_fma_f16 v52, v68, v49, v52
	v_pk_fma_f16 v73, v68, v50, v80
	;; [unrolled: 1-line block ×8, first 2 shown]
	v_mul_u32_u24_sdwa v49, v74, s30 dst_sel:DWORD dst_unused:UNUSED_PAD src0_sel:WORD_0 src1_sel:DWORD
	v_mul_u32_u24_sdwa v50, v74, s30 dst_sel:DWORD dst_unused:UNUSED_PAD src0_sel:WORD_1 src1_sel:DWORD
	v_mul_u32_u24_sdwa v54, v75, s30 dst_sel:DWORD dst_unused:UNUSED_PAD src0_sel:WORD_0 src1_sel:DWORD
	v_mul_u32_u24_sdwa v68, v75, s30 dst_sel:DWORD dst_unused:UNUSED_PAD src0_sel:WORD_1 src1_sel:DWORD
	v_pk_fma_f16 v52, v70, v49, v52
	v_pk_fma_f16 v72, v70, v50, v73
	;; [unrolled: 1-line block ×8, first 2 shown]
	ds_read2_b64 v[68:71], v26 offset0:192 offset1:224
	s_waitcnt lgkmcnt(1)
	v_mul_u32_u24_sdwa v49, v76, s30 dst_sel:DWORD dst_unused:UNUSED_PAD src0_sel:WORD_1 src1_sel:DWORD
	v_mul_u32_u24_sdwa v26, v76, s30 dst_sel:DWORD dst_unused:UNUSED_PAD src0_sel:WORD_0 src1_sel:DWORD
	v_mul_u32_u24_sdwa v50, v77, s30 dst_sel:DWORD dst_unused:UNUSED_PAD src0_sel:WORD_0 src1_sel:DWORD
	v_mul_u32_u24_sdwa v54, v77, s30 dst_sel:DWORD dst_unused:UNUSED_PAD src0_sel:WORD_1 src1_sel:DWORD
	s_waitcnt lgkmcnt(0)
	v_pk_fma_f16 v72, v68, v49, v72
	v_pk_fma_f16 v45, v69, v49, v45
	v_mul_u32_u24_sdwa v49, v78, s30 dst_sel:DWORD dst_unused:UNUSED_PAD src0_sel:WORD_1 src1_sel:DWORD
	v_pk_fma_f16 v80, v70, v49, v72
	ds_read_b128 v[72:75], v63 offset:384
	v_pk_fma_f16 v52, v68, v26, v52
	v_pk_fma_f16 v30, v68, v50, v30
	v_pk_fma_f16 v31, v68, v54, v31
	v_pk_fma_f16 v26, v69, v26, v46
	v_pk_fma_f16 v46, v69, v50, v48
	v_pk_fma_f16 v29, v69, v54, v29
	v_mul_u32_u24_sdwa v48, v78, s30 dst_sel:DWORD dst_unused:UNUSED_PAD src0_sel:WORD_0 src1_sel:DWORD
	v_mul_u32_u24_sdwa v50, v79, s30 dst_sel:DWORD dst_unused:UNUSED_PAD src0_sel:WORD_0 src1_sel:DWORD
	v_mul_u32_u24_sdwa v54, v79, s30 dst_sel:DWORD dst_unused:UNUSED_PAD src0_sel:WORD_1 src1_sel:DWORD
	v_pk_fma_f16 v52, v70, v48, v52
	v_pk_fma_f16 v30, v70, v50, v30
	;; [unrolled: 1-line block ×7, first 2 shown]
	ds_read2_b64 v[68:71], v27 offset1:32
	ds_read_b128 v[76:79], v63 offset:400
	s_waitcnt lgkmcnt(2)
	v_mul_u32_u24_sdwa v48, v72, s30 dst_sel:DWORD dst_unused:UNUSED_PAD src0_sel:WORD_0 src1_sel:DWORD
	v_mul_u32_u24_sdwa v49, v72, s30 dst_sel:DWORD dst_unused:UNUSED_PAD src0_sel:WORD_1 src1_sel:DWORD
	v_mul_u32_u24_sdwa v50, v73, s30 dst_sel:DWORD dst_unused:UNUSED_PAD src0_sel:WORD_0 src1_sel:DWORD
	v_mul_u32_u24_sdwa v54, v73, s30 dst_sel:DWORD dst_unused:UNUSED_PAD src0_sel:WORD_1 src1_sel:DWORD
	s_waitcnt lgkmcnt(1)
	v_pk_fma_f16 v52, v68, v48, v52
	v_pk_fma_f16 v72, v68, v49, v80
	;; [unrolled: 1-line block ×8, first 2 shown]
	v_mul_u32_u24_sdwa v48, v74, s30 dst_sel:DWORD dst_unused:UNUSED_PAD src0_sel:WORD_0 src1_sel:DWORD
	v_mul_u32_u24_sdwa v49, v74, s30 dst_sel:DWORD dst_unused:UNUSED_PAD src0_sel:WORD_1 src1_sel:DWORD
	v_mul_u32_u24_sdwa v50, v75, s30 dst_sel:DWORD dst_unused:UNUSED_PAD src0_sel:WORD_0 src1_sel:DWORD
	v_mul_u32_u24_sdwa v54, v75, s30 dst_sel:DWORD dst_unused:UNUSED_PAD src0_sel:WORD_1 src1_sel:DWORD
	v_pk_fma_f16 v52, v70, v48, v52
	v_pk_fma_f16 v72, v70, v49, v72
	;; [unrolled: 1-line block ×8, first 2 shown]
	ds_read2_b64 v[68:71], v27 offset0:64 offset1:96
	s_waitcnt lgkmcnt(1)
	v_mul_u32_u24_sdwa v49, v76, s30 dst_sel:DWORD dst_unused:UNUSED_PAD src0_sel:WORD_1 src1_sel:DWORD
	v_mul_u32_u24_sdwa v48, v76, s30 dst_sel:DWORD dst_unused:UNUSED_PAD src0_sel:WORD_0 src1_sel:DWORD
	v_mul_u32_u24_sdwa v50, v77, s30 dst_sel:DWORD dst_unused:UNUSED_PAD src0_sel:WORD_0 src1_sel:DWORD
	v_mul_u32_u24_sdwa v54, v77, s30 dst_sel:DWORD dst_unused:UNUSED_PAD src0_sel:WORD_1 src1_sel:DWORD
	s_waitcnt lgkmcnt(0)
	v_pk_fma_f16 v72, v68, v49, v72
	v_pk_fma_f16 v45, v69, v49, v45
	v_mul_u32_u24_sdwa v49, v78, s30 dst_sel:DWORD dst_unused:UNUSED_PAD src0_sel:WORD_1 src1_sel:DWORD
	v_pk_fma_f16 v80, v70, v49, v72
	ds_read_b128 v[72:75], v63 offset:416
	v_pk_fma_f16 v52, v68, v48, v52
	v_pk_fma_f16 v30, v68, v50, v30
	;; [unrolled: 1-line block ×6, first 2 shown]
	v_mul_u32_u24_sdwa v48, v78, s30 dst_sel:DWORD dst_unused:UNUSED_PAD src0_sel:WORD_0 src1_sel:DWORD
	v_mul_u32_u24_sdwa v50, v79, s30 dst_sel:DWORD dst_unused:UNUSED_PAD src0_sel:WORD_0 src1_sel:DWORD
	v_mul_u32_u24_sdwa v54, v79, s30 dst_sel:DWORD dst_unused:UNUSED_PAD src0_sel:WORD_1 src1_sel:DWORD
	v_pk_fma_f16 v52, v70, v48, v52
	v_pk_fma_f16 v30, v70, v50, v30
	;; [unrolled: 1-line block ×7, first 2 shown]
	ds_read2_b64 v[68:71], v27 offset0:128 offset1:160
	ds_read_b128 v[76:79], v63 offset:432
	s_waitcnt lgkmcnt(2)
	v_mul_u32_u24_sdwa v48, v72, s30 dst_sel:DWORD dst_unused:UNUSED_PAD src0_sel:WORD_0 src1_sel:DWORD
	v_mul_u32_u24_sdwa v49, v72, s30 dst_sel:DWORD dst_unused:UNUSED_PAD src0_sel:WORD_1 src1_sel:DWORD
	v_mul_u32_u24_sdwa v50, v73, s30 dst_sel:DWORD dst_unused:UNUSED_PAD src0_sel:WORD_0 src1_sel:DWORD
	v_mul_u32_u24_sdwa v54, v73, s30 dst_sel:DWORD dst_unused:UNUSED_PAD src0_sel:WORD_1 src1_sel:DWORD
	s_waitcnt lgkmcnt(1)
	v_pk_fma_f16 v52, v68, v48, v52
	v_pk_fma_f16 v72, v68, v49, v80
	;; [unrolled: 1-line block ×8, first 2 shown]
	v_mul_u32_u24_sdwa v48, v74, s30 dst_sel:DWORD dst_unused:UNUSED_PAD src0_sel:WORD_0 src1_sel:DWORD
	v_mul_u32_u24_sdwa v49, v74, s30 dst_sel:DWORD dst_unused:UNUSED_PAD src0_sel:WORD_1 src1_sel:DWORD
	v_mul_u32_u24_sdwa v50, v75, s30 dst_sel:DWORD dst_unused:UNUSED_PAD src0_sel:WORD_0 src1_sel:DWORD
	v_mul_u32_u24_sdwa v54, v75, s30 dst_sel:DWORD dst_unused:UNUSED_PAD src0_sel:WORD_1 src1_sel:DWORD
	v_pk_fma_f16 v52, v70, v48, v52
	v_pk_fma_f16 v72, v70, v49, v72
	;; [unrolled: 1-line block ×8, first 2 shown]
	ds_read2_b64 v[68:71], v27 offset0:192 offset1:224
	s_waitcnt lgkmcnt(1)
	v_mul_u32_u24_sdwa v48, v76, s30 dst_sel:DWORD dst_unused:UNUSED_PAD src0_sel:WORD_1 src1_sel:DWORD
	v_mul_u32_u24_sdwa v27, v76, s30 dst_sel:DWORD dst_unused:UNUSED_PAD src0_sel:WORD_0 src1_sel:DWORD
	v_mul_u32_u24_sdwa v49, v77, s30 dst_sel:DWORD dst_unused:UNUSED_PAD src0_sel:WORD_0 src1_sel:DWORD
	v_mul_u32_u24_sdwa v50, v77, s30 dst_sel:DWORD dst_unused:UNUSED_PAD src0_sel:WORD_1 src1_sel:DWORD
	s_waitcnt lgkmcnt(0)
	v_pk_fma_f16 v54, v68, v48, v72
	ds_read_b128 v[72:75], v63 offset:448
	v_pk_fma_f16 v52, v68, v27, v52
	v_pk_fma_f16 v30, v68, v49, v30
	v_pk_fma_f16 v31, v68, v50, v31
	v_pk_fma_f16 v26, v69, v27, v26
	v_pk_fma_f16 v27, v69, v48, v45
	v_pk_fma_f16 v45, v69, v49, v46
	v_pk_fma_f16 v29, v69, v50, v29
	v_mul_u32_u24_sdwa v46, v78, s30 dst_sel:DWORD dst_unused:UNUSED_PAD src0_sel:WORD_0 src1_sel:DWORD
	v_mul_u32_u24_sdwa v48, v78, s30 dst_sel:DWORD dst_unused:UNUSED_PAD src0_sel:WORD_1 src1_sel:DWORD
	v_mul_u32_u24_sdwa v49, v79, s30 dst_sel:DWORD dst_unused:UNUSED_PAD src0_sel:WORD_0 src1_sel:DWORD
	v_mul_u32_u24_sdwa v50, v79, s30 dst_sel:DWORD dst_unused:UNUSED_PAD src0_sel:WORD_1 src1_sel:DWORD
	v_pk_fma_f16 v52, v70, v46, v52
	v_pk_fma_f16 v54, v70, v48, v54
	;; [unrolled: 1-line block ×8, first 2 shown]
	ds_read2_b64 v[68:71], v28 offset1:32
	ds_read_b128 v[76:79], v63 offset:464
	s_waitcnt lgkmcnt(2)
	v_mul_u32_u24_sdwa v46, v72, s30 dst_sel:DWORD dst_unused:UNUSED_PAD src0_sel:WORD_0 src1_sel:DWORD
	v_mul_u32_u24_sdwa v48, v72, s30 dst_sel:DWORD dst_unused:UNUSED_PAD src0_sel:WORD_1 src1_sel:DWORD
	v_mul_u32_u24_sdwa v49, v73, s30 dst_sel:DWORD dst_unused:UNUSED_PAD src0_sel:WORD_0 src1_sel:DWORD
	v_mul_u32_u24_sdwa v50, v73, s30 dst_sel:DWORD dst_unused:UNUSED_PAD src0_sel:WORD_1 src1_sel:DWORD
	s_waitcnt lgkmcnt(1)
	v_pk_fma_f16 v52, v68, v46, v52
	v_pk_fma_f16 v54, v68, v48, v54
	;; [unrolled: 1-line block ×8, first 2 shown]
	v_mul_u32_u24_sdwa v46, v74, s30 dst_sel:DWORD dst_unused:UNUSED_PAD src0_sel:WORD_0 src1_sel:DWORD
	v_mul_u32_u24_sdwa v48, v74, s30 dst_sel:DWORD dst_unused:UNUSED_PAD src0_sel:WORD_1 src1_sel:DWORD
	v_mul_u32_u24_sdwa v49, v75, s30 dst_sel:DWORD dst_unused:UNUSED_PAD src0_sel:WORD_0 src1_sel:DWORD
	v_mul_u32_u24_sdwa v50, v75, s30 dst_sel:DWORD dst_unused:UNUSED_PAD src0_sel:WORD_1 src1_sel:DWORD
	v_pk_fma_f16 v52, v70, v46, v52
	v_pk_fma_f16 v54, v70, v48, v54
	;; [unrolled: 1-line block ×8, first 2 shown]
	ds_read2_b64 v[68:71], v28 offset0:64 offset1:96
	s_waitcnt lgkmcnt(1)
	v_mul_u32_u24_sdwa v46, v76, s30 dst_sel:DWORD dst_unused:UNUSED_PAD src0_sel:WORD_0 src1_sel:DWORD
	v_mul_u32_u24_sdwa v48, v76, s30 dst_sel:DWORD dst_unused:UNUSED_PAD src0_sel:WORD_1 src1_sel:DWORD
	v_mul_u32_u24_sdwa v49, v77, s30 dst_sel:DWORD dst_unused:UNUSED_PAD src0_sel:WORD_0 src1_sel:DWORD
	v_mul_u32_u24_sdwa v50, v77, s30 dst_sel:DWORD dst_unused:UNUSED_PAD src0_sel:WORD_1 src1_sel:DWORD
	ds_read_b128 v[72:75], v63 offset:480
	s_waitcnt lgkmcnt(1)
	v_pk_fma_f16 v52, v68, v46, v52
	v_pk_fma_f16 v54, v68, v48, v54
	;; [unrolled: 1-line block ×8, first 2 shown]
	v_mul_u32_u24_sdwa v46, v78, s30 dst_sel:DWORD dst_unused:UNUSED_PAD src0_sel:WORD_0 src1_sel:DWORD
	v_mul_u32_u24_sdwa v48, v78, s30 dst_sel:DWORD dst_unused:UNUSED_PAD src0_sel:WORD_1 src1_sel:DWORD
	v_mul_u32_u24_sdwa v49, v79, s30 dst_sel:DWORD dst_unused:UNUSED_PAD src0_sel:WORD_0 src1_sel:DWORD
	v_mul_u32_u24_sdwa v50, v79, s30 dst_sel:DWORD dst_unused:UNUSED_PAD src0_sel:WORD_1 src1_sel:DWORD
	v_pk_fma_f16 v52, v70, v46, v52
	v_pk_fma_f16 v54, v70, v48, v54
	;; [unrolled: 1-line block ×8, first 2 shown]
	ds_read2_b64 v[68:71], v28 offset0:128 offset1:160
	ds_read_b128 v[76:79], v63 offset:496
	s_waitcnt lgkmcnt(2)
	v_mul_u32_u24_sdwa v46, v72, s30 dst_sel:DWORD dst_unused:UNUSED_PAD src0_sel:WORD_0 src1_sel:DWORD
	v_mul_u32_u24_sdwa v48, v72, s30 dst_sel:DWORD dst_unused:UNUSED_PAD src0_sel:WORD_1 src1_sel:DWORD
	v_mul_u32_u24_sdwa v49, v73, s30 dst_sel:DWORD dst_unused:UNUSED_PAD src0_sel:WORD_0 src1_sel:DWORD
	v_mul_u32_u24_sdwa v50, v73, s30 dst_sel:DWORD dst_unused:UNUSED_PAD src0_sel:WORD_1 src1_sel:DWORD
	s_waitcnt lgkmcnt(1)
	v_pk_fma_f16 v52, v68, v46, v52
	v_pk_fma_f16 v54, v68, v48, v54
	;; [unrolled: 1-line block ×8, first 2 shown]
	v_mul_u32_u24_sdwa v46, v74, s30 dst_sel:DWORD dst_unused:UNUSED_PAD src0_sel:WORD_0 src1_sel:DWORD
	v_mul_u32_u24_sdwa v48, v74, s30 dst_sel:DWORD dst_unused:UNUSED_PAD src0_sel:WORD_1 src1_sel:DWORD
	v_mul_u32_u24_sdwa v49, v75, s30 dst_sel:DWORD dst_unused:UNUSED_PAD src0_sel:WORD_0 src1_sel:DWORD
	v_mul_u32_u24_sdwa v50, v75, s30 dst_sel:DWORD dst_unused:UNUSED_PAD src0_sel:WORD_1 src1_sel:DWORD
	v_pk_fma_f16 v52, v70, v46, v52
	v_pk_fma_f16 v54, v70, v48, v54
	;; [unrolled: 1-line block ×7, first 2 shown]
	ds_read2_b64 v[26:29], v28 offset0:192 offset1:224
	s_waitcnt lgkmcnt(0)
	s_barrier
	s_load_dword s31, s[6:7], 0x4
	v_pk_fma_f16 v31, v70, v50, v31
	v_mul_u32_u24_sdwa v50, v76, s30 dst_sel:DWORD dst_unused:UNUSED_PAD src0_sel:WORD_0 src1_sel:DWORD
	v_mul_u32_u24_sdwa v68, v76, s30 dst_sel:DWORD dst_unused:UNUSED_PAD src0_sel:WORD_1 src1_sel:DWORD
	v_mul_u32_u24_sdwa v69, v77, s30 dst_sel:DWORD dst_unused:UNUSED_PAD src0_sel:WORD_0 src1_sel:DWORD
	v_mul_u32_u24_sdwa v70, v77, s30 dst_sel:DWORD dst_unused:UNUSED_PAD src0_sel:WORD_1 src1_sel:DWORD
	s_waitcnt lgkmcnt(0)
	s_lshl_b32 s31, s31, 6
	v_pk_fma_f16 v52, v26, v50, v52
	v_pk_fma_f16 v54, v26, v68, v54
	;; [unrolled: 1-line block ×8, first 2 shown]
	v_mul_u32_u24_sdwa v68, v78, s30 dst_sel:DWORD dst_unused:UNUSED_PAD src0_sel:WORD_0 src1_sel:DWORD
	v_mul_u32_u24_sdwa v69, v78, s30 dst_sel:DWORD dst_unused:UNUSED_PAD src0_sel:WORD_1 src1_sel:DWORD
	v_mul_u32_u24_sdwa v70, v79, s30 dst_sel:DWORD dst_unused:UNUSED_PAD src0_sel:WORD_0 src1_sel:DWORD
	v_mul_u32_u24_sdwa v71, v79, s30 dst_sel:DWORD dst_unused:UNUSED_PAD src0_sel:WORD_1 src1_sel:DWORD
	s_add_i32 s15, s31, s15
	v_pk_fma_f16 v52, v28, v68, v52
	v_pk_fma_f16 v49, v28, v69, v54
	;; [unrolled: 1-line block ×7, first 2 shown]
	s_cmp_lt_i32 s15, s11
	v_pk_fma_f16 v46, v29, v71, v27
	s_cbranch_scc0 .LBB56_28
; %bb.26:                               ;   in Loop: Header=BB56_8 Depth=1
	v_mov_b32_e32 v26, v12
	v_mov_b32_e32 v27, v13
	;; [unrolled: 1-line block ×4, first 2 shown]
	s_branch .LBB56_8
.LBB56_27:
	v_mov_b32_e32 v12, 0xfeffffff
	v_mov_b32_e32 v13, v12
	;; [unrolled: 1-line block ×15, first 2 shown]
.LBB56_28:
	s_cmp_gt_i32 s38, s15
	s_cbranch_scc1 .LBB56_30
; %bb.29:
	v_mbcnt_hi_u32_b32 v26, -1, v53
	v_and_b32_e32 v2, 0x60, v26
	v_add_u32_e32 v27, 32, v2
	v_xor_b32_e32 v29, 16, v26
	v_xor_b32_e32 v56, 8, v26
	;; [unrolled: 1-line block ×5, first 2 shown]
	s_cbranch_execz .LBB56_31
	s_branch .LBB56_71
.LBB56_30:
                                        ; implicit-def: $vgpr26
                                        ; implicit-def: $vgpr27
                                        ; implicit-def: $vgpr29
                                        ; implicit-def: $vgpr56
                                        ; implicit-def: $vgpr57
                                        ; implicit-def: $vgpr30
                                        ; implicit-def: $vgpr28
.LBB56_31:
	s_mul_hi_i32 s5, s15, s8
	s_mul_i32 s4, s15, s8
	s_sub_i32 s19, s38, s15
	s_lshl_b64 s[4:5], s[4:5], 2
	v_add_u32_e32 v6, v1, v38
	s_mov_b64 s[6:7], src_private_base
	s_add_u32 s28, s9, s4
	v_mul_lo_u32 v4, s8, v6
	s_mov_b32 s4, 0
	s_addc_u32 s29, s10, s5
	v_ashrrev_i32_e32 v5, 31, v4
	s_mov_b32 s6, s4
	v_lshlrev_b32_e32 v24, 2, v0
	v_mov_b32_e32 v25, 0
	s_mov_b32 s5, s4
	v_mov_b32_e32 v62, s6
	v_lshl_add_u64 v[0:1], v[4:5], 2, s[28:29]
	v_mov_b32_e32 v61, s5
	v_mov_b32_e32 v60, s4
	v_lshl_add_u64 v[28:29], v[0:1], 0, v[24:25]
	v_mov_b32_e32 v57, s7
	v_cmp_gt_i32_e64 s[4:5], s19, v6
	v_mov_b32_e32 v58, 0
	scratch_store_dword off, v25, off
	scratch_store_dwordx3 off, v[60:62], off offset:4
	v_cndmask_b32_e64 v1, v57, v29, s[4:5]
	v_cndmask_b32_e64 v0, v58, v28, s[4:5]
	flat_load_dwordx4 v[0:3], v[0:1]
	v_lshl_add_u32 v4, s8, 5, v4
	s_movk_i32 s6, 0x90
	v_ashrrev_i32_e32 v5, 31, v4
	v_mad_u32_u24 v56, v6, s6, v24
	v_add_u32_e32 v6, 32, v6
	v_lshl_add_u64 v[4:5], v[4:5], 2, s[28:29]
	v_lshl_add_u64 v[26:27], v[4:5], 0, v[24:25]
	v_cmp_gt_i32_e32 vcc, s19, v6
	scratch_store_dword off, v25, off
	scratch_store_dwordx3 off, v[60:62], off offset:4
	v_cndmask_b32_e32 v5, v57, v27, vcc
	v_cndmask_b32_e32 v4, v58, v26, vcc
	v_mul_u32_u24_e32 v30, 0x90, v20
	v_mov_b32_e32 v6, v25
	v_mov_b32_e32 v7, v25
	s_mov_b64 s[6:7], 0x80
	v_lshl_add_u64 v[28:29], v[28:29], 0, s[6:7]
	v_cndmask_b32_e64 v29, v57, v29, s[4:5]
	v_cndmask_b32_e64 v28, v58, v28, s[4:5]
	v_lshl_add_u64 v[26:27], v[26:27], 0, s[6:7]
	v_cndmask_b32_e32 v27, v57, v27, vcc
	v_cndmask_b32_e32 v26, v58, v26, vcc
	s_cmp_lg_u64 s[36:37], 0
	s_cselect_b64 s[6:7], -1, 0
	v_add_u32_e32 v24, s15, v55
	v_cmp_gt_i32_e64 s[4:5], s19, v20
	s_waitcnt vmcnt(0) lgkmcnt(0)
	ds_write_b128 v56, v[0:3]
	flat_load_dwordx4 v[16:19], v[4:5]
	v_mov_b32_e32 v0, v25
	v_mov_b32_e32 v1, v25
	;; [unrolled: 1-line block ×6, first 2 shown]
	s_waitcnt vmcnt(0) lgkmcnt(0)
	ds_write_b128 v56, v[16:19] offset:4608
	s_waitcnt lgkmcnt(0)
	s_barrier
	ds_read_b128 v[16:19], v21 offset:9216
	ds_read_b128 v[64:67], v30
	ds_read_b128 v[68:71], v30 offset:4608
	ds_read_b128 v[72:75], v21 offset:9472
	;; [unrolled: 1-line block ×4, first 2 shown]
	s_waitcnt lgkmcnt(4)
	;;#ASMSTART
	v_dot2_f32_f16 v0, v64, v16, v0
	;;#ASMEND
	s_nop 0
	;;#ASMSTART
	v_dot2_f32_f16 v0, v65, v17, v0
	;;#ASMEND
	s_nop 0
	;;#ASMSTART
	v_dot2_f32_f16 v0, v66, v18, v0
	;;#ASMEND
	s_nop 0
	;;#ASMSTART
	v_dot2_f32_f16 v0, v67, v19, v0
	;;#ASMEND
	s_waitcnt lgkmcnt(2)
	;;#ASMSTART
	v_dot2_f32_f16 v1, v64, v72, v1
	;;#ASMEND
	s_nop 0
	;;#ASMSTART
	v_dot2_f32_f16 v1, v65, v73, v1
	;;#ASMEND
	s_nop 0
	;;#ASMSTART
	v_dot2_f32_f16 v1, v66, v74, v1
	;;#ASMEND
	s_nop 0
	;;#ASMSTART
	v_dot2_f32_f16 v1, v67, v75, v1
	;;#ASMEND
	s_waitcnt lgkmcnt(1)
	;;#ASMSTART
	v_dot2_f32_f16 v2, v64, v76, v2
	;;#ASMEND
	s_nop 0
	;;#ASMSTART
	v_dot2_f32_f16 v2, v65, v77, v2
	;;#ASMEND
	s_nop 0
	;;#ASMSTART
	v_dot2_f32_f16 v2, v66, v78, v2
	;;#ASMEND
	s_nop 0
	;;#ASMSTART
	v_dot2_f32_f16 v2, v67, v79, v2
	;;#ASMEND
	s_waitcnt lgkmcnt(0)
	;;#ASMSTART
	v_dot2_f32_f16 v3, v64, v80, v3
	;;#ASMEND
	s_nop 0
	;;#ASMSTART
	v_dot2_f32_f16 v3, v65, v81, v3
	;;#ASMEND
	s_nop 0
	;;#ASMSTART
	v_dot2_f32_f16 v3, v66, v82, v3
	;;#ASMEND
	s_nop 0
	;;#ASMSTART
	v_dot2_f32_f16 v3, v67, v83, v3
	;;#ASMEND
	;;#ASMSTART
	v_dot2_f32_f16 v4, v68, v16, v4
	;;#ASMEND
	s_nop 0
	;;#ASMSTART
	v_dot2_f32_f16 v4, v69, v17, v4
	;;#ASMEND
	s_nop 0
	;;#ASMSTART
	v_dot2_f32_f16 v4, v70, v18, v4
	;;#ASMEND
	s_nop 0
	;;#ASMSTART
	v_dot2_f32_f16 v4, v71, v19, v4
	;;#ASMEND
	;;#ASMSTART
	v_dot2_f32_f16 v5, v68, v72, v5
	;;#ASMEND
	s_nop 0
	;;#ASMSTART
	v_dot2_f32_f16 v5, v69, v73, v5
	;;#ASMEND
	s_nop 0
	;;#ASMSTART
	v_dot2_f32_f16 v5, v70, v74, v5
	;;#ASMEND
	s_nop 0
	;;#ASMSTART
	v_dot2_f32_f16 v5, v71, v75, v5
	;;#ASMEND
	;; [unrolled: 15-line block ×4, first 2 shown]
	ds_read_b128 v[16:19], v21 offset:9232
	ds_read_b128 v[64:67], v30 offset:16
	;; [unrolled: 1-line block ×6, first 2 shown]
	s_waitcnt lgkmcnt(4)
	;;#ASMSTART
	v_dot2_f32_f16 v0, v64, v16, v0
	;;#ASMEND
	s_nop 0
	;;#ASMSTART
	v_dot2_f32_f16 v0, v65, v17, v0
	;;#ASMEND
	s_nop 0
	;;#ASMSTART
	v_dot2_f32_f16 v0, v66, v18, v0
	;;#ASMEND
	s_nop 0
	;;#ASMSTART
	v_dot2_f32_f16 v0, v67, v19, v0
	;;#ASMEND
	s_waitcnt lgkmcnt(2)
	;;#ASMSTART
	v_dot2_f32_f16 v1, v64, v72, v1
	;;#ASMEND
	s_nop 0
	;;#ASMSTART
	v_dot2_f32_f16 v1, v65, v73, v1
	;;#ASMEND
	s_nop 0
	;;#ASMSTART
	v_dot2_f32_f16 v1, v66, v74, v1
	;;#ASMEND
	s_nop 0
	;;#ASMSTART
	v_dot2_f32_f16 v1, v67, v75, v1
	;;#ASMEND
	;; [unrolled: 16-line block ×4, first 2 shown]
	;;#ASMSTART
	v_dot2_f32_f16 v4, v68, v16, v4
	;;#ASMEND
	s_nop 0
	;;#ASMSTART
	v_dot2_f32_f16 v4, v69, v17, v4
	;;#ASMEND
	s_nop 0
	;;#ASMSTART
	v_dot2_f32_f16 v4, v70, v18, v4
	;;#ASMEND
	s_nop 0
	;;#ASMSTART
	v_dot2_f32_f16 v4, v71, v19, v4
	;;#ASMEND
	;;#ASMSTART
	v_dot2_f32_f16 v5, v68, v72, v5
	;;#ASMEND
	s_nop 0
	;;#ASMSTART
	v_dot2_f32_f16 v5, v69, v73, v5
	;;#ASMEND
	s_nop 0
	;;#ASMSTART
	v_dot2_f32_f16 v5, v70, v74, v5
	;;#ASMEND
	s_nop 0
	;;#ASMSTART
	v_dot2_f32_f16 v5, v71, v75, v5
	;;#ASMEND
	;; [unrolled: 15-line block ×4, first 2 shown]
	ds_read_b128 v[16:19], v21 offset:9248
	ds_read_b128 v[64:67], v30 offset:32
	;; [unrolled: 1-line block ×6, first 2 shown]
	s_waitcnt lgkmcnt(4)
	;;#ASMSTART
	v_dot2_f32_f16 v0, v64, v16, v0
	;;#ASMEND
	s_nop 0
	;;#ASMSTART
	v_dot2_f32_f16 v0, v65, v17, v0
	;;#ASMEND
	s_nop 0
	;;#ASMSTART
	v_dot2_f32_f16 v0, v66, v18, v0
	;;#ASMEND
	s_nop 0
	;;#ASMSTART
	v_dot2_f32_f16 v0, v67, v19, v0
	;;#ASMEND
	s_waitcnt lgkmcnt(2)
	;;#ASMSTART
	v_dot2_f32_f16 v1, v64, v72, v1
	;;#ASMEND
	s_nop 0
	;;#ASMSTART
	v_dot2_f32_f16 v1, v65, v73, v1
	;;#ASMEND
	s_nop 0
	;;#ASMSTART
	v_dot2_f32_f16 v1, v66, v74, v1
	;;#ASMEND
	s_nop 0
	;;#ASMSTART
	v_dot2_f32_f16 v1, v67, v75, v1
	;;#ASMEND
	;; [unrolled: 16-line block ×4, first 2 shown]
	;;#ASMSTART
	v_dot2_f32_f16 v4, v68, v16, v4
	;;#ASMEND
	s_nop 0
	;;#ASMSTART
	v_dot2_f32_f16 v4, v69, v17, v4
	;;#ASMEND
	s_nop 0
	;;#ASMSTART
	v_dot2_f32_f16 v4, v70, v18, v4
	;;#ASMEND
	s_nop 0
	;;#ASMSTART
	v_dot2_f32_f16 v4, v71, v19, v4
	;;#ASMEND
	;;#ASMSTART
	v_dot2_f32_f16 v5, v68, v72, v5
	;;#ASMEND
	s_nop 0
	;;#ASMSTART
	v_dot2_f32_f16 v5, v69, v73, v5
	;;#ASMEND
	s_nop 0
	;;#ASMSTART
	v_dot2_f32_f16 v5, v70, v74, v5
	;;#ASMEND
	s_nop 0
	;;#ASMSTART
	v_dot2_f32_f16 v5, v71, v75, v5
	;;#ASMEND
	;; [unrolled: 15-line block ×4, first 2 shown]
	ds_read_b128 v[16:19], v21 offset:9264
	ds_read_b128 v[64:67], v30 offset:48
	;; [unrolled: 1-line block ×6, first 2 shown]
	s_waitcnt lgkmcnt(4)
	;;#ASMSTART
	v_dot2_f32_f16 v0, v64, v16, v0
	;;#ASMEND
	s_nop 0
	;;#ASMSTART
	v_dot2_f32_f16 v0, v65, v17, v0
	;;#ASMEND
	s_nop 0
	;;#ASMSTART
	v_dot2_f32_f16 v0, v66, v18, v0
	;;#ASMEND
	s_nop 0
	;;#ASMSTART
	v_dot2_f32_f16 v0, v67, v19, v0
	;;#ASMEND
	s_waitcnt lgkmcnt(2)
	;;#ASMSTART
	v_dot2_f32_f16 v1, v64, v72, v1
	;;#ASMEND
	s_nop 0
	;;#ASMSTART
	v_dot2_f32_f16 v1, v65, v73, v1
	;;#ASMEND
	s_nop 0
	;;#ASMSTART
	v_dot2_f32_f16 v1, v66, v74, v1
	;;#ASMEND
	s_nop 0
	;;#ASMSTART
	v_dot2_f32_f16 v1, v67, v75, v1
	;;#ASMEND
	;; [unrolled: 16-line block ×4, first 2 shown]
	;;#ASMSTART
	v_dot2_f32_f16 v4, v68, v16, v4
	;;#ASMEND
	s_nop 0
	;;#ASMSTART
	v_dot2_f32_f16 v4, v69, v17, v4
	;;#ASMEND
	s_nop 0
	;;#ASMSTART
	v_dot2_f32_f16 v4, v70, v18, v4
	;;#ASMEND
	s_nop 0
	;;#ASMSTART
	v_dot2_f32_f16 v4, v71, v19, v4
	;;#ASMEND
	;;#ASMSTART
	v_dot2_f32_f16 v5, v68, v72, v5
	;;#ASMEND
	s_nop 0
	;;#ASMSTART
	v_dot2_f32_f16 v5, v69, v73, v5
	;;#ASMEND
	s_nop 0
	;;#ASMSTART
	v_dot2_f32_f16 v5, v70, v74, v5
	;;#ASMEND
	s_nop 0
	;;#ASMSTART
	v_dot2_f32_f16 v5, v71, v75, v5
	;;#ASMEND
	;; [unrolled: 15-line block ×4, first 2 shown]
	ds_read_b128 v[16:19], v21 offset:9280
	ds_read_b128 v[64:67], v30 offset:64
	;; [unrolled: 1-line block ×6, first 2 shown]
	s_waitcnt lgkmcnt(4)
	;;#ASMSTART
	v_dot2_f32_f16 v0, v64, v16, v0
	;;#ASMEND
	s_nop 0
	;;#ASMSTART
	v_dot2_f32_f16 v0, v65, v17, v0
	;;#ASMEND
	s_nop 0
	;;#ASMSTART
	v_dot2_f32_f16 v0, v66, v18, v0
	;;#ASMEND
	s_nop 0
	;;#ASMSTART
	v_dot2_f32_f16 v0, v67, v19, v0
	;;#ASMEND
	s_waitcnt lgkmcnt(2)
	;;#ASMSTART
	v_dot2_f32_f16 v1, v64, v72, v1
	;;#ASMEND
	s_nop 0
	;;#ASMSTART
	v_dot2_f32_f16 v1, v65, v73, v1
	;;#ASMEND
	s_nop 0
	;;#ASMSTART
	v_dot2_f32_f16 v1, v66, v74, v1
	;;#ASMEND
	s_nop 0
	;;#ASMSTART
	v_dot2_f32_f16 v1, v67, v75, v1
	;;#ASMEND
	;; [unrolled: 16-line block ×4, first 2 shown]
	;;#ASMSTART
	v_dot2_f32_f16 v4, v68, v16, v4
	;;#ASMEND
	s_nop 0
	;;#ASMSTART
	v_dot2_f32_f16 v4, v69, v17, v4
	;;#ASMEND
	s_nop 0
	;;#ASMSTART
	v_dot2_f32_f16 v4, v70, v18, v4
	;;#ASMEND
	s_nop 0
	;;#ASMSTART
	v_dot2_f32_f16 v4, v71, v19, v4
	;;#ASMEND
	;;#ASMSTART
	v_dot2_f32_f16 v5, v68, v72, v5
	;;#ASMEND
	s_nop 0
	;;#ASMSTART
	v_dot2_f32_f16 v5, v69, v73, v5
	;;#ASMEND
	s_nop 0
	;;#ASMSTART
	v_dot2_f32_f16 v5, v70, v74, v5
	;;#ASMEND
	s_nop 0
	;;#ASMSTART
	v_dot2_f32_f16 v5, v71, v75, v5
	;;#ASMEND
	;; [unrolled: 15-line block ×4, first 2 shown]
	ds_read_b128 v[16:19], v21 offset:9296
	ds_read_b128 v[64:67], v30 offset:80
	;; [unrolled: 1-line block ×6, first 2 shown]
	s_waitcnt lgkmcnt(4)
	;;#ASMSTART
	v_dot2_f32_f16 v0, v64, v16, v0
	;;#ASMEND
	s_nop 0
	;;#ASMSTART
	v_dot2_f32_f16 v0, v65, v17, v0
	;;#ASMEND
	s_nop 0
	;;#ASMSTART
	v_dot2_f32_f16 v0, v66, v18, v0
	;;#ASMEND
	s_nop 0
	;;#ASMSTART
	v_dot2_f32_f16 v0, v67, v19, v0
	;;#ASMEND
	s_waitcnt lgkmcnt(2)
	;;#ASMSTART
	v_dot2_f32_f16 v1, v64, v72, v1
	;;#ASMEND
	s_nop 0
	;;#ASMSTART
	v_dot2_f32_f16 v1, v65, v73, v1
	;;#ASMEND
	s_nop 0
	;;#ASMSTART
	v_dot2_f32_f16 v1, v66, v74, v1
	;;#ASMEND
	s_nop 0
	;;#ASMSTART
	v_dot2_f32_f16 v1, v67, v75, v1
	;;#ASMEND
	s_waitcnt lgkmcnt(1)
	;;#ASMSTART
	v_dot2_f32_f16 v2, v64, v76, v2
	;;#ASMEND
	s_nop 0
	;;#ASMSTART
	v_dot2_f32_f16 v2, v65, v77, v2
	;;#ASMEND
	s_nop 0
	;;#ASMSTART
	v_dot2_f32_f16 v2, v66, v78, v2
	;;#ASMEND
	s_nop 0
	;;#ASMSTART
	v_dot2_f32_f16 v2, v67, v79, v2
	;;#ASMEND
	s_waitcnt lgkmcnt(0)
	;;#ASMSTART
	v_dot2_f32_f16 v3, v64, v80, v3
	;;#ASMEND
	s_nop 0
	;;#ASMSTART
	v_dot2_f32_f16 v3, v65, v81, v3
	;;#ASMEND
	s_nop 0
	;;#ASMSTART
	v_dot2_f32_f16 v3, v66, v82, v3
	;;#ASMEND
	s_nop 0
	;;#ASMSTART
	v_dot2_f32_f16 v3, v67, v83, v3
	;;#ASMEND
	;;#ASMSTART
	v_dot2_f32_f16 v4, v68, v16, v4
	;;#ASMEND
	s_nop 0
	;;#ASMSTART
	v_dot2_f32_f16 v4, v69, v17, v4
	;;#ASMEND
	s_nop 0
	;;#ASMSTART
	v_dot2_f32_f16 v4, v70, v18, v4
	;;#ASMEND
	s_nop 0
	;;#ASMSTART
	v_dot2_f32_f16 v4, v71, v19, v4
	;;#ASMEND
	;;#ASMSTART
	v_dot2_f32_f16 v5, v68, v72, v5
	;;#ASMEND
	s_nop 0
	;;#ASMSTART
	v_dot2_f32_f16 v5, v69, v73, v5
	;;#ASMEND
	s_nop 0
	;;#ASMSTART
	v_dot2_f32_f16 v5, v70, v74, v5
	;;#ASMEND
	s_nop 0
	;;#ASMSTART
	v_dot2_f32_f16 v5, v71, v75, v5
	;;#ASMEND
	;; [unrolled: 15-line block ×4, first 2 shown]
	ds_read_b128 v[16:19], v21 offset:9312
	ds_read_b128 v[64:67], v30 offset:96
	;; [unrolled: 1-line block ×6, first 2 shown]
	s_waitcnt lgkmcnt(4)
	;;#ASMSTART
	v_dot2_f32_f16 v0, v64, v16, v0
	;;#ASMEND
	s_nop 0
	;;#ASMSTART
	v_dot2_f32_f16 v0, v65, v17, v0
	;;#ASMEND
	s_nop 0
	;;#ASMSTART
	v_dot2_f32_f16 v0, v66, v18, v0
	;;#ASMEND
	s_nop 0
	;;#ASMSTART
	v_dot2_f32_f16 v0, v67, v19, v0
	;;#ASMEND
	s_waitcnt lgkmcnt(2)
	;;#ASMSTART
	v_dot2_f32_f16 v1, v64, v72, v1
	;;#ASMEND
	s_nop 0
	;;#ASMSTART
	v_dot2_f32_f16 v1, v65, v73, v1
	;;#ASMEND
	s_nop 0
	;;#ASMSTART
	v_dot2_f32_f16 v1, v66, v74, v1
	;;#ASMEND
	s_nop 0
	;;#ASMSTART
	v_dot2_f32_f16 v1, v67, v75, v1
	;;#ASMEND
	;; [unrolled: 16-line block ×4, first 2 shown]
	;;#ASMSTART
	v_dot2_f32_f16 v4, v68, v16, v4
	;;#ASMEND
	s_nop 0
	;;#ASMSTART
	v_dot2_f32_f16 v4, v69, v17, v4
	;;#ASMEND
	s_nop 0
	;;#ASMSTART
	v_dot2_f32_f16 v4, v70, v18, v4
	;;#ASMEND
	s_nop 0
	;;#ASMSTART
	v_dot2_f32_f16 v4, v71, v19, v4
	;;#ASMEND
	;;#ASMSTART
	v_dot2_f32_f16 v5, v68, v72, v5
	;;#ASMEND
	s_nop 0
	;;#ASMSTART
	v_dot2_f32_f16 v5, v69, v73, v5
	;;#ASMEND
	s_nop 0
	;;#ASMSTART
	v_dot2_f32_f16 v5, v70, v74, v5
	;;#ASMEND
	s_nop 0
	;;#ASMSTART
	v_dot2_f32_f16 v5, v71, v75, v5
	;;#ASMEND
	;; [unrolled: 15-line block ×4, first 2 shown]
	ds_read_b128 v[16:19], v21 offset:9328
	ds_read_b128 v[64:67], v30 offset:112
	;; [unrolled: 1-line block ×6, first 2 shown]
	s_waitcnt lgkmcnt(4)
	;;#ASMSTART
	v_dot2_f32_f16 v0, v64, v16, v0
	;;#ASMEND
	s_nop 0
	;;#ASMSTART
	v_dot2_f32_f16 v0, v65, v17, v0
	;;#ASMEND
	s_nop 0
	;;#ASMSTART
	v_dot2_f32_f16 v0, v66, v18, v0
	;;#ASMEND
	s_nop 0
	;;#ASMSTART
	v_dot2_f32_f16 v0, v67, v19, v0
	;;#ASMEND
	s_waitcnt lgkmcnt(2)
	;;#ASMSTART
	v_dot2_f32_f16 v1, v64, v72, v1
	;;#ASMEND
	s_nop 0
	;;#ASMSTART
	v_dot2_f32_f16 v1, v65, v73, v1
	;;#ASMEND
	s_nop 0
	;;#ASMSTART
	v_dot2_f32_f16 v1, v66, v74, v1
	;;#ASMEND
	s_nop 0
	;;#ASMSTART
	v_dot2_f32_f16 v1, v67, v75, v1
	;;#ASMEND
	;; [unrolled: 16-line block ×4, first 2 shown]
	;;#ASMSTART
	v_dot2_f32_f16 v4, v68, v16, v4
	;;#ASMEND
	s_nop 0
	;;#ASMSTART
	v_dot2_f32_f16 v4, v69, v17, v4
	;;#ASMEND
	s_nop 0
	;;#ASMSTART
	v_dot2_f32_f16 v4, v70, v18, v4
	;;#ASMEND
	s_nop 0
	;;#ASMSTART
	v_dot2_f32_f16 v4, v71, v19, v4
	;;#ASMEND
	;;#ASMSTART
	v_dot2_f32_f16 v5, v68, v72, v5
	;;#ASMEND
	s_nop 0
	;;#ASMSTART
	v_dot2_f32_f16 v5, v69, v73, v5
	;;#ASMEND
	s_nop 0
	;;#ASMSTART
	v_dot2_f32_f16 v5, v70, v74, v5
	;;#ASMEND
	s_nop 0
	;;#ASMSTART
	v_dot2_f32_f16 v5, v71, v75, v5
	;;#ASMEND
	;; [unrolled: 15-line block ×4, first 2 shown]
	s_barrier
	scratch_store_dword off, v25, off
	scratch_store_dwordx3 off, v[60:62], off offset:4
	flat_load_dwordx4 v[16:19], v[28:29]
	s_nop 0
	scratch_store_dword off, v25, off
	scratch_store_dwordx3 off, v[60:62], off offset:4
	s_waitcnt vmcnt(0) lgkmcnt(0)
	ds_write_b128 v56, v[16:19]
	flat_load_dwordx4 v[16:19], v[26:27]
	v_cndmask_b32_e64 v26, 0, 1, s[6:7]
	v_cmp_ne_u32_e64 s[8:9], 1, v26
	s_waitcnt vmcnt(0) lgkmcnt(0)
	ds_write_b128 v56, v[16:19] offset:4608
	s_waitcnt lgkmcnt(0)
	s_barrier
	ds_read_b128 v[16:19], v21 offset:9344
	ds_read_b128 v[26:29], v30
	ds_read_b128 v[56:59], v30 offset:4608
	ds_read_b128 v[60:63], v21 offset:9600
	;; [unrolled: 1-line block ×4, first 2 shown]
	s_waitcnt lgkmcnt(4)
	;;#ASMSTART
	v_dot2_f32_f16 v0, v26, v16, v0
	;;#ASMEND
	s_nop 0
	;;#ASMSTART
	v_dot2_f32_f16 v0, v27, v17, v0
	;;#ASMEND
	s_nop 0
	;;#ASMSTART
	v_dot2_f32_f16 v0, v28, v18, v0
	;;#ASMEND
	s_nop 0
	;;#ASMSTART
	v_dot2_f32_f16 v0, v29, v19, v0
	;;#ASMEND
	s_waitcnt lgkmcnt(2)
	;;#ASMSTART
	v_dot2_f32_f16 v1, v26, v60, v1
	;;#ASMEND
	s_nop 0
	;;#ASMSTART
	v_dot2_f32_f16 v1, v27, v61, v1
	;;#ASMEND
	s_nop 0
	;;#ASMSTART
	v_dot2_f32_f16 v1, v28, v62, v1
	;;#ASMEND
	s_nop 0
	;;#ASMSTART
	v_dot2_f32_f16 v1, v29, v63, v1
	;;#ASMEND
	;; [unrolled: 16-line block ×4, first 2 shown]
	;;#ASMSTART
	v_dot2_f32_f16 v4, v56, v16, v4
	;;#ASMEND
	s_nop 0
	;;#ASMSTART
	v_dot2_f32_f16 v4, v57, v17, v4
	;;#ASMEND
	s_nop 0
	;;#ASMSTART
	v_dot2_f32_f16 v4, v58, v18, v4
	;;#ASMEND
	s_nop 0
	;;#ASMSTART
	v_dot2_f32_f16 v4, v59, v19, v4
	;;#ASMEND
	;;#ASMSTART
	v_dot2_f32_f16 v5, v56, v60, v5
	;;#ASMEND
	s_nop 0
	;;#ASMSTART
	v_dot2_f32_f16 v5, v57, v61, v5
	;;#ASMEND
	s_nop 0
	;;#ASMSTART
	v_dot2_f32_f16 v5, v58, v62, v5
	;;#ASMEND
	s_nop 0
	;;#ASMSTART
	v_dot2_f32_f16 v5, v59, v63, v5
	;;#ASMEND
	;; [unrolled: 15-line block ×4, first 2 shown]
	ds_read_b128 v[16:19], v21 offset:9360
	ds_read_b128 v[26:29], v30 offset:16
	;; [unrolled: 1-line block ×6, first 2 shown]
	s_waitcnt lgkmcnt(4)
	;;#ASMSTART
	v_dot2_f32_f16 v0, v26, v16, v0
	;;#ASMEND
	s_nop 0
	;;#ASMSTART
	v_dot2_f32_f16 v0, v27, v17, v0
	;;#ASMEND
	s_nop 0
	;;#ASMSTART
	v_dot2_f32_f16 v0, v28, v18, v0
	;;#ASMEND
	s_nop 0
	;;#ASMSTART
	v_dot2_f32_f16 v0, v29, v19, v0
	;;#ASMEND
	s_waitcnt lgkmcnt(2)
	;;#ASMSTART
	v_dot2_f32_f16 v1, v26, v60, v1
	;;#ASMEND
	s_nop 0
	;;#ASMSTART
	v_dot2_f32_f16 v1, v27, v61, v1
	;;#ASMEND
	s_nop 0
	;;#ASMSTART
	v_dot2_f32_f16 v1, v28, v62, v1
	;;#ASMEND
	s_nop 0
	;;#ASMSTART
	v_dot2_f32_f16 v1, v29, v63, v1
	;;#ASMEND
	;; [unrolled: 16-line block ×4, first 2 shown]
	;;#ASMSTART
	v_dot2_f32_f16 v4, v56, v16, v4
	;;#ASMEND
	s_nop 0
	;;#ASMSTART
	v_dot2_f32_f16 v4, v57, v17, v4
	;;#ASMEND
	s_nop 0
	;;#ASMSTART
	v_dot2_f32_f16 v4, v58, v18, v4
	;;#ASMEND
	s_nop 0
	;;#ASMSTART
	v_dot2_f32_f16 v4, v59, v19, v4
	;;#ASMEND
	;;#ASMSTART
	v_dot2_f32_f16 v5, v56, v60, v5
	;;#ASMEND
	s_nop 0
	;;#ASMSTART
	v_dot2_f32_f16 v5, v57, v61, v5
	;;#ASMEND
	s_nop 0
	;;#ASMSTART
	v_dot2_f32_f16 v5, v58, v62, v5
	;;#ASMEND
	s_nop 0
	;;#ASMSTART
	v_dot2_f32_f16 v5, v59, v63, v5
	;;#ASMEND
	;; [unrolled: 15-line block ×4, first 2 shown]
	ds_read_b128 v[16:19], v21 offset:9376
	ds_read_b128 v[26:29], v30 offset:32
	;; [unrolled: 1-line block ×6, first 2 shown]
	s_waitcnt lgkmcnt(4)
	;;#ASMSTART
	v_dot2_f32_f16 v0, v26, v16, v0
	;;#ASMEND
	s_nop 0
	;;#ASMSTART
	v_dot2_f32_f16 v0, v27, v17, v0
	;;#ASMEND
	s_nop 0
	;;#ASMSTART
	v_dot2_f32_f16 v0, v28, v18, v0
	;;#ASMEND
	s_nop 0
	;;#ASMSTART
	v_dot2_f32_f16 v0, v29, v19, v0
	;;#ASMEND
	s_waitcnt lgkmcnt(2)
	;;#ASMSTART
	v_dot2_f32_f16 v1, v26, v60, v1
	;;#ASMEND
	s_nop 0
	;;#ASMSTART
	v_dot2_f32_f16 v1, v27, v61, v1
	;;#ASMEND
	s_nop 0
	;;#ASMSTART
	v_dot2_f32_f16 v1, v28, v62, v1
	;;#ASMEND
	s_nop 0
	;;#ASMSTART
	v_dot2_f32_f16 v1, v29, v63, v1
	;;#ASMEND
	;; [unrolled: 16-line block ×4, first 2 shown]
	;;#ASMSTART
	v_dot2_f32_f16 v4, v56, v16, v4
	;;#ASMEND
	s_nop 0
	;;#ASMSTART
	v_dot2_f32_f16 v4, v57, v17, v4
	;;#ASMEND
	s_nop 0
	;;#ASMSTART
	v_dot2_f32_f16 v4, v58, v18, v4
	;;#ASMEND
	s_nop 0
	;;#ASMSTART
	v_dot2_f32_f16 v4, v59, v19, v4
	;;#ASMEND
	;;#ASMSTART
	v_dot2_f32_f16 v5, v56, v60, v5
	;;#ASMEND
	s_nop 0
	;;#ASMSTART
	v_dot2_f32_f16 v5, v57, v61, v5
	;;#ASMEND
	s_nop 0
	;;#ASMSTART
	v_dot2_f32_f16 v5, v58, v62, v5
	;;#ASMEND
	s_nop 0
	;;#ASMSTART
	v_dot2_f32_f16 v5, v59, v63, v5
	;;#ASMEND
	;; [unrolled: 15-line block ×4, first 2 shown]
	ds_read_b128 v[16:19], v21 offset:9392
	ds_read_b128 v[26:29], v30 offset:48
	;; [unrolled: 1-line block ×6, first 2 shown]
	s_waitcnt lgkmcnt(4)
	;;#ASMSTART
	v_dot2_f32_f16 v0, v26, v16, v0
	;;#ASMEND
	s_nop 0
	;;#ASMSTART
	v_dot2_f32_f16 v0, v27, v17, v0
	;;#ASMEND
	s_nop 0
	;;#ASMSTART
	v_dot2_f32_f16 v0, v28, v18, v0
	;;#ASMEND
	s_nop 0
	;;#ASMSTART
	v_dot2_f32_f16 v0, v29, v19, v0
	;;#ASMEND
	s_waitcnt lgkmcnt(2)
	;;#ASMSTART
	v_dot2_f32_f16 v1, v26, v60, v1
	;;#ASMEND
	s_nop 0
	;;#ASMSTART
	v_dot2_f32_f16 v1, v27, v61, v1
	;;#ASMEND
	s_nop 0
	;;#ASMSTART
	v_dot2_f32_f16 v1, v28, v62, v1
	;;#ASMEND
	s_nop 0
	;;#ASMSTART
	v_dot2_f32_f16 v1, v29, v63, v1
	;;#ASMEND
	;; [unrolled: 16-line block ×4, first 2 shown]
	;;#ASMSTART
	v_dot2_f32_f16 v4, v56, v16, v4
	;;#ASMEND
	s_nop 0
	;;#ASMSTART
	v_dot2_f32_f16 v4, v57, v17, v4
	;;#ASMEND
	s_nop 0
	;;#ASMSTART
	v_dot2_f32_f16 v4, v58, v18, v4
	;;#ASMEND
	s_nop 0
	;;#ASMSTART
	v_dot2_f32_f16 v4, v59, v19, v4
	;;#ASMEND
	;;#ASMSTART
	v_dot2_f32_f16 v5, v56, v60, v5
	;;#ASMEND
	s_nop 0
	;;#ASMSTART
	v_dot2_f32_f16 v5, v57, v61, v5
	;;#ASMEND
	s_nop 0
	;;#ASMSTART
	v_dot2_f32_f16 v5, v58, v62, v5
	;;#ASMEND
	s_nop 0
	;;#ASMSTART
	v_dot2_f32_f16 v5, v59, v63, v5
	;;#ASMEND
	;; [unrolled: 15-line block ×4, first 2 shown]
	ds_read_b128 v[16:19], v21 offset:9408
	ds_read_b128 v[26:29], v30 offset:64
	;; [unrolled: 1-line block ×6, first 2 shown]
	s_waitcnt lgkmcnt(4)
	;;#ASMSTART
	v_dot2_f32_f16 v0, v26, v16, v0
	;;#ASMEND
	s_nop 0
	;;#ASMSTART
	v_dot2_f32_f16 v0, v27, v17, v0
	;;#ASMEND
	s_nop 0
	;;#ASMSTART
	v_dot2_f32_f16 v0, v28, v18, v0
	;;#ASMEND
	s_nop 0
	;;#ASMSTART
	v_dot2_f32_f16 v0, v29, v19, v0
	;;#ASMEND
	s_waitcnt lgkmcnt(2)
	;;#ASMSTART
	v_dot2_f32_f16 v1, v26, v60, v1
	;;#ASMEND
	s_nop 0
	;;#ASMSTART
	v_dot2_f32_f16 v1, v27, v61, v1
	;;#ASMEND
	s_nop 0
	;;#ASMSTART
	v_dot2_f32_f16 v1, v28, v62, v1
	;;#ASMEND
	s_nop 0
	;;#ASMSTART
	v_dot2_f32_f16 v1, v29, v63, v1
	;;#ASMEND
	;; [unrolled: 16-line block ×4, first 2 shown]
	;;#ASMSTART
	v_dot2_f32_f16 v4, v56, v16, v4
	;;#ASMEND
	s_nop 0
	;;#ASMSTART
	v_dot2_f32_f16 v4, v57, v17, v4
	;;#ASMEND
	s_nop 0
	;;#ASMSTART
	v_dot2_f32_f16 v4, v58, v18, v4
	;;#ASMEND
	s_nop 0
	;;#ASMSTART
	v_dot2_f32_f16 v4, v59, v19, v4
	;;#ASMEND
	;;#ASMSTART
	v_dot2_f32_f16 v5, v56, v60, v5
	;;#ASMEND
	s_nop 0
	;;#ASMSTART
	v_dot2_f32_f16 v5, v57, v61, v5
	;;#ASMEND
	s_nop 0
	;;#ASMSTART
	v_dot2_f32_f16 v5, v58, v62, v5
	;;#ASMEND
	s_nop 0
	;;#ASMSTART
	v_dot2_f32_f16 v5, v59, v63, v5
	;;#ASMEND
	;; [unrolled: 15-line block ×4, first 2 shown]
	ds_read_b128 v[16:19], v21 offset:9424
	ds_read_b128 v[26:29], v30 offset:80
	;; [unrolled: 1-line block ×6, first 2 shown]
	s_waitcnt lgkmcnt(4)
	;;#ASMSTART
	v_dot2_f32_f16 v0, v26, v16, v0
	;;#ASMEND
	s_nop 0
	;;#ASMSTART
	v_dot2_f32_f16 v0, v27, v17, v0
	;;#ASMEND
	s_nop 0
	;;#ASMSTART
	v_dot2_f32_f16 v0, v28, v18, v0
	;;#ASMEND
	s_nop 0
	;;#ASMSTART
	v_dot2_f32_f16 v0, v29, v19, v0
	;;#ASMEND
	s_waitcnt lgkmcnt(2)
	;;#ASMSTART
	v_dot2_f32_f16 v1, v26, v60, v1
	;;#ASMEND
	s_nop 0
	;;#ASMSTART
	v_dot2_f32_f16 v1, v27, v61, v1
	;;#ASMEND
	s_nop 0
	;;#ASMSTART
	v_dot2_f32_f16 v1, v28, v62, v1
	;;#ASMEND
	s_nop 0
	;;#ASMSTART
	v_dot2_f32_f16 v1, v29, v63, v1
	;;#ASMEND
	;; [unrolled: 16-line block ×4, first 2 shown]
	;;#ASMSTART
	v_dot2_f32_f16 v4, v56, v16, v4
	;;#ASMEND
	s_nop 0
	;;#ASMSTART
	v_dot2_f32_f16 v4, v57, v17, v4
	;;#ASMEND
	s_nop 0
	;;#ASMSTART
	v_dot2_f32_f16 v4, v58, v18, v4
	;;#ASMEND
	s_nop 0
	;;#ASMSTART
	v_dot2_f32_f16 v4, v59, v19, v4
	;;#ASMEND
	;;#ASMSTART
	v_dot2_f32_f16 v5, v56, v60, v5
	;;#ASMEND
	s_nop 0
	;;#ASMSTART
	v_dot2_f32_f16 v5, v57, v61, v5
	;;#ASMEND
	s_nop 0
	;;#ASMSTART
	v_dot2_f32_f16 v5, v58, v62, v5
	;;#ASMEND
	s_nop 0
	;;#ASMSTART
	v_dot2_f32_f16 v5, v59, v63, v5
	;;#ASMEND
	;; [unrolled: 15-line block ×4, first 2 shown]
	ds_read_b128 v[16:19], v21 offset:9440
	ds_read_b128 v[26:29], v30 offset:96
	;; [unrolled: 1-line block ×6, first 2 shown]
	s_waitcnt lgkmcnt(4)
	;;#ASMSTART
	v_dot2_f32_f16 v0, v26, v16, v0
	;;#ASMEND
	s_nop 0
	;;#ASMSTART
	v_dot2_f32_f16 v0, v27, v17, v0
	;;#ASMEND
	s_nop 0
	;;#ASMSTART
	v_dot2_f32_f16 v0, v28, v18, v0
	;;#ASMEND
	s_nop 0
	;;#ASMSTART
	v_dot2_f32_f16 v0, v29, v19, v0
	;;#ASMEND
	s_waitcnt lgkmcnt(2)
	;;#ASMSTART
	v_dot2_f32_f16 v1, v26, v60, v1
	;;#ASMEND
	s_nop 0
	;;#ASMSTART
	v_dot2_f32_f16 v1, v27, v61, v1
	;;#ASMEND
	s_nop 0
	;;#ASMSTART
	v_dot2_f32_f16 v1, v28, v62, v1
	;;#ASMEND
	s_nop 0
	;;#ASMSTART
	v_dot2_f32_f16 v1, v29, v63, v1
	;;#ASMEND
	;; [unrolled: 16-line block ×4, first 2 shown]
	;;#ASMSTART
	v_dot2_f32_f16 v4, v56, v16, v4
	;;#ASMEND
	s_nop 0
	;;#ASMSTART
	v_dot2_f32_f16 v4, v57, v17, v4
	;;#ASMEND
	s_nop 0
	;;#ASMSTART
	v_dot2_f32_f16 v4, v58, v18, v4
	;;#ASMEND
	s_nop 0
	;;#ASMSTART
	v_dot2_f32_f16 v4, v59, v19, v4
	;;#ASMEND
	;;#ASMSTART
	v_dot2_f32_f16 v5, v56, v60, v5
	;;#ASMEND
	s_nop 0
	;;#ASMSTART
	v_dot2_f32_f16 v5, v57, v61, v5
	;;#ASMEND
	s_nop 0
	;;#ASMSTART
	v_dot2_f32_f16 v5, v58, v62, v5
	;;#ASMEND
	s_nop 0
	;;#ASMSTART
	v_dot2_f32_f16 v5, v59, v63, v5
	;;#ASMEND
	;; [unrolled: 15-line block ×4, first 2 shown]
	ds_read_b128 v[16:19], v21 offset:9456
	ds_read_b128 v[26:29], v30 offset:112
	;; [unrolled: 1-line block ×6, first 2 shown]
	s_waitcnt lgkmcnt(4)
	;;#ASMSTART
	v_dot2_f32_f16 v0, v26, v16, v0
	;;#ASMEND
	s_nop 0
	;;#ASMSTART
	v_dot2_f32_f16 v0, v27, v17, v0
	;;#ASMEND
	s_nop 0
	;;#ASMSTART
	v_dot2_f32_f16 v0, v28, v18, v0
	;;#ASMEND
	s_nop 0
	;;#ASMSTART
	v_dot2_f32_f16 v0, v29, v19, v0
	;;#ASMEND
	s_waitcnt lgkmcnt(2)
	;;#ASMSTART
	v_dot2_f32_f16 v1, v26, v60, v1
	;;#ASMEND
	s_nop 0
	;;#ASMSTART
	v_dot2_f32_f16 v1, v27, v61, v1
	;;#ASMEND
	s_nop 0
	;;#ASMSTART
	v_dot2_f32_f16 v1, v28, v62, v1
	;;#ASMEND
	s_nop 0
	;;#ASMSTART
	v_dot2_f32_f16 v1, v29, v63, v1
	;;#ASMEND
	;; [unrolled: 16-line block ×4, first 2 shown]
	;;#ASMSTART
	v_dot2_f32_f16 v4, v56, v16, v4
	;;#ASMEND
	s_nop 0
	;;#ASMSTART
	v_dot2_f32_f16 v4, v57, v17, v4
	;;#ASMEND
	s_nop 0
	;; [unrolled: 4-line block ×3, first 2 shown]
	;;#ASMSTART
	v_dot2_f32_f16 v4, v59, v19, v4
	;;#ASMEND
	;;#ASMSTART
	v_dot2_f32_f16 v5, v56, v60, v5
	;;#ASMEND
	v_mov_b64_e32 v[18:19], v[14:15]
	;;#ASMSTART
	v_dot2_f32_f16 v5, v57, v61, v5
	;;#ASMEND
	v_mov_b64_e32 v[16:17], v[12:13]
	;;#ASMSTART
	v_dot2_f32_f16 v5, v58, v62, v5
	;;#ASMEND
	s_nop 0
	;;#ASMSTART
	v_dot2_f32_f16 v5, v59, v63, v5
	;;#ASMEND
	;;#ASMSTART
	v_dot2_f32_f16 v6, v56, v64, v6
	;;#ASMEND
	s_nop 0
	;;#ASMSTART
	v_dot2_f32_f16 v6, v57, v65, v6
	;;#ASMEND
	s_nop 0
	;; [unrolled: 4-line block ×3, first 2 shown]
	;;#ASMSTART
	v_dot2_f32_f16 v6, v59, v67, v6
	;;#ASMEND
	;;#ASMSTART
	v_dot2_f32_f16 v7, v56, v68, v7
	;;#ASMEND
	s_nop 0
	;;#ASMSTART
	v_dot2_f32_f16 v7, v57, v69, v7
	;;#ASMEND
	s_nop 0
	;; [unrolled: 4-line block ×3, first 2 shown]
	;;#ASMSTART
	v_dot2_f32_f16 v7, v59, v71, v7
	;;#ASMEND
	s_and_saveexec_b64 s[6:7], s[4:5]
	s_cbranch_execz .LBB56_35
; %bb.32:
	s_and_b64 vcc, exec, s[8:9]
	s_cbranch_vccnz .LBB56_34
; %bb.33:
	v_add_u32_e32 v16, v24, v20
	v_ashrrev_i32_e32 v17, 31, v16
	v_lshl_add_u64 v[16:17], v[16:17], 1, s[36:37]
	global_load_ushort v16, v[16:17], off
	s_waitcnt vmcnt(0)
	v_cvt_f32_f16_e32 v16, v16
	v_mul_f32_e32 v25, v43, v16
.LBB56_34:
	v_add_f32_e32 v0, v0, v25
	v_add_f32_e32 v16, 0x40051340, v0
	v_max_f32_e32 v17, v12, v12
	v_max_f32_e32 v21, v17, v16
	v_mov_b64_e32 v[18:19], v[14:15]
	v_mov_b64_e32 v[16:17], v[12:13]
	v_mov_b32_e32 v16, v21
.LBB56_35:
	s_or_b64 exec, exec, s[6:7]
	v_add_u32_e32 v55, 32, v20
	v_cmp_gt_i32_e64 s[6:7], s19, v55
	s_and_saveexec_b64 s[10:11], s[6:7]
	s_cbranch_execz .LBB56_40
; %bb.36:
	s_and_b64 vcc, exec, s[8:9]
	s_cbranch_vccnz .LBB56_38
; %bb.37:
	v_ashrrev_i32_e32 v25, 31, v24
	v_mov_b32_e32 v21, 0
	v_lshl_add_u64 v[24:25], v[24:25], 0, v[20:21]
	v_lshl_add_u64 v[24:25], v[24:25], 1, s[36:37]
	global_load_ushort v21, v[24:25], off offset:64
	s_waitcnt vmcnt(0)
	v_cvt_f32_f16_e32 v21, v21
	v_mul_f32_e32 v21, v43, v21
	s_branch .LBB56_39
.LBB56_38:
	v_mov_b32_e32 v21, 0
.LBB56_39:
	v_add_f32_e32 v4, v4, v21
	v_add_f32_e32 v21, 0x40051340, v4
	v_max_f32_e32 v16, v16, v16
	v_max_f32_e32 v16, v16, v21
.LBB56_40:
	s_or_b64 exec, exec, s[10:11]
	v_mbcnt_hi_u32_b32 v26, -1, v53
	v_and_b32_e32 v21, 0x60, v26
	v_add_u32_e32 v27, 32, v21
	v_xor_b32_e32 v29, 16, v26
	v_cmp_lt_i32_e32 vcc, v29, v27
	v_xor_b32_e32 v56, 8, v26
	v_xor_b32_e32 v57, 4, v26
	v_cndmask_b32_e32 v21, v26, v29, vcc
	v_lshlrev_b32_e32 v59, 2, v21
	ds_bpermute_b32 v21, v59, v16
	v_cmp_lt_i32_e32 vcc, v56, v27
	v_max_f32_e32 v16, v16, v16
	v_xor_b32_e32 v30, 2, v26
	v_cndmask_b32_e32 v24, v26, v56, vcc
	s_waitcnt lgkmcnt(0)
	v_max_f32_e32 v21, v21, v21
	v_lshlrev_b32_e32 v61, 2, v24
	v_max_f32_e32 v16, v16, v21
	ds_bpermute_b32 v21, v61, v16
	v_cmp_lt_i32_e32 vcc, v57, v27
	v_xor_b32_e32 v28, 1, v26
	s_waitcnt lgkmcnt(0)
	v_max_f32_e32 v21, v21, v21
	v_cndmask_b32_e32 v24, v26, v57, vcc
	v_lshlrev_b32_e32 v60, 2, v24
	v_max_f32_e32 v16, v16, v21
	ds_bpermute_b32 v21, v60, v16
	v_cmp_lt_i32_e32 vcc, v30, v27
	s_waitcnt lgkmcnt(0)
	v_max_f32_e32 v21, v21, v21
	v_cndmask_b32_e32 v24, v26, v30, vcc
	v_lshlrev_b32_e32 v58, 2, v24
	v_max_f32_e32 v16, v16, v21
	ds_bpermute_b32 v21, v58, v16
	v_cmp_lt_i32_e32 vcc, v28, v27
	s_waitcnt lgkmcnt(0)
	v_max_f32_e32 v21, v21, v21
	v_cndmask_b32_e32 v24, v26, v28, vcc
	v_lshlrev_b32_e32 v53, 2, v24
	v_max_f32_e32 v16, v16, v21
	ds_bpermute_b32 v21, v53, v16
	v_mul_hi_u32 v24, s24, v51
	s_waitcnt lgkmcnt(0)
	v_max_f32_e32 v21, v21, v21
	v_max_f32_e32 v16, v16, v21
	v_add_u32_e32 v21, v51, v24
	v_lshrrev_b32_e32 v21, s25, v21
	v_mul_lo_u32 v21, v21, s26
	v_sub_u32_e32 v21, v51, v21
	v_mul_lo_u32 v21, v21, s18
	v_add_u32_e32 v24, s15, v21
	s_and_saveexec_b64 s[10:11], s[4:5]
	s_cbranch_execz .LBB56_45
; %bb.41:
	s_and_b64 vcc, exec, s[8:9]
	s_cbranch_vccnz .LBB56_43
; %bb.42:
	v_add_u32_e32 v62, v24, v20
	v_ashrrev_i32_e32 v63, 31, v62
	v_lshl_add_u64 v[62:63], v[62:63], 1, s[36:37]
	global_load_ushort v21, v[62:63], off
	s_waitcnt vmcnt(0)
	v_cvt_f32_f16_e32 v21, v21
	v_mul_f32_e32 v21, v43, v21
	s_branch .LBB56_44
.LBB56_43:
	v_mov_b32_e32 v21, 0
.LBB56_44:
	v_add_f32_e32 v1, v1, v21
	v_add_f32_e32 v21, 0x40051340, v1
	v_max_f32_e32 v17, v17, v17
	v_max_f32_e32 v17, v17, v21
.LBB56_45:
	s_or_b64 exec, exec, s[10:11]
	s_and_saveexec_b64 s[10:11], s[6:7]
	s_cbranch_execz .LBB56_50
; %bb.46:
	s_and_b64 vcc, exec, s[8:9]
	s_cbranch_vccnz .LBB56_48
; %bb.47:
	v_ashrrev_i32_e32 v25, 31, v24
	v_mov_b32_e32 v21, 0
	v_lshl_add_u64 v[24:25], v[24:25], 0, v[20:21]
	v_lshl_add_u64 v[24:25], v[24:25], 1, s[36:37]
	global_load_ushort v21, v[24:25], off offset:64
	s_waitcnt vmcnt(0)
	v_cvt_f32_f16_e32 v21, v21
	v_mul_f32_e32 v21, v43, v21
	s_branch .LBB56_49
.LBB56_48:
	v_mov_b32_e32 v21, 0
.LBB56_49:
	v_add_f32_e32 v5, v5, v21
	v_add_f32_e32 v21, 0x40051340, v5
	v_max_f32_e32 v17, v17, v17
	v_max_f32_e32 v17, v17, v21
.LBB56_50:
	s_or_b64 exec, exec, s[10:11]
	ds_bpermute_b32 v21, v59, v17
	v_max_f32_e32 v17, v17, v17
	v_mul_hi_u32 v24, s24, v47
	v_add_u32_e32 v24, v47, v24
	v_lshrrev_b32_e32 v24, s25, v24
	s_waitcnt lgkmcnt(0)
	v_max_f32_e32 v21, v21, v21
	v_max_f32_e32 v17, v17, v21
	ds_bpermute_b32 v21, v61, v17
	v_mul_lo_u32 v24, v24, s26
	v_sub_u32_e32 v24, v47, v24
	v_mul_lo_u32 v24, v24, s18
	v_add_u32_e32 v24, s15, v24
	s_waitcnt lgkmcnt(0)
	v_max_f32_e32 v21, v21, v21
	v_max_f32_e32 v17, v17, v21
	ds_bpermute_b32 v21, v60, v17
	s_waitcnt lgkmcnt(0)
	v_max_f32_e32 v21, v21, v21
	v_max_f32_e32 v17, v17, v21
	ds_bpermute_b32 v21, v58, v17
	s_waitcnt lgkmcnt(0)
	v_max_f32_e32 v21, v21, v21
	v_max_f32_e32 v17, v17, v21
	ds_bpermute_b32 v21, v53, v17
	s_waitcnt lgkmcnt(0)
	v_max_f32_e32 v21, v21, v21
	v_max_f32_e32 v17, v17, v21
	s_and_saveexec_b64 s[10:11], s[4:5]
	s_cbranch_execz .LBB56_55
; %bb.51:
	s_and_b64 vcc, exec, s[8:9]
	s_cbranch_vccnz .LBB56_53
; %bb.52:
	v_add_u32_e32 v62, v24, v20
	v_ashrrev_i32_e32 v63, 31, v62
	v_lshl_add_u64 v[62:63], v[62:63], 1, s[36:37]
	global_load_ushort v21, v[62:63], off
	s_waitcnt vmcnt(0)
	v_cvt_f32_f16_e32 v21, v21
	v_mul_f32_e32 v21, v43, v21
	s_branch .LBB56_54
.LBB56_53:
	v_mov_b32_e32 v21, 0
.LBB56_54:
	v_add_f32_e32 v2, v2, v21
	v_add_f32_e32 v21, 0x40051340, v2
	v_max_f32_e32 v18, v18, v18
	v_max_f32_e32 v18, v18, v21
.LBB56_55:
	s_or_b64 exec, exec, s[10:11]
	s_and_saveexec_b64 s[10:11], s[6:7]
	s_cbranch_execz .LBB56_60
; %bb.56:
	s_and_b64 vcc, exec, s[8:9]
	s_cbranch_vccnz .LBB56_58
; %bb.57:
	v_ashrrev_i32_e32 v25, 31, v24
	v_mov_b32_e32 v21, 0
	v_lshl_add_u64 v[24:25], v[24:25], 0, v[20:21]
	v_lshl_add_u64 v[24:25], v[24:25], 1, s[36:37]
	global_load_ushort v21, v[24:25], off offset:64
	s_waitcnt vmcnt(0)
	v_cvt_f32_f16_e32 v21, v21
	v_mul_f32_e32 v21, v43, v21
	s_branch .LBB56_59
.LBB56_58:
	v_mov_b32_e32 v21, 0
.LBB56_59:
	v_add_f32_e32 v6, v6, v21
	v_add_f32_e32 v21, 0x40051340, v6
	v_max_f32_e32 v18, v18, v18
	v_max_f32_e32 v18, v18, v21
.LBB56_60:
	s_or_b64 exec, exec, s[10:11]
	ds_bpermute_b32 v21, v59, v18
	v_max_f32_e32 v18, v18, v18
	v_mul_hi_u32 v24, s24, v44
	v_add_u32_e32 v24, v44, v24
	v_lshrrev_b32_e32 v24, s25, v24
	s_waitcnt lgkmcnt(0)
	v_max_f32_e32 v21, v21, v21
	v_max_f32_e32 v18, v18, v21
	ds_bpermute_b32 v21, v61, v18
	v_mul_lo_u32 v24, v24, s26
	v_sub_u32_e32 v24, v44, v24
	v_mul_lo_u32 v24, v24, s18
	v_add_u32_e32 v24, s15, v24
	s_waitcnt lgkmcnt(0)
	v_max_f32_e32 v21, v21, v21
	v_max_f32_e32 v18, v18, v21
	ds_bpermute_b32 v21, v60, v18
	s_waitcnt lgkmcnt(0)
	v_max_f32_e32 v21, v21, v21
	v_max_f32_e32 v18, v18, v21
	ds_bpermute_b32 v21, v58, v18
	;; [unrolled: 4-line block ×3, first 2 shown]
	s_waitcnt lgkmcnt(0)
	v_max_f32_e32 v21, v21, v21
	v_max_f32_e32 v18, v18, v21
	s_and_saveexec_b64 s[10:11], s[4:5]
	s_cbranch_execz .LBB56_65
; %bb.61:
	s_and_b64 vcc, exec, s[8:9]
	s_cbranch_vccnz .LBB56_63
; %bb.62:
	v_add_u32_e32 v62, v24, v20
	v_ashrrev_i32_e32 v63, 31, v62
	v_lshl_add_u64 v[62:63], v[62:63], 1, s[36:37]
	global_load_ushort v21, v[62:63], off
	s_waitcnt vmcnt(0)
	v_cvt_f32_f16_e32 v21, v21
	v_mul_f32_e32 v21, v43, v21
	s_branch .LBB56_64
.LBB56_63:
	v_mov_b32_e32 v21, 0
.LBB56_64:
	v_add_f32_e32 v3, v3, v21
	v_add_f32_e32 v21, 0x40051340, v3
	v_max_f32_e32 v19, v19, v19
	v_max_f32_e32 v19, v19, v21
.LBB56_65:
	s_or_b64 exec, exec, s[10:11]
	s_and_saveexec_b64 s[4:5], s[6:7]
	s_cbranch_execz .LBB56_70
; %bb.66:
	s_and_b64 vcc, exec, s[8:9]
	s_cbranch_vccnz .LBB56_68
; %bb.67:
	v_ashrrev_i32_e32 v25, 31, v24
	v_mov_b32_e32 v21, 0
	v_lshl_add_u64 v[24:25], v[24:25], 0, v[20:21]
	v_lshl_add_u64 v[24:25], v[24:25], 1, s[36:37]
	global_load_ushort v21, v[24:25], off offset:64
	s_waitcnt vmcnt(0)
	v_cvt_f32_f16_e32 v21, v21
	v_mul_f32_e32 v21, v43, v21
	s_branch .LBB56_69
.LBB56_68:
	v_mov_b32_e32 v21, 0
.LBB56_69:
	v_add_f32_e32 v7, v7, v21
	v_add_f32_e32 v21, 0x40051340, v7
	v_max_f32_e32 v19, v19, v19
	v_max_f32_e32 v19, v19, v21
.LBB56_70:
	s_or_b64 exec, exec, s[4:5]
	ds_bpermute_b32 v21, v59, v19
	v_max_f32_e32 v19, v19, v19
	s_mov_b64 s[8:9], src_private_base
	v_sub_f32_e32 v0, v0, v16
	s_mov_b32 s8, 0x3fb8aa3b
	s_waitcnt lgkmcnt(0)
	v_max_f32_e32 v21, v21, v21
	v_max_f32_e32 v19, v19, v21
	ds_bpermute_b32 v24, v61, v19
	v_mul_f32_e32 v25, 0x3fb8aa3b, v0
	v_fma_f32 v43, v0, s8, -v25
	v_rndne_f32_e32 v44, v25
	v_fmac_f32_e32 v43, 0x32a5705f, v0
	s_waitcnt lgkmcnt(0)
	v_max_f32_e32 v24, v24, v24
	v_max_f32_e32 v19, v19, v24
	ds_bpermute_b32 v24, v60, v19
	v_sub_f32_e32 v25, v25, v44
	v_sub_f32_e32 v4, v4, v16
	v_add_f32_e32 v25, v25, v43
	v_cvt_i32_f32_e32 v44, v44
	s_waitcnt lgkmcnt(0)
	v_max_f32_e32 v24, v24, v24
	v_max_f32_e32 v19, v19, v24
	ds_bpermute_b32 v24, v58, v19
	v_exp_f32_e32 v25, v25
	s_mov_b32 s10, 0xc2ce8ed0
	v_cmp_ngt_f32_e32 vcc, s10, v0
	s_mov_b32 s11, 0x42b17218
	s_waitcnt lgkmcnt(0)
	v_max_f32_e32 v24, v24, v24
	v_max_f32_e32 v19, v19, v24
	ds_bpermute_b32 v24, v53, v19
	v_ldexp_f32 v25, v25, v44
	v_cndmask_b32_e32 v25, 0, v25, vcc
	v_mov_b32_e32 v44, 0x7f800000
	v_cmp_nlt_f32_e32 vcc, s11, v0
	s_waitcnt lgkmcnt(0)
	v_max_f32_e32 v24, v24, v24
	v_max_f32_e32 v19, v19, v24
	v_mul_f32_e32 v24, 0x3fb8aa3b, v4
	v_fma_f32 v43, v4, s8, -v24
	v_rndne_f32_e32 v47, v24
	v_fmac_f32_e32 v43, 0x32a5705f, v4
	v_sub_f32_e32 v24, v24, v47
	v_add_f32_e32 v24, v24, v43
	v_exp_f32_e32 v24, v24
	v_cvt_i32_f32_e32 v43, v47
	v_cndmask_b32_e32 v0, v44, v25, vcc
	v_cmp_gt_u32_e32 vcc, s19, v20
	v_sub_f32_e32 v1, v1, v17
	v_cmp_ngt_f32_e64 s[4:5], s10, v4
	v_cndmask_b32_e32 v47, 0, v0, vcc
	v_ldexp_f32 v0, v24, v43
	v_mul_f32_e32 v24, 0x3fb8aa3b, v1
	v_fma_f32 v25, v1, s8, -v24
	v_rndne_f32_e32 v43, v24
	v_fmac_f32_e32 v25, 0x32a5705f, v1
	v_sub_f32_e32 v24, v24, v43
	v_add_f32_e32 v24, v24, v25
	v_exp_f32_e32 v24, v24
	v_cvt_i32_f32_e32 v25, v43
	v_cndmask_b32_e64 v0, 0, v0, s[4:5]
	v_cmp_nlt_f32_e64 s[4:5], s11, v4
	v_sub_f32_e32 v4, v5, v17
	v_mul_f32_e32 v5, 0x3fb8aa3b, v4
	v_cndmask_b32_e64 v0, v44, v0, s[4:5]
	v_cmp_gt_u32_e64 s[4:5], s19, v55
	v_cmp_ngt_f32_e64 s[6:7], s10, v1
	v_lshlrev_b32_e32 v21, 9, v23
	v_cndmask_b32_e64 v51, 0, v0, s[4:5]
	v_ldexp_f32 v0, v24, v25
	v_fma_f32 v24, v4, s8, -v5
	v_rndne_f32_e32 v25, v5
	v_fmac_f32_e32 v24, 0x32a5705f, v4
	v_sub_f32_e32 v5, v5, v25
	v_add_f32_e32 v5, v5, v24
	v_exp_f32_e32 v5, v5
	v_cvt_i32_f32_e32 v24, v25
	v_cndmask_b32_e64 v0, 0, v0, s[6:7]
	v_cmp_nlt_f32_e64 s[6:7], s11, v1
	v_sub_f32_e32 v1, v2, v18
	v_mul_f32_e32 v2, 0x3fb8aa3b, v1
	v_cndmask_b32_e64 v0, v44, v0, s[6:7]
	v_cndmask_b32_e32 v53, 0, v0, vcc
	v_ldexp_f32 v0, v5, v24
	v_fma_f32 v5, v1, s8, -v2
	v_rndne_f32_e32 v24, v2
	v_fmac_f32_e32 v5, 0x32a5705f, v1
	v_sub_f32_e32 v2, v2, v24
	v_add_f32_e32 v2, v2, v5
	v_exp_f32_e32 v2, v2
	v_cvt_i32_f32_e32 v5, v24
	v_cmp_ngt_f32_e64 s[6:7], s10, v4
	v_lshl_add_u32 v43, v23, 1, v42
	s_nop 0
	v_cndmask_b32_e64 v0, 0, v0, s[6:7]
	v_cmp_nlt_f32_e64 s[6:7], s11, v4
	s_barrier
	s_nop 0
	v_cndmask_b32_e64 v0, v44, v0, s[6:7]
	v_cndmask_b32_e64 v61, 0, v0, s[4:5]
	v_ldexp_f32 v0, v2, v5
	v_sub_f32_e32 v2, v6, v18
	v_mul_f32_e32 v4, 0x3fb8aa3b, v2
	v_fma_f32 v5, v2, s8, -v4
	v_rndne_f32_e32 v6, v4
	v_fmac_f32_e32 v5, 0x32a5705f, v2
	v_sub_f32_e32 v4, v4, v6
	v_add_f32_e32 v4, v4, v5
	v_exp_f32_e32 v4, v4
	v_cvt_i32_f32_e32 v5, v6
	v_cmp_ngt_f32_e64 s[6:7], s10, v1
	v_mul_lo_u32 v6, s2, v43
	v_mov_b32_e32 v24, s9
	v_cndmask_b32_e64 v0, 0, v0, s[6:7]
	v_cmp_nlt_f32_e64 s[6:7], s11, v1
	v_sub_f32_e32 v1, v3, v19
	v_mul_f32_e32 v3, 0x3fb8aa3b, v1
	v_cndmask_b32_e64 v0, v44, v0, s[6:7]
	v_cndmask_b32_e32 v66, 0, v0, vcc
	v_ldexp_f32 v0, v4, v5
	v_fma_f32 v4, v1, s8, -v3
	v_rndne_f32_e32 v5, v3
	v_fmac_f32_e32 v4, 0x32a5705f, v1
	v_sub_f32_e32 v3, v3, v5
	v_add_f32_e32 v3, v3, v4
	v_exp_f32_e32 v3, v3
	v_cvt_i32_f32_e32 v4, v5
	v_cmp_ngt_f32_e64 s[6:7], s10, v2
	v_mov_b32_e32 v25, 0
	s_nop 0
	v_cndmask_b32_e64 v0, 0, v0, s[6:7]
	v_cmp_nlt_f32_e64 s[6:7], s11, v2
	v_sub_f32_e32 v2, v7, v19
	v_ashrrev_i32_e32 v7, 31, v6
	v_cndmask_b32_e64 v0, v44, v0, s[6:7]
	v_cndmask_b32_e64 v67, 0, v0, s[4:5]
	v_ldexp_f32 v0, v3, v4
	v_mul_f32_e32 v3, 0x3fb8aa3b, v2
	v_fma_f32 v4, v2, s8, -v3
	v_rndne_f32_e32 v5, v3
	v_fmac_f32_e32 v4, 0x32a5705f, v2
	v_sub_f32_e32 v3, v3, v5
	v_add_f32_e32 v3, v3, v4
	v_exp_f32_e32 v3, v3
	v_cvt_i32_f32_e32 v4, v5
	v_cmp_ngt_f32_e64 s[6:7], s10, v1
	v_mov_b32_e32 v5, 0
	scratch_store_dword off, v5, off
	v_cndmask_b32_e64 v0, 0, v0, s[6:7]
	v_cmp_nlt_f32_e64 s[6:7], s11, v1
	s_nop 1
	v_cndmask_b32_e64 v0, v44, v0, s[6:7]
	v_cndmask_b32_e32 v68, 0, v0, vcc
	v_ldexp_f32 v0, v3, v4
	v_cmp_ngt_f32_e32 vcc, s10, v2
	v_cvt_pk_f16_f32 v1, v66, v68
	v_lshlrev_b32_e32 v4, 2, v22
	v_cndmask_b32_e32 v0, 0, v0, vcc
	v_cmp_nlt_f32_e32 vcc, s11, v2
	v_add_u32_e32 v2, 0x4400, v21
	v_add_u32_e32 v3, v2, v41
	v_cndmask_b32_e32 v0, v44, v0, vcc
	v_cndmask_b32_e64 v69, 0, v0, s[4:5]
	s_mul_hi_i32 s5, s15, s2
	s_mul_i32 s4, s15, s2
	s_lshl_b64 s[4:5], s[4:5], 2
	v_cvt_pk_f16_f32 v0, v47, v53
	s_add_u32 s24, s12, s4
	s_mov_b32 s4, 0
	ds_write_b64 v3, v[0:1]
	v_lshl_add_u32 v2, v55, 3, v2
	v_cvt_pk_f16_f32 v1, v67, v69
	v_cvt_pk_f16_f32 v0, v51, v61
	s_addc_u32 s25, s13, s5
	s_mov_b32 s6, s4
	v_lshlrev_b64 v[22:23], 2, v[6:7]
	ds_write_b64 v2, v[0:1]
	s_mov_b32 s5, s4
	v_mov_b32_e32 v60, s6
	v_lshl_add_u64 v[0:1], s[24:25], 0, v[22:23]
	v_mov_b32_e32 v59, s5
	v_mov_b32_e32 v58, s4
	v_lshl_add_u64 v[0:1], v[0:1], 0, v[4:5]
	v_cmp_gt_i32_e32 vcc, s19, v43
	scratch_store_dwordx3 off, v[58:60], off offset:4
	v_lshl_add_u32 v6, s2, 4, v6
	v_cndmask_b32_e32 v1, v24, v1, vcc
	v_cndmask_b32_e32 v0, v25, v0, vcc
	flat_load_dwordx4 v[0:3], v[0:1]
	v_ashrrev_i32_e32 v7, 31, v6
	v_lshl_or_b32 v42, v43, 8, v4
	v_lshlrev_b64 v[6:7], 2, v[6:7]
	v_sub_f32_e32 v55, v12, v16
	v_add_u32_e32 v12, 16, v43
	v_cmp_gt_i32_e32 vcc, s19, v12
	v_mul_f32_e32 v70, 0x3fb8aa3b, v55
	s_mov_b32 s4, 0x10001
	s_or_b32 s5, s15, 32
	s_mul_hi_i32 s7, s5, s2
	s_mul_i32 s6, s5, s2
	s_lshl_b64 s[6:7], s[6:7], 2
	s_add_u32 s6, s12, s6
	s_addc_u32 s7, s13, s7
	s_sub_i32 s2, s19, 32
	s_waitcnt vmcnt(0) lgkmcnt(0)
	ds_write_b128 v42, v[0:3]
	v_lshl_add_u64 v[0:1], s[24:25], 0, v[6:7]
	v_lshl_add_u64 v[0:1], v[0:1], 0, v[4:5]
	scratch_store_dword off, v5, off
	scratch_store_dwordx3 off, v[58:60], off offset:4
	v_cndmask_b32_e32 v1, v24, v1, vcc
	v_cndmask_b32_e32 v0, v25, v0, vcc
	flat_load_dwordx4 v[62:65], v[0:1]
	v_fma_f32 v0, v55, s8, -v70
	v_rndne_f32_e32 v1, v70
	v_fmac_f32_e32 v0, 0x32a5705f, v55
	v_sub_f32_e32 v2, v70, v1
	v_add_f32_e32 v0, v2, v0
	v_exp_f32_e32 v2, v0
	v_cvt_i32_f32_e32 v1, v1
	v_cmp_ngt_f32_e32 vcc, s10, v55
	v_add_f32_e32 v0, v47, v51
	v_lshl_add_u64 v[6:7], s[6:7], 0, v[6:7]
	v_ldexp_f32 v1, v2, v1
	v_cndmask_b32_e32 v1, 0, v1, vcc
	v_cmp_nlt_f32_e32 vcc, s11, v55
	v_sub_f32_e32 v2, v13, v17
	v_mul_f32_e32 v3, 0x3fb8aa3b, v2
	v_cndmask_b32_e32 v1, v44, v1, vcc
	v_fmac_f32_e32 v0, v8, v1
	v_fma_f32 v8, v2, s8, -v3
	v_rndne_f32_e32 v13, v3
	v_fmac_f32_e32 v8, 0x32a5705f, v2
	v_sub_f32_e32 v3, v3, v13
	v_add_f32_e32 v3, v3, v8
	v_exp_f32_e32 v3, v3
	v_cvt_i32_f32_e32 v8, v13
	v_cvt_f16_f32_e32 v1, v1
	v_cmp_ngt_f32_e32 vcc, s10, v2
	v_ldexp_f32 v3, v3, v8
	v_sub_f32_e32 v8, v14, v18
	v_mul_f32_e32 v14, 0x3fb8aa3b, v8
	v_fma_f32 v47, v8, s8, -v14
	v_rndne_f32_e32 v51, v14
	v_fmac_f32_e32 v47, 0x32a5705f, v8
	v_sub_f32_e32 v14, v14, v51
	v_add_f32_e32 v14, v14, v47
	v_cndmask_b32_e32 v3, 0, v3, vcc
	v_cmp_nlt_f32_e32 vcc, s11, v2
	v_exp_f32_e32 v14, v14
	v_cvt_i32_f32_e32 v47, v51
	v_cndmask_b32_e32 v2, v44, v3, vcc
	v_cvt_f16_f32_e32 v3, v2
	v_mul_u32_u24_e32 v13, 0x10001, v1
	v_add_f32_e32 v1, v53, v61
	v_fmac_f32_e32 v1, v9, v2
	v_ldexp_f32 v2, v14, v47
	v_cmp_ngt_f32_e32 vcc, s10, v8
	v_sub_f32_e32 v14, v15, v19
	v_mul_u32_u24_e32 v9, 0x10001, v3
	v_cndmask_b32_e32 v2, 0, v2, vcc
	v_cmp_nlt_f32_e32 vcc, s11, v8
	v_pk_mul_f16 v51, v54, v9
	v_pk_mul_f16 v31, v31, v13
	v_cndmask_b32_e32 v3, v44, v2, vcc
	v_mul_f32_e32 v2, 0x3fb8aa3b, v14
	v_fma_f32 v15, v14, s8, -v2
	v_rndne_f32_e32 v47, v2
	v_fmac_f32_e32 v15, 0x32a5705f, v14
	v_sub_f32_e32 v2, v2, v47
	v_add_f32_e32 v2, v2, v15
	v_exp_f32_e32 v15, v2
	v_cvt_i32_f32_e32 v47, v47
	v_add_f32_e32 v2, v66, v67
	v_cvt_f16_f32_e32 v8, v3
	v_fmac_f32_e32 v2, v10, v3
	v_ldexp_f32 v3, v15, v47
	v_cmp_ngt_f32_e32 vcc, s10, v14
	v_mul_u32_u24_e32 v8, 0x10001, v8
	v_pk_mul_f16 v15, v50, v8
	v_cndmask_b32_e32 v3, 0, v3, vcc
	v_cmp_nlt_f32_e32 vcc, s11, v14
	s_nop 1
	v_cndmask_b32_e32 v10, v44, v3, vcc
	v_cvt_f16_f32_e32 v14, v10
	v_add_f32_e32 v3, v68, v69
	v_fmac_f32_e32 v3, v11, v10
	v_lshl_or_b32 v11, v12, 8, v4
	v_mul_u32_u24_e32 v10, 0x10001, v14
	v_pk_mul_f16 v14, v45, v10
	v_pk_mul_f16 v10, v46, v10
	s_waitcnt vmcnt(0) lgkmcnt(0)
	ds_write_b128 v11, v[62:65]
	s_waitcnt lgkmcnt(0)
	s_barrier
	ds_read_b128 v[44:47], v21 offset:17408
	ds_read2_b64 v[62:65], v41 offset1:32
	ds_read_b128 v[66:69], v21 offset:17424
	ds_read_b128 v[70:73], v21 offset:17440
	;; [unrolled: 1-line block ×3, first 2 shown]
	s_waitcnt lgkmcnt(4)
	v_mul_u32_u24_sdwa v50, v44, s4 dst_sel:DWORD dst_unused:UNUSED_PAD src0_sel:WORD_0 src1_sel:DWORD
	v_mul_u32_u24_sdwa v44, v44, s4 dst_sel:DWORD dst_unused:UNUSED_PAD src0_sel:WORD_1 src1_sel:DWORD
	s_waitcnt lgkmcnt(3)
	v_pk_mul_f16 v54, v62, v50
	v_mul_u32_u24_sdwa v53, v45, s4 dst_sel:DWORD dst_unused:UNUSED_PAD src0_sel:WORD_0 src1_sel:DWORD
	v_pk_fma_f16 v13, v52, v13, v54
	v_pk_mul_f16 v52, v62, v44
	v_mul_u32_u24_sdwa v45, v45, s4 dst_sel:DWORD dst_unused:UNUSED_PAD src0_sel:WORD_1 src1_sel:DWORD
	v_pk_fma_f16 v9, v49, v9, v52
	v_pk_mul_f16 v49, v62, v53
	v_pk_fma_f16 v14, v62, v45, v14
	v_pk_fma_f16 v8, v48, v8, v49
	v_pk_fma_f16 v31, v63, v50, v31
	v_pk_fma_f16 v44, v63, v44, v51
	v_pk_fma_f16 v10, v63, v45, v10
	v_mul_u32_u24_sdwa v45, v46, s4 dst_sel:DWORD dst_unused:UNUSED_PAD src0_sel:WORD_0 src1_sel:DWORD
	v_mul_u32_u24_sdwa v46, v46, s4 dst_sel:DWORD dst_unused:UNUSED_PAD src0_sel:WORD_1 src1_sel:DWORD
	v_mul_u32_u24_sdwa v48, v47, s4 dst_sel:DWORD dst_unused:UNUSED_PAD src0_sel:WORD_0 src1_sel:DWORD
	v_mul_u32_u24_sdwa v47, v47, s4 dst_sel:DWORD dst_unused:UNUSED_PAD src0_sel:WORD_1 src1_sel:DWORD
	v_pk_fma_f16 v13, v64, v45, v13
	v_pk_fma_f16 v9, v64, v46, v9
	;; [unrolled: 1-line block ×6, first 2 shown]
	ds_read2_b64 v[44:47], v41 offset0:64 offset1:96
	v_pk_fma_f16 v15, v63, v53, v15
	v_pk_fma_f16 v8, v64, v48, v8
	;; [unrolled: 1-line block ×3, first 2 shown]
	s_waitcnt lgkmcnt(3)
	v_mul_u32_u24_sdwa v48, v66, s4 dst_sel:DWORD dst_unused:UNUSED_PAD src0_sel:WORD_0 src1_sel:DWORD
	v_mul_u32_u24_sdwa v50, v66, s4 dst_sel:DWORD dst_unused:UNUSED_PAD src0_sel:WORD_1 src1_sel:DWORD
	v_mul_u32_u24_sdwa v51, v67, s4 dst_sel:DWORD dst_unused:UNUSED_PAD src0_sel:WORD_0 src1_sel:DWORD
	v_mul_u32_u24_sdwa v52, v67, s4 dst_sel:DWORD dst_unused:UNUSED_PAD src0_sel:WORD_1 src1_sel:DWORD
	s_waitcnt lgkmcnt(0)
	v_pk_fma_f16 v13, v44, v48, v13
	v_pk_fma_f16 v9, v44, v50, v9
	;; [unrolled: 1-line block ×8, first 2 shown]
	v_mul_u32_u24_sdwa v45, v68, s4 dst_sel:DWORD dst_unused:UNUSED_PAD src0_sel:WORD_0 src1_sel:DWORD
	v_mul_u32_u24_sdwa v48, v68, s4 dst_sel:DWORD dst_unused:UNUSED_PAD src0_sel:WORD_1 src1_sel:DWORD
	v_mul_u32_u24_sdwa v49, v69, s4 dst_sel:DWORD dst_unused:UNUSED_PAD src0_sel:WORD_0 src1_sel:DWORD
	v_mul_u32_u24_sdwa v50, v69, s4 dst_sel:DWORD dst_unused:UNUSED_PAD src0_sel:WORD_1 src1_sel:DWORD
	v_pk_fma_f16 v13, v46, v45, v13
	v_pk_fma_f16 v9, v46, v48, v9
	;; [unrolled: 1-line block ×8, first 2 shown]
	ds_read2_b64 v[44:47], v41 offset0:128 offset1:160
	v_mul_u32_u24_sdwa v49, v70, s4 dst_sel:DWORD dst_unused:UNUSED_PAD src0_sel:WORD_0 src1_sel:DWORD
	v_mul_u32_u24_sdwa v50, v70, s4 dst_sel:DWORD dst_unused:UNUSED_PAD src0_sel:WORD_1 src1_sel:DWORD
	v_mul_u32_u24_sdwa v51, v71, s4 dst_sel:DWORD dst_unused:UNUSED_PAD src0_sel:WORD_0 src1_sel:DWORD
	v_mul_u32_u24_sdwa v52, v71, s4 dst_sel:DWORD dst_unused:UNUSED_PAD src0_sel:WORD_1 src1_sel:DWORD
	s_waitcnt lgkmcnt(0)
	v_pk_fma_f16 v13, v44, v49, v13
	v_pk_fma_f16 v9, v44, v50, v9
	;; [unrolled: 1-line block ×8, first 2 shown]
	v_mul_u32_u24_sdwa v45, v72, s4 dst_sel:DWORD dst_unused:UNUSED_PAD src0_sel:WORD_0 src1_sel:DWORD
	v_mul_u32_u24_sdwa v48, v72, s4 dst_sel:DWORD dst_unused:UNUSED_PAD src0_sel:WORD_1 src1_sel:DWORD
	v_mul_u32_u24_sdwa v49, v73, s4 dst_sel:DWORD dst_unused:UNUSED_PAD src0_sel:WORD_0 src1_sel:DWORD
	v_mul_u32_u24_sdwa v50, v73, s4 dst_sel:DWORD dst_unused:UNUSED_PAD src0_sel:WORD_1 src1_sel:DWORD
	v_pk_fma_f16 v13, v46, v45, v13
	v_pk_fma_f16 v9, v46, v48, v9
	;; [unrolled: 1-line block ×8, first 2 shown]
	ds_read2_b64 v[44:47], v41 offset0:192 offset1:224
	v_mul_u32_u24_sdwa v49, v74, s4 dst_sel:DWORD dst_unused:UNUSED_PAD src0_sel:WORD_0 src1_sel:DWORD
	v_mul_u32_u24_sdwa v50, v74, s4 dst_sel:DWORD dst_unused:UNUSED_PAD src0_sel:WORD_1 src1_sel:DWORD
	v_mul_u32_u24_sdwa v51, v75, s4 dst_sel:DWORD dst_unused:UNUSED_PAD src0_sel:WORD_0 src1_sel:DWORD
	v_mul_u32_u24_sdwa v52, v75, s4 dst_sel:DWORD dst_unused:UNUSED_PAD src0_sel:WORD_1 src1_sel:DWORD
	s_waitcnt lgkmcnt(0)
	v_pk_fma_f16 v13, v44, v49, v13
	v_pk_fma_f16 v9, v44, v50, v9
	;; [unrolled: 1-line block ×7, first 2 shown]
	v_mul_u32_u24_sdwa v48, v76, s4 dst_sel:DWORD dst_unused:UNUSED_PAD src0_sel:WORD_1 src1_sel:DWORD
	v_mul_u32_u24_sdwa v49, v77, s4 dst_sel:DWORD dst_unused:UNUSED_PAD src0_sel:WORD_0 src1_sel:DWORD
	v_pk_fma_f16 v61, v46, v48, v9
	v_pk_fma_f16 v8, v46, v49, v8
	;; [unrolled: 1-line block ×4, first 2 shown]
	ds_read_b128 v[48:51], v21 offset:17472
	v_pk_fma_f16 v10, v45, v52, v10
	v_mul_u32_u24_sdwa v45, v76, s4 dst_sel:DWORD dst_unused:UNUSED_PAD src0_sel:WORD_0 src1_sel:DWORD
	v_mul_u32_u24_sdwa v52, v77, s4 dst_sel:DWORD dst_unused:UNUSED_PAD src0_sel:WORD_1 src1_sel:DWORD
	v_add_u32_e32 v9, 0x800, v41
	v_pk_fma_f16 v13, v46, v45, v13
	v_pk_fma_f16 v14, v46, v52, v14
	;; [unrolled: 1-line block ×4, first 2 shown]
	ds_read2_b64 v[44:47], v9 offset1:32
	ds_read_b128 v[52:55], v21 offset:17488
	s_waitcnt lgkmcnt(2)
	v_mul_u32_u24_sdwa v63, v48, s4 dst_sel:DWORD dst_unused:UNUSED_PAD src0_sel:WORD_0 src1_sel:DWORD
	v_mul_u32_u24_sdwa v48, v48, s4 dst_sel:DWORD dst_unused:UNUSED_PAD src0_sel:WORD_1 src1_sel:DWORD
	v_mul_u32_u24_sdwa v64, v49, s4 dst_sel:DWORD dst_unused:UNUSED_PAD src0_sel:WORD_0 src1_sel:DWORD
	v_mul_u32_u24_sdwa v49, v49, s4 dst_sel:DWORD dst_unused:UNUSED_PAD src0_sel:WORD_1 src1_sel:DWORD
	s_waitcnt lgkmcnt(1)
	v_pk_fma_f16 v13, v44, v63, v13
	v_pk_fma_f16 v61, v44, v48, v61
	v_pk_fma_f16 v8, v44, v64, v8
	v_pk_fma_f16 v14, v44, v49, v14
	v_pk_fma_f16 v31, v45, v63, v31
	v_pk_fma_f16 v44, v45, v48, v62
	v_pk_fma_f16 v15, v45, v64, v15
	v_pk_fma_f16 v10, v45, v49, v10
	v_mul_u32_u24_sdwa v45, v50, s4 dst_sel:DWORD dst_unused:UNUSED_PAD src0_sel:WORD_0 src1_sel:DWORD
	v_mul_u32_u24_sdwa v48, v50, s4 dst_sel:DWORD dst_unused:UNUSED_PAD src0_sel:WORD_1 src1_sel:DWORD
	v_mul_u32_u24_sdwa v49, v51, s4 dst_sel:DWORD dst_unused:UNUSED_PAD src0_sel:WORD_0 src1_sel:DWORD
	v_mul_u32_u24_sdwa v50, v51, s4 dst_sel:DWORD dst_unused:UNUSED_PAD src0_sel:WORD_1 src1_sel:DWORD
	v_pk_fma_f16 v13, v46, v45, v13
	v_pk_fma_f16 v51, v46, v48, v61
	;; [unrolled: 1-line block ×8, first 2 shown]
	ds_read2_b64 v[44:47], v9 offset0:64 offset1:96
	s_waitcnt lgkmcnt(1)
	v_mul_u32_u24_sdwa v49, v52, s4 dst_sel:DWORD dst_unused:UNUSED_PAD src0_sel:WORD_0 src1_sel:DWORD
	v_mul_u32_u24_sdwa v50, v52, s4 dst_sel:DWORD dst_unused:UNUSED_PAD src0_sel:WORD_1 src1_sel:DWORD
	v_mul_u32_u24_sdwa v52, v53, s4 dst_sel:DWORD dst_unused:UNUSED_PAD src0_sel:WORD_0 src1_sel:DWORD
	v_mul_u32_u24_sdwa v53, v53, s4 dst_sel:DWORD dst_unused:UNUSED_PAD src0_sel:WORD_1 src1_sel:DWORD
	s_waitcnt lgkmcnt(0)
	v_pk_fma_f16 v13, v44, v49, v13
	v_pk_fma_f16 v51, v44, v50, v51
	;; [unrolled: 1-line block ×5, first 2 shown]
	v_mul_u32_u24_sdwa v48, v54, s4 dst_sel:DWORD dst_unused:UNUSED_PAD src0_sel:WORD_1 src1_sel:DWORD
	v_pk_fma_f16 v31, v45, v49, v31
	v_pk_fma_f16 v61, v46, v48, v51
	;; [unrolled: 1-line block ×3, first 2 shown]
	ds_read_b128 v[48:51], v21 offset:17504
	v_pk_fma_f16 v15, v45, v52, v15
	v_pk_fma_f16 v10, v45, v53, v10
	v_mul_u32_u24_sdwa v45, v54, s4 dst_sel:DWORD dst_unused:UNUSED_PAD src0_sel:WORD_0 src1_sel:DWORD
	v_mul_u32_u24_sdwa v52, v55, s4 dst_sel:DWORD dst_unused:UNUSED_PAD src0_sel:WORD_0 src1_sel:DWORD
	v_mul_u32_u24_sdwa v53, v55, s4 dst_sel:DWORD dst_unused:UNUSED_PAD src0_sel:WORD_1 src1_sel:DWORD
	v_pk_fma_f16 v13, v46, v45, v13
	v_pk_fma_f16 v8, v46, v52, v8
	;; [unrolled: 1-line block ×6, first 2 shown]
	ds_read2_b64 v[44:47], v9 offset0:128 offset1:160
	ds_read_b128 v[52:55], v21 offset:17520
	s_waitcnt lgkmcnt(2)
	v_mul_u32_u24_sdwa v63, v48, s4 dst_sel:DWORD dst_unused:UNUSED_PAD src0_sel:WORD_0 src1_sel:DWORD
	v_mul_u32_u24_sdwa v48, v48, s4 dst_sel:DWORD dst_unused:UNUSED_PAD src0_sel:WORD_1 src1_sel:DWORD
	v_mul_u32_u24_sdwa v64, v49, s4 dst_sel:DWORD dst_unused:UNUSED_PAD src0_sel:WORD_0 src1_sel:DWORD
	v_mul_u32_u24_sdwa v49, v49, s4 dst_sel:DWORD dst_unused:UNUSED_PAD src0_sel:WORD_1 src1_sel:DWORD
	s_waitcnt lgkmcnt(1)
	v_pk_fma_f16 v13, v44, v63, v13
	v_pk_fma_f16 v61, v44, v48, v61
	;; [unrolled: 1-line block ×8, first 2 shown]
	v_mul_u32_u24_sdwa v45, v50, s4 dst_sel:DWORD dst_unused:UNUSED_PAD src0_sel:WORD_0 src1_sel:DWORD
	v_mul_u32_u24_sdwa v48, v50, s4 dst_sel:DWORD dst_unused:UNUSED_PAD src0_sel:WORD_1 src1_sel:DWORD
	v_mul_u32_u24_sdwa v49, v51, s4 dst_sel:DWORD dst_unused:UNUSED_PAD src0_sel:WORD_0 src1_sel:DWORD
	v_mul_u32_u24_sdwa v50, v51, s4 dst_sel:DWORD dst_unused:UNUSED_PAD src0_sel:WORD_1 src1_sel:DWORD
	v_pk_fma_f16 v13, v46, v45, v13
	v_pk_fma_f16 v51, v46, v48, v61
	;; [unrolled: 1-line block ×8, first 2 shown]
	ds_read2_b64 v[44:47], v9 offset0:192 offset1:224
	s_waitcnt lgkmcnt(1)
	v_mul_u32_u24_sdwa v49, v52, s4 dst_sel:DWORD dst_unused:UNUSED_PAD src0_sel:WORD_0 src1_sel:DWORD
	v_mul_u32_u24_sdwa v50, v52, s4 dst_sel:DWORD dst_unused:UNUSED_PAD src0_sel:WORD_1 src1_sel:DWORD
	v_mul_u32_u24_sdwa v52, v53, s4 dst_sel:DWORD dst_unused:UNUSED_PAD src0_sel:WORD_0 src1_sel:DWORD
	v_mul_u32_u24_sdwa v53, v53, s4 dst_sel:DWORD dst_unused:UNUSED_PAD src0_sel:WORD_1 src1_sel:DWORD
	s_waitcnt lgkmcnt(0)
	v_pk_fma_f16 v13, v44, v49, v13
	v_pk_fma_f16 v51, v44, v50, v51
	;; [unrolled: 1-line block ×7, first 2 shown]
	v_mul_u32_u24_sdwa v48, v54, s4 dst_sel:DWORD dst_unused:UNUSED_PAD src0_sel:WORD_1 src1_sel:DWORD
	v_mul_u32_u24_sdwa v49, v55, s4 dst_sel:DWORD dst_unused:UNUSED_PAD src0_sel:WORD_0 src1_sel:DWORD
	v_pk_fma_f16 v10, v45, v53, v10
	v_mul_u32_u24_sdwa v52, v55, s4 dst_sel:DWORD dst_unused:UNUSED_PAD src0_sel:WORD_1 src1_sel:DWORD
	v_pk_fma_f16 v61, v46, v48, v51
	v_pk_fma_f16 v8, v46, v49, v8
	;; [unrolled: 1-line block ×4, first 2 shown]
	ds_read_b128 v[48:51], v21 offset:17536
	v_mul_u32_u24_sdwa v45, v54, s4 dst_sel:DWORD dst_unused:UNUSED_PAD src0_sel:WORD_0 src1_sel:DWORD
	v_pk_fma_f16 v63, v47, v52, v10
	v_add_u32_e32 v10, 0x1000, v41
	v_pk_fma_f16 v13, v46, v45, v13
	v_pk_fma_f16 v14, v46, v52, v14
	;; [unrolled: 1-line block ×3, first 2 shown]
	ds_read2_b64 v[44:47], v10 offset1:32
	ds_read_b128 v[52:55], v21 offset:17552
	s_waitcnt lgkmcnt(2)
	v_mul_u32_u24_sdwa v64, v48, s4 dst_sel:DWORD dst_unused:UNUSED_PAD src0_sel:WORD_0 src1_sel:DWORD
	v_mul_u32_u24_sdwa v48, v48, s4 dst_sel:DWORD dst_unused:UNUSED_PAD src0_sel:WORD_1 src1_sel:DWORD
	v_mul_u32_u24_sdwa v65, v49, s4 dst_sel:DWORD dst_unused:UNUSED_PAD src0_sel:WORD_0 src1_sel:DWORD
	v_mul_u32_u24_sdwa v49, v49, s4 dst_sel:DWORD dst_unused:UNUSED_PAD src0_sel:WORD_1 src1_sel:DWORD
	s_waitcnt lgkmcnt(1)
	v_pk_fma_f16 v13, v44, v64, v13
	v_pk_fma_f16 v61, v44, v48, v61
	;; [unrolled: 1-line block ×8, first 2 shown]
	v_mul_u32_u24_sdwa v48, v50, s4 dst_sel:DWORD dst_unused:UNUSED_PAD src0_sel:WORD_0 src1_sel:DWORD
	v_mul_u32_u24_sdwa v49, v50, s4 dst_sel:DWORD dst_unused:UNUSED_PAD src0_sel:WORD_1 src1_sel:DWORD
	v_mul_u32_u24_sdwa v50, v51, s4 dst_sel:DWORD dst_unused:UNUSED_PAD src0_sel:WORD_0 src1_sel:DWORD
	v_mul_u32_u24_sdwa v51, v51, s4 dst_sel:DWORD dst_unused:UNUSED_PAD src0_sel:WORD_1 src1_sel:DWORD
	v_pk_fma_f16 v13, v46, v48, v13
	v_pk_fma_f16 v61, v46, v49, v61
	;; [unrolled: 1-line block ×8, first 2 shown]
	ds_read2_b64 v[44:47], v10 offset0:64 offset1:96
	s_waitcnt lgkmcnt(1)
	v_mul_u32_u24_sdwa v15, v52, s4 dst_sel:DWORD dst_unused:UNUSED_PAD src0_sel:WORD_0 src1_sel:DWORD
	v_mul_u32_u24_sdwa v49, v52, s4 dst_sel:DWORD dst_unused:UNUSED_PAD src0_sel:WORD_1 src1_sel:DWORD
	v_mul_u32_u24_sdwa v52, v53, s4 dst_sel:DWORD dst_unused:UNUSED_PAD src0_sel:WORD_0 src1_sel:DWORD
	v_mul_u32_u24_sdwa v53, v53, s4 dst_sel:DWORD dst_unused:UNUSED_PAD src0_sel:WORD_1 src1_sel:DWORD
	s_waitcnt lgkmcnt(0)
	v_pk_fma_f16 v13, v44, v15, v13
	v_pk_fma_f16 v61, v44, v49, v61
	;; [unrolled: 1-line block ×5, first 2 shown]
	v_lshl_add_u64 v[14:15], s[6:7], 0, v[22:23]
	v_add_u32_e32 v8, 0x1800, v41
	v_lshl_add_u64 v[14:15], v[14:15], 0, v[4:5]
	v_cmp_gt_i32_e32 vcc, s2, v43
	v_pk_fma_f16 v113, v45, v49, v48
	ds_read2_b64 v[48:51], v10 offset0:128 offset1:160
	ds_read2_b64 v[62:65], v10 offset0:192 offset1:224
	ds_read_b128 v[66:69], v21 offset:17568
	ds_read_b128 v[70:73], v21 offset:17584
	ds_read2_b64 v[74:77], v8 offset1:32
	ds_read2_b64 v[78:81], v8 offset0:64 offset1:96
	ds_read_b128 v[82:85], v21 offset:17600
	ds_read_b128 v[86:89], v21 offset:17616
	ds_read2_b64 v[90:93], v8 offset0:128 offset1:160
	ds_read2_b64 v[94:97], v8 offset0:192 offset1:224
	ds_read_b128 v[98:101], v21 offset:17632
	ds_read_b128 v[102:105], v21 offset:17648
	s_waitcnt lgkmcnt(0)
	s_barrier
	scratch_store_dword off, v5, off
	scratch_store_dwordx3 off, v[58:60], off offset:4
	v_cndmask_b32_e32 v15, v24, v15, vcc
	v_cndmask_b32_e32 v14, v25, v14, vcc
	flat_load_dwordx4 v[106:109], v[14:15]
	v_cmp_gt_i32_e32 vcc, s2, v12
	v_pk_fma_f16 v14, v45, v52, v110
	v_pk_fma_f16 v15, v45, v53, v111
	v_mul_u32_u24_sdwa v22, v54, s4 dst_sel:DWORD dst_unused:UNUSED_PAD src0_sel:WORD_0 src1_sel:DWORD
	v_mul_u32_u24_sdwa v23, v54, s4 dst_sel:DWORD dst_unused:UNUSED_PAD src0_sel:WORD_1 src1_sel:DWORD
	v_mul_u32_u24_sdwa v43, v55, s4 dst_sel:DWORD dst_unused:UNUSED_PAD src0_sel:WORD_0 src1_sel:DWORD
	v_mul_u32_u24_sdwa v45, v55, s4 dst_sel:DWORD dst_unused:UNUSED_PAD src0_sel:WORD_1 src1_sel:DWORD
	v_pk_fma_f16 v13, v46, v22, v13
	v_pk_fma_f16 v52, v46, v23, v61
	v_pk_fma_f16 v53, v46, v43, v112
	v_pk_fma_f16 v44, v46, v45, v44
	v_pk_fma_f16 v22, v47, v22, v31
	v_pk_fma_f16 v23, v47, v23, v113
	v_pk_fma_f16 v14, v47, v43, v14
	v_pk_fma_f16 v15, v47, v45, v15
	v_mul_u32_u24_sdwa v31, v66, s4 dst_sel:DWORD dst_unused:UNUSED_PAD src0_sel:WORD_0 src1_sel:DWORD
	v_mul_u32_u24_sdwa v43, v66, s4 dst_sel:DWORD dst_unused:UNUSED_PAD src0_sel:WORD_1 src1_sel:DWORD
	v_mul_u32_u24_sdwa v45, v67, s4 dst_sel:DWORD dst_unused:UNUSED_PAD src0_sel:WORD_0 src1_sel:DWORD
	v_mul_u32_u24_sdwa v46, v67, s4 dst_sel:DWORD dst_unused:UNUSED_PAD src0_sel:WORD_1 src1_sel:DWORD
	v_pk_fma_f16 v13, v48, v31, v13
	v_pk_fma_f16 v47, v48, v43, v52
	v_pk_fma_f16 v52, v48, v45, v53
	v_pk_fma_f16 v44, v48, v46, v44
	v_pk_fma_f16 v22, v49, v31, v22
	v_pk_fma_f16 v23, v49, v43, v23
	;; [unrolled: 12-line block ×6, first 2 shown]
	v_pk_fma_f16 v14, v75, v45, v14
	v_pk_fma_f16 v15, v75, v46, v15
	v_mul_u32_u24_sdwa v31, v84, s4 dst_sel:DWORD dst_unused:UNUSED_PAD src0_sel:WORD_0 src1_sel:DWORD
	v_mul_u32_u24_sdwa v43, v84, s4 dst_sel:DWORD dst_unused:UNUSED_PAD src0_sel:WORD_1 src1_sel:DWORD
	v_mul_u32_u24_sdwa v45, v85, s4 dst_sel:DWORD dst_unused:UNUSED_PAD src0_sel:WORD_0 src1_sel:DWORD
	v_mul_u32_u24_sdwa v46, v85, s4 dst_sel:DWORD dst_unused:UNUSED_PAD src0_sel:WORD_1 src1_sel:DWORD
	s_waitcnt vmcnt(0) lgkmcnt(0)
	ds_write_b128 v42, v[106:109]
	scratch_store_dword off, v5, off
	scratch_store_dwordx3 off, v[58:60], off offset:4
	v_lshl_add_u64 v[4:5], v[6:7], 0, v[4:5]
	v_cndmask_b32_e32 v5, v24, v5, vcc
	v_cndmask_b32_e32 v4, v25, v4, vcc
	flat_load_dwordx4 v[4:7], v[4:5]
	v_pk_fma_f16 v13, v76, v31, v13
	v_pk_fma_f16 v12, v76, v43, v47
	v_pk_fma_f16 v24, v76, v45, v48
	v_pk_fma_f16 v25, v76, v46, v44
	v_pk_fma_f16 v22, v77, v31, v22
	v_pk_fma_f16 v23, v77, v43, v23
	v_pk_fma_f16 v14, v77, v45, v14
	v_pk_fma_f16 v15, v77, v46, v15
	v_mul_u32_u24_sdwa v31, v86, s4 dst_sel:DWORD dst_unused:UNUSED_PAD src0_sel:WORD_0 src1_sel:DWORD
	v_mul_u32_u24_sdwa v42, v86, s4 dst_sel:DWORD dst_unused:UNUSED_PAD src0_sel:WORD_1 src1_sel:DWORD
	v_mul_u32_u24_sdwa v43, v87, s4 dst_sel:DWORD dst_unused:UNUSED_PAD src0_sel:WORD_0 src1_sel:DWORD
	v_mul_u32_u24_sdwa v44, v87, s4 dst_sel:DWORD dst_unused:UNUSED_PAD src0_sel:WORD_1 src1_sel:DWORD
	v_pk_fma_f16 v13, v78, v31, v13
	v_pk_fma_f16 v12, v78, v42, v12
	v_pk_fma_f16 v24, v78, v43, v24
	v_pk_fma_f16 v25, v78, v44, v25
	v_pk_fma_f16 v22, v79, v31, v22
	v_pk_fma_f16 v23, v79, v42, v23
	v_pk_fma_f16 v14, v79, v43, v14
	v_pk_fma_f16 v15, v79, v44, v15
	v_mul_u32_u24_sdwa v31, v88, s4 dst_sel:DWORD dst_unused:UNUSED_PAD src0_sel:WORD_0 src1_sel:DWORD
	v_mul_u32_u24_sdwa v42, v88, s4 dst_sel:DWORD dst_unused:UNUSED_PAD src0_sel:WORD_1 src1_sel:DWORD
	v_mul_u32_u24_sdwa v43, v89, s4 dst_sel:DWORD dst_unused:UNUSED_PAD src0_sel:WORD_0 src1_sel:DWORD
	v_mul_u32_u24_sdwa v44, v89, s4 dst_sel:DWORD dst_unused:UNUSED_PAD src0_sel:WORD_1 src1_sel:DWORD
	v_pk_fma_f16 v13, v80, v31, v13
	v_pk_fma_f16 v12, v80, v42, v12
	v_pk_fma_f16 v24, v80, v43, v24
	v_pk_fma_f16 v25, v80, v44, v25
	v_pk_fma_f16 v22, v81, v31, v22
	v_pk_fma_f16 v23, v81, v42, v23
	v_pk_fma_f16 v14, v81, v43, v14
	v_pk_fma_f16 v15, v81, v44, v15
	v_mul_u32_u24_sdwa v31, v98, s4 dst_sel:DWORD dst_unused:UNUSED_PAD src0_sel:WORD_0 src1_sel:DWORD
	v_mul_u32_u24_sdwa v42, v98, s4 dst_sel:DWORD dst_unused:UNUSED_PAD src0_sel:WORD_1 src1_sel:DWORD
	v_mul_u32_u24_sdwa v43, v99, s4 dst_sel:DWORD dst_unused:UNUSED_PAD src0_sel:WORD_0 src1_sel:DWORD
	v_mul_u32_u24_sdwa v44, v99, s4 dst_sel:DWORD dst_unused:UNUSED_PAD src0_sel:WORD_1 src1_sel:DWORD
	v_pk_fma_f16 v13, v90, v31, v13
	v_pk_fma_f16 v12, v90, v42, v12
	v_pk_fma_f16 v24, v90, v43, v24
	v_pk_fma_f16 v25, v90, v44, v25
	v_pk_fma_f16 v22, v91, v31, v22
	v_pk_fma_f16 v23, v91, v42, v23
	v_pk_fma_f16 v14, v91, v43, v14
	v_pk_fma_f16 v15, v91, v44, v15
	v_mul_u32_u24_sdwa v31, v100, s4 dst_sel:DWORD dst_unused:UNUSED_PAD src0_sel:WORD_0 src1_sel:DWORD
	v_mul_u32_u24_sdwa v42, v100, s4 dst_sel:DWORD dst_unused:UNUSED_PAD src0_sel:WORD_1 src1_sel:DWORD
	v_mul_u32_u24_sdwa v43, v101, s4 dst_sel:DWORD dst_unused:UNUSED_PAD src0_sel:WORD_0 src1_sel:DWORD
	v_mul_u32_u24_sdwa v44, v101, s4 dst_sel:DWORD dst_unused:UNUSED_PAD src0_sel:WORD_1 src1_sel:DWORD
	v_pk_fma_f16 v13, v92, v31, v13
	v_pk_fma_f16 v12, v92, v42, v12
	v_pk_fma_f16 v24, v92, v43, v24
	v_pk_fma_f16 v25, v92, v44, v25
	v_pk_fma_f16 v22, v93, v31, v22
	v_pk_fma_f16 v23, v93, v42, v23
	v_pk_fma_f16 v14, v93, v43, v14
	v_pk_fma_f16 v15, v93, v44, v15
	v_mul_u32_u24_sdwa v31, v102, s4 dst_sel:DWORD dst_unused:UNUSED_PAD src0_sel:WORD_0 src1_sel:DWORD
	v_mul_u32_u24_sdwa v42, v102, s4 dst_sel:DWORD dst_unused:UNUSED_PAD src0_sel:WORD_1 src1_sel:DWORD
	v_mul_u32_u24_sdwa v43, v103, s4 dst_sel:DWORD dst_unused:UNUSED_PAD src0_sel:WORD_0 src1_sel:DWORD
	v_mul_u32_u24_sdwa v44, v103, s4 dst_sel:DWORD dst_unused:UNUSED_PAD src0_sel:WORD_1 src1_sel:DWORD
	v_pk_fma_f16 v13, v94, v31, v13
	v_pk_fma_f16 v12, v94, v42, v12
	v_pk_fma_f16 v24, v94, v43, v24
	v_pk_fma_f16 v25, v94, v44, v25
	v_pk_fma_f16 v22, v95, v31, v22
	v_pk_fma_f16 v23, v95, v42, v23
	v_pk_fma_f16 v14, v95, v43, v14
	v_pk_fma_f16 v15, v95, v44, v15
	v_mul_u32_u24_sdwa v31, v104, s4 dst_sel:DWORD dst_unused:UNUSED_PAD src0_sel:WORD_0 src1_sel:DWORD
	v_mul_u32_u24_sdwa v42, v104, s4 dst_sel:DWORD dst_unused:UNUSED_PAD src0_sel:WORD_1 src1_sel:DWORD
	v_mul_u32_u24_sdwa v43, v105, s4 dst_sel:DWORD dst_unused:UNUSED_PAD src0_sel:WORD_0 src1_sel:DWORD
	v_mul_u32_u24_sdwa v44, v105, s4 dst_sel:DWORD dst_unused:UNUSED_PAD src0_sel:WORD_1 src1_sel:DWORD
	v_pk_fma_f16 v50, v96, v31, v13
	v_pk_fma_f16 v51, v96, v42, v12
	;; [unrolled: 1-line block ×8, first 2 shown]
	s_waitcnt vmcnt(0) lgkmcnt(0)
	ds_write_b128 v11, v[4:7]
	s_waitcnt lgkmcnt(0)
	s_barrier
	ds_read_b128 v[4:7], v21 offset:17664
	ds_read2_b64 v[12:15], v41 offset1:32
	ds_read_b128 v[22:25], v21 offset:17680
	ds_read_b128 v[42:45], v21 offset:17696
	;; [unrolled: 1-line block ×3, first 2 shown]
	s_waitcnt lgkmcnt(4)
	v_mul_u32_u24_sdwa v11, v4, s4 dst_sel:DWORD dst_unused:UNUSED_PAD src0_sel:WORD_0 src1_sel:DWORD
	v_mul_u32_u24_sdwa v4, v4, s4 dst_sel:DWORD dst_unused:UNUSED_PAD src0_sel:WORD_1 src1_sel:DWORD
	v_mul_u32_u24_sdwa v59, v5, s4 dst_sel:DWORD dst_unused:UNUSED_PAD src0_sel:WORD_0 src1_sel:DWORD
	v_mul_u32_u24_sdwa v5, v5, s4 dst_sel:DWORD dst_unused:UNUSED_PAD src0_sel:WORD_1 src1_sel:DWORD
	s_waitcnt lgkmcnt(3)
	v_pk_fma_f16 v50, v12, v11, v50
	v_pk_fma_f16 v51, v12, v4, v51
	;; [unrolled: 1-line block ×8, first 2 shown]
	v_mul_u32_u24_sdwa v13, v6, s4 dst_sel:DWORD dst_unused:UNUSED_PAD src0_sel:WORD_0 src1_sel:DWORD
	v_mul_u32_u24_sdwa v6, v6, s4 dst_sel:DWORD dst_unused:UNUSED_PAD src0_sel:WORD_1 src1_sel:DWORD
	v_mul_u32_u24_sdwa v53, v7, s4 dst_sel:DWORD dst_unused:UNUSED_PAD src0_sel:WORD_0 src1_sel:DWORD
	v_mul_u32_u24_sdwa v7, v7, s4 dst_sel:DWORD dst_unused:UNUSED_PAD src0_sel:WORD_1 src1_sel:DWORD
	v_pk_fma_f16 v50, v14, v13, v50
	v_pk_fma_f16 v51, v14, v6, v51
	;; [unrolled: 1-line block ×8, first 2 shown]
	ds_read2_b64 v[4:7], v41 offset0:64 offset1:96
	s_waitcnt lgkmcnt(3)
	v_mul_u32_u24_sdwa v31, v22, s4 dst_sel:DWORD dst_unused:UNUSED_PAD src0_sel:WORD_0 src1_sel:DWORD
	v_mul_u32_u24_sdwa v22, v22, s4 dst_sel:DWORD dst_unused:UNUSED_PAD src0_sel:WORD_1 src1_sel:DWORD
	v_mul_u32_u24_sdwa v53, v23, s4 dst_sel:DWORD dst_unused:UNUSED_PAD src0_sel:WORD_0 src1_sel:DWORD
	v_mul_u32_u24_sdwa v23, v23, s4 dst_sel:DWORD dst_unused:UNUSED_PAD src0_sel:WORD_1 src1_sel:DWORD
	s_waitcnt lgkmcnt(0)
	v_pk_fma_f16 v50, v4, v31, v50
	v_pk_fma_f16 v51, v4, v22, v51
	;; [unrolled: 1-line block ×8, first 2 shown]
	v_mul_u32_u24_sdwa v14, v24, s4 dst_sel:DWORD dst_unused:UNUSED_PAD src0_sel:WORD_0 src1_sel:DWORD
	v_mul_u32_u24_sdwa v15, v24, s4 dst_sel:DWORD dst_unused:UNUSED_PAD src0_sel:WORD_1 src1_sel:DWORD
	v_mul_u32_u24_sdwa v22, v25, s4 dst_sel:DWORD dst_unused:UNUSED_PAD src0_sel:WORD_0 src1_sel:DWORD
	v_mul_u32_u24_sdwa v23, v25, s4 dst_sel:DWORD dst_unused:UNUSED_PAD src0_sel:WORD_1 src1_sel:DWORD
	v_pk_fma_f16 v24, v6, v14, v50
	v_pk_fma_f16 v25, v6, v15, v51
	;; [unrolled: 1-line block ×8, first 2 shown]
	ds_read2_b64 v[4:7], v41 offset0:128 offset1:160
	v_mul_u32_u24_sdwa v15, v42, s4 dst_sel:DWORD dst_unused:UNUSED_PAD src0_sel:WORD_0 src1_sel:DWORD
	v_mul_u32_u24_sdwa v22, v42, s4 dst_sel:DWORD dst_unused:UNUSED_PAD src0_sel:WORD_1 src1_sel:DWORD
	v_mul_u32_u24_sdwa v23, v43, s4 dst_sel:DWORD dst_unused:UNUSED_PAD src0_sel:WORD_0 src1_sel:DWORD
	v_mul_u32_u24_sdwa v42, v43, s4 dst_sel:DWORD dst_unused:UNUSED_PAD src0_sel:WORD_1 src1_sel:DWORD
	s_waitcnt lgkmcnt(0)
	v_pk_fma_f16 v24, v4, v15, v24
	v_pk_fma_f16 v25, v4, v22, v25
	;; [unrolled: 1-line block ×8, first 2 shown]
	v_mul_u32_u24_sdwa v14, v44, s4 dst_sel:DWORD dst_unused:UNUSED_PAD src0_sel:WORD_0 src1_sel:DWORD
	v_mul_u32_u24_sdwa v15, v44, s4 dst_sel:DWORD dst_unused:UNUSED_PAD src0_sel:WORD_1 src1_sel:DWORD
	v_mul_u32_u24_sdwa v22, v45, s4 dst_sel:DWORD dst_unused:UNUSED_PAD src0_sel:WORD_0 src1_sel:DWORD
	v_mul_u32_u24_sdwa v23, v45, s4 dst_sel:DWORD dst_unused:UNUSED_PAD src0_sel:WORD_1 src1_sel:DWORD
	v_pk_fma_f16 v24, v6, v14, v24
	v_pk_fma_f16 v25, v6, v15, v25
	;; [unrolled: 1-line block ×8, first 2 shown]
	ds_read2_b64 v[4:7], v41 offset0:192 offset1:224
	v_mul_u32_u24_sdwa v15, v46, s4 dst_sel:DWORD dst_unused:UNUSED_PAD src0_sel:WORD_0 src1_sel:DWORD
	v_mul_u32_u24_sdwa v22, v46, s4 dst_sel:DWORD dst_unused:UNUSED_PAD src0_sel:WORD_1 src1_sel:DWORD
	v_mul_u32_u24_sdwa v23, v47, s4 dst_sel:DWORD dst_unused:UNUSED_PAD src0_sel:WORD_0 src1_sel:DWORD
	v_mul_u32_u24_sdwa v41, v47, s4 dst_sel:DWORD dst_unused:UNUSED_PAD src0_sel:WORD_1 src1_sel:DWORD
	s_waitcnt lgkmcnt(0)
	v_pk_fma_f16 v24, v4, v15, v24
	v_pk_fma_f16 v25, v4, v22, v25
	;; [unrolled: 1-line block ×6, first 2 shown]
	v_mul_u32_u24_sdwa v13, v48, s4 dst_sel:DWORD dst_unused:UNUSED_PAD src0_sel:WORD_0 src1_sel:DWORD
	v_mul_u32_u24_sdwa v14, v48, s4 dst_sel:DWORD dst_unused:UNUSED_PAD src0_sel:WORD_1 src1_sel:DWORD
	v_pk_fma_f16 v31, v4, v23, v31
	v_pk_fma_f16 v4, v4, v41, v42
	;; [unrolled: 1-line block ×6, first 2 shown]
	ds_read_b128 v[12:15], v21 offset:17728
	v_mul_u32_u24_sdwa v23, v49, s4 dst_sel:DWORD dst_unused:UNUSED_PAD src0_sel:WORD_0 src1_sel:DWORD
	v_mul_u32_u24_sdwa v41, v49, s4 dst_sel:DWORD dst_unused:UNUSED_PAD src0_sel:WORD_1 src1_sel:DWORD
	v_pk_fma_f16 v31, v6, v23, v31
	v_pk_fma_f16 v44, v6, v41, v4
	;; [unrolled: 1-line block ×4, first 2 shown]
	ds_read2_b64 v[4:7], v9 offset1:32
	ds_read_b128 v[22:25], v21 offset:17744
	s_waitcnt lgkmcnt(2)
	v_mul_u32_u24_sdwa v47, v12, s4 dst_sel:DWORD dst_unused:UNUSED_PAD src0_sel:WORD_0 src1_sel:DWORD
	v_mul_u32_u24_sdwa v12, v12, s4 dst_sel:DWORD dst_unused:UNUSED_PAD src0_sel:WORD_1 src1_sel:DWORD
	v_mul_u32_u24_sdwa v48, v13, s4 dst_sel:DWORD dst_unused:UNUSED_PAD src0_sel:WORD_0 src1_sel:DWORD
	v_mul_u32_u24_sdwa v13, v13, s4 dst_sel:DWORD dst_unused:UNUSED_PAD src0_sel:WORD_1 src1_sel:DWORD
	s_waitcnt lgkmcnt(1)
	v_pk_fma_f16 v42, v4, v47, v42
	v_pk_fma_f16 v43, v4, v12, v43
	;; [unrolled: 1-line block ×8, first 2 shown]
	v_mul_u32_u24_sdwa v13, v14, s4 dst_sel:DWORD dst_unused:UNUSED_PAD src0_sel:WORD_0 src1_sel:DWORD
	v_mul_u32_u24_sdwa v14, v14, s4 dst_sel:DWORD dst_unused:UNUSED_PAD src0_sel:WORD_1 src1_sel:DWORD
	v_mul_u32_u24_sdwa v41, v15, s4 dst_sel:DWORD dst_unused:UNUSED_PAD src0_sel:WORD_0 src1_sel:DWORD
	v_mul_u32_u24_sdwa v15, v15, s4 dst_sel:DWORD dst_unused:UNUSED_PAD src0_sel:WORD_1 src1_sel:DWORD
	v_pk_fma_f16 v42, v6, v13, v42
	v_pk_fma_f16 v43, v6, v14, v43
	v_pk_fma_f16 v31, v6, v41, v31
	v_pk_fma_f16 v45, v6, v15, v4
	v_pk_fma_f16 v11, v7, v13, v11
	v_pk_fma_f16 v12, v7, v14, v12
	v_pk_fma_f16 v13, v7, v41, v44
	v_pk_fma_f16 v14, v7, v15, v5
	ds_read2_b64 v[4:7], v9 offset0:64 offset1:96
	s_waitcnt lgkmcnt(1)
	v_mul_u32_u24_sdwa v15, v22, s4 dst_sel:DWORD dst_unused:UNUSED_PAD src0_sel:WORD_0 src1_sel:DWORD
	v_mul_u32_u24_sdwa v22, v22, s4 dst_sel:DWORD dst_unused:UNUSED_PAD src0_sel:WORD_1 src1_sel:DWORD
	v_mul_u32_u24_sdwa v41, v23, s4 dst_sel:DWORD dst_unused:UNUSED_PAD src0_sel:WORD_0 src1_sel:DWORD
	v_mul_u32_u24_sdwa v23, v23, s4 dst_sel:DWORD dst_unused:UNUSED_PAD src0_sel:WORD_1 src1_sel:DWORD
	s_waitcnt lgkmcnt(0)
	v_pk_fma_f16 v42, v4, v15, v42
	v_pk_fma_f16 v43, v4, v22, v43
	v_pk_fma_f16 v11, v5, v15, v11
	v_pk_fma_f16 v12, v5, v22, v12
	v_pk_fma_f16 v22, v5, v41, v13
	v_pk_fma_f16 v5, v5, v23, v14
	v_mul_u32_u24_sdwa v13, v24, s4 dst_sel:DWORD dst_unused:UNUSED_PAD src0_sel:WORD_0 src1_sel:DWORD
	v_mul_u32_u24_sdwa v14, v24, s4 dst_sel:DWORD dst_unused:UNUSED_PAD src0_sel:WORD_1 src1_sel:DWORD
	v_pk_fma_f16 v31, v4, v41, v31
	v_pk_fma_f16 v41, v6, v13, v42
	;; [unrolled: 1-line block ×5, first 2 shown]
	ds_read_b128 v[12:15], v21 offset:17760
	v_pk_fma_f16 v4, v4, v23, v45
	v_mul_u32_u24_sdwa v23, v25, s4 dst_sel:DWORD dst_unused:UNUSED_PAD src0_sel:WORD_0 src1_sel:DWORD
	v_mul_u32_u24_sdwa v24, v25, s4 dst_sel:DWORD dst_unused:UNUSED_PAD src0_sel:WORD_1 src1_sel:DWORD
	v_pk_fma_f16 v31, v6, v23, v31
	v_pk_fma_f16 v43, v6, v24, v4
	;; [unrolled: 1-line block ×4, first 2 shown]
	ds_read2_b64 v[4:7], v9 offset0:128 offset1:160
	ds_read_b128 v[22:25], v21 offset:17776
	s_waitcnt lgkmcnt(2)
	v_mul_u32_u24_sdwa v47, v12, s4 dst_sel:DWORD dst_unused:UNUSED_PAD src0_sel:WORD_0 src1_sel:DWORD
	v_mul_u32_u24_sdwa v12, v12, s4 dst_sel:DWORD dst_unused:UNUSED_PAD src0_sel:WORD_1 src1_sel:DWORD
	v_mul_u32_u24_sdwa v48, v13, s4 dst_sel:DWORD dst_unused:UNUSED_PAD src0_sel:WORD_0 src1_sel:DWORD
	v_mul_u32_u24_sdwa v13, v13, s4 dst_sel:DWORD dst_unused:UNUSED_PAD src0_sel:WORD_1 src1_sel:DWORD
	s_waitcnt lgkmcnt(1)
	v_pk_fma_f16 v41, v4, v47, v41
	v_pk_fma_f16 v42, v4, v12, v42
	;; [unrolled: 1-line block ×8, first 2 shown]
	v_mul_u32_u24_sdwa v13, v14, s4 dst_sel:DWORD dst_unused:UNUSED_PAD src0_sel:WORD_0 src1_sel:DWORD
	v_mul_u32_u24_sdwa v14, v14, s4 dst_sel:DWORD dst_unused:UNUSED_PAD src0_sel:WORD_1 src1_sel:DWORD
	v_mul_u32_u24_sdwa v44, v15, s4 dst_sel:DWORD dst_unused:UNUSED_PAD src0_sel:WORD_0 src1_sel:DWORD
	v_mul_u32_u24_sdwa v15, v15, s4 dst_sel:DWORD dst_unused:UNUSED_PAD src0_sel:WORD_1 src1_sel:DWORD
	v_pk_fma_f16 v41, v6, v13, v41
	v_pk_fma_f16 v42, v6, v14, v42
	;; [unrolled: 1-line block ×8, first 2 shown]
	ds_read2_b64 v[4:7], v9 offset0:192 offset1:224
	s_waitcnt lgkmcnt(1)
	v_mul_u32_u24_sdwa v9, v22, s4 dst_sel:DWORD dst_unused:UNUSED_PAD src0_sel:WORD_0 src1_sel:DWORD
	v_mul_u32_u24_sdwa v15, v22, s4 dst_sel:DWORD dst_unused:UNUSED_PAD src0_sel:WORD_1 src1_sel:DWORD
	v_mul_u32_u24_sdwa v22, v23, s4 dst_sel:DWORD dst_unused:UNUSED_PAD src0_sel:WORD_0 src1_sel:DWORD
	v_mul_u32_u24_sdwa v23, v23, s4 dst_sel:DWORD dst_unused:UNUSED_PAD src0_sel:WORD_1 src1_sel:DWORD
	s_waitcnt lgkmcnt(0)
	v_pk_fma_f16 v41, v4, v9, v41
	v_pk_fma_f16 v42, v4, v15, v42
	;; [unrolled: 1-line block ×6, first 2 shown]
	v_mul_u32_u24_sdwa v12, v24, s4 dst_sel:DWORD dst_unused:UNUSED_PAD src0_sel:WORD_0 src1_sel:DWORD
	v_mul_u32_u24_sdwa v13, v24, s4 dst_sel:DWORD dst_unused:UNUSED_PAD src0_sel:WORD_1 src1_sel:DWORD
	v_pk_fma_f16 v5, v5, v23, v14
	v_pk_fma_f16 v41, v6, v12, v41
	;; [unrolled: 1-line block ×5, first 2 shown]
	ds_read_b128 v[12:15], v21 offset:17792
	v_pk_fma_f16 v4, v4, v23, v45
	v_mul_u32_u24_sdwa v23, v25, s4 dst_sel:DWORD dst_unused:UNUSED_PAD src0_sel:WORD_0 src1_sel:DWORD
	v_mul_u32_u24_sdwa v24, v25, s4 dst_sel:DWORD dst_unused:UNUSED_PAD src0_sel:WORD_1 src1_sel:DWORD
	v_pk_fma_f16 v31, v6, v23, v31
	v_pk_fma_f16 v43, v6, v24, v4
	;; [unrolled: 1-line block ×4, first 2 shown]
	ds_read2_b64 v[4:7], v10 offset1:32
	ds_read_b128 v[22:25], v21 offset:17808
	s_waitcnt lgkmcnt(2)
	v_mul_u32_u24_sdwa v46, v12, s4 dst_sel:DWORD dst_unused:UNUSED_PAD src0_sel:WORD_0 src1_sel:DWORD
	v_mul_u32_u24_sdwa v12, v12, s4 dst_sel:DWORD dst_unused:UNUSED_PAD src0_sel:WORD_1 src1_sel:DWORD
	v_mul_u32_u24_sdwa v47, v13, s4 dst_sel:DWORD dst_unused:UNUSED_PAD src0_sel:WORD_0 src1_sel:DWORD
	v_mul_u32_u24_sdwa v13, v13, s4 dst_sel:DWORD dst_unused:UNUSED_PAD src0_sel:WORD_1 src1_sel:DWORD
	s_waitcnt lgkmcnt(1)
	v_pk_fma_f16 v41, v4, v46, v41
	v_pk_fma_f16 v42, v4, v12, v42
	;; [unrolled: 1-line block ×8, first 2 shown]
	v_mul_u32_u24_sdwa v13, v14, s4 dst_sel:DWORD dst_unused:UNUSED_PAD src0_sel:WORD_0 src1_sel:DWORD
	v_mul_u32_u24_sdwa v14, v14, s4 dst_sel:DWORD dst_unused:UNUSED_PAD src0_sel:WORD_1 src1_sel:DWORD
	v_mul_u32_u24_sdwa v43, v15, s4 dst_sel:DWORD dst_unused:UNUSED_PAD src0_sel:WORD_0 src1_sel:DWORD
	v_mul_u32_u24_sdwa v15, v15, s4 dst_sel:DWORD dst_unused:UNUSED_PAD src0_sel:WORD_1 src1_sel:DWORD
	v_pk_fma_f16 v41, v6, v13, v41
	v_pk_fma_f16 v42, v6, v14, v42
	;; [unrolled: 1-line block ×8, first 2 shown]
	ds_read2_b64 v[4:7], v10 offset0:64 offset1:96
	s_waitcnt lgkmcnt(1)
	v_mul_u32_u24_sdwa v14, v22, s4 dst_sel:DWORD dst_unused:UNUSED_PAD src0_sel:WORD_0 src1_sel:DWORD
	v_mul_u32_u24_sdwa v15, v22, s4 dst_sel:DWORD dst_unused:UNUSED_PAD src0_sel:WORD_1 src1_sel:DWORD
	v_mul_u32_u24_sdwa v22, v23, s4 dst_sel:DWORD dst_unused:UNUSED_PAD src0_sel:WORD_0 src1_sel:DWORD
	v_mul_u32_u24_sdwa v23, v23, s4 dst_sel:DWORD dst_unused:UNUSED_PAD src0_sel:WORD_1 src1_sel:DWORD
	s_waitcnt lgkmcnt(0)
	v_pk_fma_f16 v41, v4, v14, v41
	v_pk_fma_f16 v42, v4, v15, v42
	;; [unrolled: 1-line block ×7, first 2 shown]
	v_mul_u32_u24_sdwa v12, v24, s4 dst_sel:DWORD dst_unused:UNUSED_PAD src0_sel:WORD_0 src1_sel:DWORD
	v_mul_u32_u24_sdwa v13, v24, s4 dst_sel:DWORD dst_unused:UNUSED_PAD src0_sel:WORD_1 src1_sel:DWORD
	v_pk_fma_f16 v41, v6, v12, v41
	v_pk_fma_f16 v42, v6, v13, v42
	v_pk_fma_f16 v9, v7, v12, v9
	v_pk_fma_f16 v11, v7, v13, v11
	ds_read_b128 v[12:15], v21 offset:17824
	v_pk_fma_f16 v4, v4, v23, v44
	v_mul_u32_u24_sdwa v23, v25, s4 dst_sel:DWORD dst_unused:UNUSED_PAD src0_sel:WORD_0 src1_sel:DWORD
	v_mul_u32_u24_sdwa v24, v25, s4 dst_sel:DWORD dst_unused:UNUSED_PAD src0_sel:WORD_1 src1_sel:DWORD
	v_pk_fma_f16 v31, v6, v23, v31
	v_pk_fma_f16 v43, v6, v24, v4
	;; [unrolled: 1-line block ×4, first 2 shown]
	ds_read2_b64 v[4:7], v10 offset0:128 offset1:160
	ds_read_b128 v[22:25], v21 offset:17840
	s_waitcnt lgkmcnt(2)
	v_mul_u32_u24_sdwa v46, v12, s4 dst_sel:DWORD dst_unused:UNUSED_PAD src0_sel:WORD_0 src1_sel:DWORD
	v_mul_u32_u24_sdwa v12, v12, s4 dst_sel:DWORD dst_unused:UNUSED_PAD src0_sel:WORD_1 src1_sel:DWORD
	v_mul_u32_u24_sdwa v47, v13, s4 dst_sel:DWORD dst_unused:UNUSED_PAD src0_sel:WORD_0 src1_sel:DWORD
	v_mul_u32_u24_sdwa v13, v13, s4 dst_sel:DWORD dst_unused:UNUSED_PAD src0_sel:WORD_1 src1_sel:DWORD
	s_waitcnt lgkmcnt(1)
	v_pk_fma_f16 v41, v4, v46, v41
	v_pk_fma_f16 v42, v4, v12, v42
	;; [unrolled: 1-line block ×8, first 2 shown]
	v_mul_u32_u24_sdwa v13, v14, s4 dst_sel:DWORD dst_unused:UNUSED_PAD src0_sel:WORD_0 src1_sel:DWORD
	v_mul_u32_u24_sdwa v14, v14, s4 dst_sel:DWORD dst_unused:UNUSED_PAD src0_sel:WORD_1 src1_sel:DWORD
	v_mul_u32_u24_sdwa v43, v15, s4 dst_sel:DWORD dst_unused:UNUSED_PAD src0_sel:WORD_0 src1_sel:DWORD
	v_mul_u32_u24_sdwa v15, v15, s4 dst_sel:DWORD dst_unused:UNUSED_PAD src0_sel:WORD_1 src1_sel:DWORD
	v_pk_fma_f16 v41, v6, v13, v41
	v_pk_fma_f16 v42, v6, v14, v42
	;; [unrolled: 1-line block ×8, first 2 shown]
	ds_read2_b64 v[4:7], v10 offset0:192 offset1:224
	s_waitcnt lgkmcnt(1)
	v_mul_u32_u24_sdwa v10, v22, s4 dst_sel:DWORD dst_unused:UNUSED_PAD src0_sel:WORD_0 src1_sel:DWORD
	v_mul_u32_u24_sdwa v14, v22, s4 dst_sel:DWORD dst_unused:UNUSED_PAD src0_sel:WORD_1 src1_sel:DWORD
	v_mul_u32_u24_sdwa v15, v23, s4 dst_sel:DWORD dst_unused:UNUSED_PAD src0_sel:WORD_0 src1_sel:DWORD
	v_mul_u32_u24_sdwa v22, v23, s4 dst_sel:DWORD dst_unused:UNUSED_PAD src0_sel:WORD_1 src1_sel:DWORD
	s_waitcnt lgkmcnt(0)
	v_pk_fma_f16 v23, v4, v10, v41
	v_pk_fma_f16 v41, v4, v14, v42
	;; [unrolled: 1-line block ×5, first 2 shown]
	v_mul_u32_u24_sdwa v11, v24, s4 dst_sel:DWORD dst_unused:UNUSED_PAD src0_sel:WORD_0 src1_sel:DWORD
	v_mul_u32_u24_sdwa v12, v24, s4 dst_sel:DWORD dst_unused:UNUSED_PAD src0_sel:WORD_1 src1_sel:DWORD
	v_pk_fma_f16 v31, v4, v15, v31
	v_pk_fma_f16 v4, v4, v22, v44
	;; [unrolled: 1-line block ×7, first 2 shown]
	ds_read_b128 v[10:13], v21 offset:17856
	v_mul_u32_u24_sdwa v15, v25, s4 dst_sel:DWORD dst_unused:UNUSED_PAD src0_sel:WORD_0 src1_sel:DWORD
	v_mul_u32_u24_sdwa v22, v25, s4 dst_sel:DWORD dst_unused:UNUSED_PAD src0_sel:WORD_1 src1_sel:DWORD
	v_pk_fma_f16 v31, v6, v15, v31
	v_pk_fma_f16 v43, v6, v22, v4
	;; [unrolled: 1-line block ×4, first 2 shown]
	ds_read2_b64 v[4:7], v8 offset1:32
	ds_read_b128 v[22:25], v21 offset:17872
	s_waitcnt lgkmcnt(2)
	v_mul_u32_u24_sdwa v45, v10, s4 dst_sel:DWORD dst_unused:UNUSED_PAD src0_sel:WORD_0 src1_sel:DWORD
	v_mul_u32_u24_sdwa v10, v10, s4 dst_sel:DWORD dst_unused:UNUSED_PAD src0_sel:WORD_1 src1_sel:DWORD
	v_mul_u32_u24_sdwa v46, v11, s4 dst_sel:DWORD dst_unused:UNUSED_PAD src0_sel:WORD_0 src1_sel:DWORD
	v_mul_u32_u24_sdwa v11, v11, s4 dst_sel:DWORD dst_unused:UNUSED_PAD src0_sel:WORD_1 src1_sel:DWORD
	s_waitcnt lgkmcnt(1)
	v_pk_fma_f16 v42, v4, v45, v42
	v_pk_fma_f16 v41, v4, v10, v41
	;; [unrolled: 1-line block ×8, first 2 shown]
	v_mul_u32_u24_sdwa v11, v12, s4 dst_sel:DWORD dst_unused:UNUSED_PAD src0_sel:WORD_0 src1_sel:DWORD
	v_mul_u32_u24_sdwa v12, v12, s4 dst_sel:DWORD dst_unused:UNUSED_PAD src0_sel:WORD_1 src1_sel:DWORD
	v_mul_u32_u24_sdwa v15, v13, s4 dst_sel:DWORD dst_unused:UNUSED_PAD src0_sel:WORD_0 src1_sel:DWORD
	v_mul_u32_u24_sdwa v13, v13, s4 dst_sel:DWORD dst_unused:UNUSED_PAD src0_sel:WORD_1 src1_sel:DWORD
	v_pk_fma_f16 v42, v6, v11, v42
	v_pk_fma_f16 v41, v6, v12, v41
	v_pk_fma_f16 v31, v6, v15, v31
	v_pk_fma_f16 v43, v6, v13, v4
	v_pk_fma_f16 v9, v7, v11, v9
	v_pk_fma_f16 v10, v7, v12, v10
	v_pk_fma_f16 v11, v7, v15, v14
	v_pk_fma_f16 v12, v7, v13, v5
	ds_read2_b64 v[4:7], v8 offset0:64 offset1:96
	s_waitcnt lgkmcnt(1)
	v_mul_u32_u24_sdwa v13, v22, s4 dst_sel:DWORD dst_unused:UNUSED_PAD src0_sel:WORD_0 src1_sel:DWORD
	v_mul_u32_u24_sdwa v14, v22, s4 dst_sel:DWORD dst_unused:UNUSED_PAD src0_sel:WORD_1 src1_sel:DWORD
	v_mul_u32_u24_sdwa v15, v23, s4 dst_sel:DWORD dst_unused:UNUSED_PAD src0_sel:WORD_0 src1_sel:DWORD
	v_mul_u32_u24_sdwa v22, v23, s4 dst_sel:DWORD dst_unused:UNUSED_PAD src0_sel:WORD_1 src1_sel:DWORD
	s_waitcnt lgkmcnt(0)
	v_pk_fma_f16 v23, v4, v13, v42
	v_pk_fma_f16 v41, v4, v14, v41
	;; [unrolled: 1-line block ×6, first 2 shown]
	v_mul_u32_u24_sdwa v11, v24, s4 dst_sel:DWORD dst_unused:UNUSED_PAD src0_sel:WORD_0 src1_sel:DWORD
	v_mul_u32_u24_sdwa v12, v24, s4 dst_sel:DWORD dst_unused:UNUSED_PAD src0_sel:WORD_1 src1_sel:DWORD
	v_pk_fma_f16 v42, v6, v11, v23
	v_pk_fma_f16 v41, v6, v12, v41
	;; [unrolled: 1-line block ×4, first 2 shown]
	ds_read_b128 v[10:13], v21 offset:17888
	v_pk_fma_f16 v31, v4, v15, v31
	v_pk_fma_f16 v4, v4, v22, v43
	v_mul_u32_u24_sdwa v15, v25, s4 dst_sel:DWORD dst_unused:UNUSED_PAD src0_sel:WORD_0 src1_sel:DWORD
	v_mul_u32_u24_sdwa v22, v25, s4 dst_sel:DWORD dst_unused:UNUSED_PAD src0_sel:WORD_1 src1_sel:DWORD
	v_pk_fma_f16 v31, v6, v15, v31
	v_pk_fma_f16 v43, v6, v22, v4
	;; [unrolled: 1-line block ×4, first 2 shown]
	ds_read2_b64 v[4:7], v8 offset0:128 offset1:160
	ds_read_b128 v[22:25], v21 offset:17904
	s_waitcnt lgkmcnt(2)
	v_mul_u32_u24_sdwa v21, v10, s4 dst_sel:DWORD dst_unused:UNUSED_PAD src0_sel:WORD_0 src1_sel:DWORD
	v_mul_u32_u24_sdwa v10, v10, s4 dst_sel:DWORD dst_unused:UNUSED_PAD src0_sel:WORD_1 src1_sel:DWORD
	v_mul_u32_u24_sdwa v45, v11, s4 dst_sel:DWORD dst_unused:UNUSED_PAD src0_sel:WORD_0 src1_sel:DWORD
	v_mul_u32_u24_sdwa v11, v11, s4 dst_sel:DWORD dst_unused:UNUSED_PAD src0_sel:WORD_1 src1_sel:DWORD
	s_waitcnt lgkmcnt(1)
	v_pk_fma_f16 v42, v4, v21, v42
	v_pk_fma_f16 v41, v4, v10, v41
	;; [unrolled: 1-line block ×8, first 2 shown]
	v_mul_u32_u24_sdwa v11, v12, s4 dst_sel:DWORD dst_unused:UNUSED_PAD src0_sel:WORD_0 src1_sel:DWORD
	v_mul_u32_u24_sdwa v12, v12, s4 dst_sel:DWORD dst_unused:UNUSED_PAD src0_sel:WORD_1 src1_sel:DWORD
	v_mul_u32_u24_sdwa v15, v13, s4 dst_sel:DWORD dst_unused:UNUSED_PAD src0_sel:WORD_0 src1_sel:DWORD
	v_mul_u32_u24_sdwa v13, v13, s4 dst_sel:DWORD dst_unused:UNUSED_PAD src0_sel:WORD_1 src1_sel:DWORD
	v_pk_fma_f16 v21, v6, v11, v42
	v_pk_fma_f16 v41, v6, v12, v41
	;; [unrolled: 1-line block ×8, first 2 shown]
	ds_read2_b64 v[4:7], v8 offset0:192 offset1:224
	s_waitcnt lgkmcnt(1)
	v_mul_u32_u24_sdwa v8, v22, s4 dst_sel:DWORD dst_unused:UNUSED_PAD src0_sel:WORD_0 src1_sel:DWORD
	v_mul_u32_u24_sdwa v13, v22, s4 dst_sel:DWORD dst_unused:UNUSED_PAD src0_sel:WORD_1 src1_sel:DWORD
	v_mul_u32_u24_sdwa v14, v23, s4 dst_sel:DWORD dst_unused:UNUSED_PAD src0_sel:WORD_0 src1_sel:DWORD
	v_mul_u32_u24_sdwa v15, v23, s4 dst_sel:DWORD dst_unused:UNUSED_PAD src0_sel:WORD_1 src1_sel:DWORD
	s_waitcnt lgkmcnt(0)
	v_pk_fma_f16 v21, v4, v8, v21
	v_pk_fma_f16 v22, v4, v13, v41
	;; [unrolled: 1-line block ×8, first 2 shown]
	v_mul_u32_u24_sdwa v11, v24, s4 dst_sel:DWORD dst_unused:UNUSED_PAD src0_sel:WORD_0 src1_sel:DWORD
	v_mul_u32_u24_sdwa v12, v24, s4 dst_sel:DWORD dst_unused:UNUSED_PAD src0_sel:WORD_1 src1_sel:DWORD
	v_mul_u32_u24_sdwa v13, v25, s4 dst_sel:DWORD dst_unused:UNUSED_PAD src0_sel:WORD_0 src1_sel:DWORD
	v_mul_u32_u24_sdwa v14, v25, s4 dst_sel:DWORD dst_unused:UNUSED_PAD src0_sel:WORD_1 src1_sel:DWORD
	v_pk_fma_f16 v52, v6, v11, v21
	v_pk_fma_f16 v49, v6, v12, v22
	;; [unrolled: 1-line block ×8, first 2 shown]
	v_mov_b64_e32 v[12:13], v[16:17]
	v_mov_b64_e32 v[10:11], v[2:3]
	;; [unrolled: 1-line block ×4, first 2 shown]
	s_barrier
.LBB56_71:
	v_cmp_lt_i32_e32 vcc, v29, v27
	s_cmp_eq_u64 s[16:17], 0
	s_cselect_b64 s[4:5], -1, 0
	v_cndmask_b32_e32 v0, v26, v29, vcc
	v_cmp_lt_i32_e32 vcc, v56, v27
	v_lshlrev_b32_e32 v3, 2, v0
	ds_bpermute_b32 v1, v3, v9
	v_cndmask_b32_e32 v0, v26, v56, vcc
	v_cmp_lt_i32_e32 vcc, v57, v27
	v_lshlrev_b32_e32 v7, 2, v0
	ds_bpermute_b32 v2, v3, v10
	v_cndmask_b32_e32 v0, v26, v57, vcc
	v_lshlrev_b32_e32 v16, 2, v0
	ds_bpermute_b32 v0, v3, v8
	ds_bpermute_b32 v3, v3, v11
	v_cmp_lt_i32_e32 vcc, v30, v27
	s_cmp_lg_u32 s3, 0
	s_cselect_b64 s[6:7], -1, 0
	s_waitcnt lgkmcnt(1)
	v_pk_add_f32 v[0:1], v[8:9], v[0:1]
	s_waitcnt lgkmcnt(0)
	v_pk_add_f32 v[2:3], v[10:11], v[2:3]
	ds_bpermute_b32 v4, v7, v0
	ds_bpermute_b32 v5, v7, v1
	;; [unrolled: 1-line block ×4, first 2 shown]
	v_cndmask_b32_e32 v17, v26, v30, vcc
	v_lshlrev_b32_e32 v8, 2, v17
	s_waitcnt lgkmcnt(2)
	v_pk_add_f32 v[0:1], v[0:1], v[4:5]
	ds_bpermute_b32 v4, v16, v0
	s_waitcnt lgkmcnt(1)
	v_pk_add_f32 v[2:3], v[2:3], v[6:7]
	ds_bpermute_b32 v5, v16, v1
	ds_bpermute_b32 v6, v16, v2
	;; [unrolled: 1-line block ×3, first 2 shown]
	v_cmp_lt_i32_e32 vcc, v28, v27
	s_or_b64 s[4:5], s[6:7], s[4:5]
	s_waitcnt lgkmcnt(2)
	v_pk_add_f32 v[0:1], v[0:1], v[4:5]
	ds_bpermute_b32 v4, v8, v0
	s_waitcnt lgkmcnt(1)
	v_pk_add_f32 v[2:3], v[2:3], v[6:7]
	ds_bpermute_b32 v5, v8, v1
	ds_bpermute_b32 v6, v8, v2
	;; [unrolled: 1-line block ×3, first 2 shown]
	v_cndmask_b32_e32 v9, v26, v28, vcc
	v_lshlrev_b32_e32 v9, 2, v9
	s_waitcnt lgkmcnt(2)
	v_pk_add_f32 v[0:1], v[0:1], v[4:5]
	ds_bpermute_b32 v4, v9, v0
	s_waitcnt lgkmcnt(1)
	v_pk_add_f32 v[6:7], v[2:3], v[6:7]
	ds_bpermute_b32 v5, v9, v1
	ds_bpermute_b32 v8, v9, v6
	;; [unrolled: 1-line block ×3, first 2 shown]
	s_and_b64 vcc, exec, s[4:5]
	s_waitcnt lgkmcnt(2)
	v_pk_add_f32 v[2:3], v[0:1], v[4:5]
	s_waitcnt lgkmcnt(0)
	v_pk_add_f32 v[0:1], v[6:7], v[8:9]
	s_cbranch_vccnz .LBB56_73
; %bb.72:
	s_lshl_b64 s[4:5], s[34:35], 2
	s_add_u32 s4, s16, s4
	s_addc_u32 s5, s17, s5
	v_mov_b32_e32 v4, 0
	global_load_dword v16, v4, s[4:5]
	v_max_f32_e32 v4, v12, v12
	v_max_f32_e32 v5, v13, v13
	s_mov_b32 s5, 0x3fb8aa3b
	v_max_f32_e32 v6, v14, v14
	s_mov_b32 s2, 0xc2ce8ed0
	s_mov_b32 s4, 0x42b17218
	v_mov_b32_e32 v17, 0x7f800000
	s_waitcnt vmcnt(0)
	v_max_f32_e32 v7, v16, v16
	v_max_f32_e32 v4, v4, v7
	v_sub_f32_e32 v8, v12, v4
	v_max_f32_e32 v5, v5, v7
	v_sub_f32_e32 v9, v16, v4
	v_mul_f32_e32 v10, 0x3fb8aa3b, v8
	v_sub_f32_e32 v11, v13, v5
	v_mul_f32_e32 v18, 0x3fb8aa3b, v9
	v_fma_f32 v24, v8, s5, -v10
	v_rndne_f32_e32 v25, v10
	v_max_f32_e32 v6, v6, v7
	v_sub_f32_e32 v12, v16, v5
	v_mul_f32_e32 v19, 0x3fb8aa3b, v11
	v_fma_f32 v26, v9, s5, -v18
	v_rndne_f32_e32 v27, v18
	v_fmac_f32_e32 v24, 0x32a5705f, v8
	v_sub_f32_e32 v10, v10, v25
	v_sub_f32_e32 v13, v14, v6
	v_mul_f32_e32 v21, 0x3fb8aa3b, v12
	v_fma_f32 v28, v11, s5, -v19
	v_rndne_f32_e32 v29, v19
	v_fmac_f32_e32 v26, 0x32a5705f, v9
	v_sub_f32_e32 v18, v18, v27
	v_add_f32_e32 v10, v10, v24
	v_mul_f32_e32 v22, 0x3fb8aa3b, v13
	v_fma_f32 v30, v12, s5, -v21
	v_rndne_f32_e32 v41, v21
	v_cvt_i32_f32_e32 v25, v25
	v_fmac_f32_e32 v28, 0x32a5705f, v11
	v_sub_f32_e32 v19, v19, v29
	v_add_f32_e32 v18, v18, v26
	v_exp_f32_e32 v10, v10
	v_fma_f32 v42, v13, s5, -v22
	v_rndne_f32_e32 v43, v22
	v_cvt_i32_f32_e32 v27, v27
	v_fmac_f32_e32 v30, 0x32a5705f, v12
	v_sub_f32_e32 v21, v21, v41
	v_add_f32_e32 v19, v19, v28
	v_exp_f32_e32 v18, v18
	v_cvt_i32_f32_e32 v29, v29
	v_fmac_f32_e32 v42, 0x32a5705f, v13
	v_sub_f32_e32 v22, v22, v43
	v_add_f32_e32 v21, v21, v30
	v_exp_f32_e32 v19, v19
	v_cvt_i32_f32_e32 v41, v41
	v_add_f32_e32 v22, v22, v42
	v_exp_f32_e32 v21, v21
	v_cvt_i32_f32_e32 v43, v43
	v_exp_f32_e32 v22, v22
	v_ldexp_f32 v10, v10, v25
	v_cmp_ngt_f32_e32 vcc, s2, v8
	v_ldexp_f32 v18, v18, v27
	v_ldexp_f32 v19, v19, v29
	v_cndmask_b32_e32 v10, 0, v10, vcc
	v_cmp_ngt_f32_e32 vcc, s2, v9
	v_ldexp_f32 v21, v21, v41
	v_ldexp_f32 v22, v22, v43
	v_cndmask_b32_e32 v18, 0, v18, vcc
	v_cmp_ngt_f32_e32 vcc, s2, v11
	v_sub_f32_e32 v14, v16, v6
	v_mul_f32_e32 v23, 0x3fb8aa3b, v14
	v_cndmask_b32_e32 v19, 0, v19, vcc
	v_cmp_ngt_f32_e32 vcc, s2, v12
	v_fma_f32 v44, v14, s5, -v23
	v_rndne_f32_e32 v47, v23
	v_cndmask_b32_e32 v21, 0, v21, vcc
	v_cmp_ngt_f32_e32 vcc, s2, v13
	v_fmac_f32_e32 v44, 0x32a5705f, v14
	v_sub_f32_e32 v23, v23, v47
	v_cndmask_b32_e32 v22, 0, v22, vcc
	v_cmp_nlt_f32_e32 vcc, s4, v8
	v_add_f32_e32 v23, v23, v44
	v_cvt_i32_f32_e32 v47, v47
	v_cndmask_b32_e32 v8, v17, v10, vcc
	v_cmp_nlt_f32_e32 vcc, s4, v9
	v_exp_f32_e32 v23, v23
	s_nop 0
	v_cndmask_b32_e32 v10, v17, v18, vcc
	v_cmp_nlt_f32_e32 vcc, s4, v11
	v_cvt_f16_f32_e32 v18, v8
	s_nop 0
	v_cndmask_b32_e32 v9, v17, v19, vcc
	v_cvt_f16_f32_e32 v19, v9
	v_cmp_nlt_f32_e32 vcc, s4, v12
	s_nop 1
	v_cndmask_b32_e32 v11, v17, v21, vcc
	v_cmp_nlt_f32_e32 vcc, s4, v13
	v_mul_u32_u24_e32 v13, 0x10001, v18
	v_mul_u32_u24_e32 v18, 0x10001, v19
	v_pk_mul_f16 v49, v49, v18
	v_pk_mul_f16 v54, v54, v18
	v_max_f32_e32 v18, v15, v15
	v_max_f32_e32 v7, v18, v7
	v_sub_f32_e32 v15, v15, v7
	v_mul_f32_e32 v18, 0x3fb8aa3b, v15
	v_cndmask_b32_e32 v12, v17, v22, vcc
	v_pk_mul_f16 v52, v52, v13
	v_pk_mul_f16 v31, v31, v13
	v_ldexp_f32 v13, v23, v47
	v_cmp_ngt_f32_e32 vcc, s2, v14
	v_fma_f32 v19, v15, s5, -v18
	v_rndne_f32_e32 v21, v18
	v_cndmask_b32_e32 v13, 0, v13, vcc
	v_cmp_nlt_f32_e32 vcc, s4, v14
	v_fmac_f32_e32 v19, 0x32a5705f, v15
	v_sub_f32_e32 v18, v18, v21
	v_cndmask_b32_e32 v14, v17, v13, vcc
	v_cvt_f16_f32_e32 v13, v12
	v_add_f32_e32 v18, v18, v19
	v_exp_f32_e32 v18, v18
	v_cvt_i32_f32_e32 v19, v21
	v_mul_u32_u24_e32 v13, 0x10001, v13
	v_sub_f32_e32 v16, v16, v7
	v_pk_mul_f16 v48, v48, v13
	v_pk_mul_f16 v50, v50, v13
	v_ldexp_f32 v13, v18, v19
	v_mul_f32_e32 v18, 0x3fb8aa3b, v16
	v_fma_f32 v19, v16, s5, -v18
	v_rndne_f32_e32 v21, v18
	v_fmac_f32_e32 v19, 0x32a5705f, v16
	v_sub_f32_e32 v18, v18, v21
	v_add_f32_e32 v18, v18, v19
	v_exp_f32_e32 v18, v18
	v_cvt_i32_f32_e32 v19, v21
	v_cmp_ngt_f32_e32 vcc, s2, v15
	v_pk_fma_f32 v[2:3], v[2:3], v[8:9], v[10:11]
	s_nop 0
	v_cndmask_b32_e32 v13, 0, v13, vcc
	v_cmp_nlt_f32_e32 vcc, s4, v15
	v_ldexp_f32 v15, v18, v19
	s_nop 0
	v_cndmask_b32_e32 v13, v17, v13, vcc
	v_cvt_f16_f32_e32 v18, v13
	v_cmp_ngt_f32_e32 vcc, s2, v16
	s_nop 1
	v_cndmask_b32_e32 v15, 0, v15, vcc
	v_cmp_nlt_f32_e32 vcc, s4, v16
	v_mul_u32_u24_e32 v16, 0x10001, v18
	v_pk_mul_f16 v45, v45, v16
	v_cndmask_b32_e32 v15, v17, v15, vcc
	v_pk_fma_f32 v[0:1], v[0:1], v[12:13], v[14:15]
	v_mov_b64_e32 v[14:15], v[6:7]
	v_pk_mul_f16 v46, v46, v16
	v_mov_b64_e32 v[12:13], v[4:5]
.LBB56_73:
	v_cmp_gt_i32_e32 vcc, s26, v40
	s_and_saveexec_b64 s[4:5], vcc
	s_cbranch_execz .LBB56_93
; %bb.74:
	s_load_dword s2, s[0:1], 0xd4
	v_mov_b32_e32 v4, 1.0
	s_waitcnt lgkmcnt(0)
	s_cmp_lg_u32 s2, 1
	s_cselect_b64 s[0:1], -1, 0
	s_cmp_eq_u32 s2, 1
	s_cselect_b64 s[6:7], -1, 0
	s_and_b64 vcc, exec, s[0:1]
	s_cbranch_vccnz .LBB56_76
; %bb.75:
	v_div_scale_f32 v4, s[4:5], v2, v2, 1.0
	v_rcp_f32_e32 v5, v4
	v_div_scale_f32 v6, vcc, 1.0, v2, 1.0
	v_fma_f32 v7, -v4, v5, 1.0
	v_fmac_f32_e32 v5, v7, v5
	v_mul_f32_e32 v7, v6, v5
	v_fma_f32 v8, -v4, v7, v6
	v_fmac_f32_e32 v7, v8, v5
	v_fma_f32 v4, -v4, v7, v6
	v_div_fmas_f32 v4, v4, v5, v7
	v_div_fixup_f32 v4, v4, v2, 1.0
.LBB56_76:
	s_mul_i32 s8, s33, s26
	s_add_i32 s8, s8, s14
	v_add_u32_e32 v5, s8, v38
	v_mul_lo_u32 v5, v5, s27
	v_add_u32_e32 v5, s34, v5
	v_cvt_f32_f16_sdwa v11, v52 dst_sel:DWORD dst_unused:UNUSED_PAD src0_sel:WORD_1
	v_cvt_f32_f16_e32 v10, v52
	v_cvt_f32_f16_sdwa v17, v31 dst_sel:DWORD dst_unused:UNUSED_PAD src0_sel:WORD_1
	v_cvt_f32_f16_e32 v16, v31
	v_mul_lo_u32 v5, s2, v5
	v_add_u32_e32 v6, s3, v5
	v_cmp_eq_u32_e32 vcc, 0, v20
	v_lshl_add_u32 v8, v6, 7, v37
	v_mov_b32_e32 v9, 0
	v_lshl_add_u64 v[18:19], v[8:9], 2, s[20:21]
	v_pk_mul_f32 v[8:9], v[4:5], v[10:11] op_sel_hi:[0,1]
	v_pk_mul_f32 v[10:11], v[4:5], v[16:17] op_sel_hi:[0,1]
	s_and_b64 s[4:5], vcc, s[0:1]
	global_store_dwordx4 v[18:19], v[8:11], off
	s_and_saveexec_b64 s[0:1], s[4:5]
	s_cbranch_execz .LBB56_78
; %bb.77:
	v_ashrrev_i32_e32 v7, 31, v6
	v_lshl_add_u64 v[4:5], v[6:7], 3, s[22:23]
	v_mov_b32_e32 v6, v12
	v_mov_b32_e32 v7, v2
	global_store_dwordx2 v[4:5], v[6:7], off
.LBB56_78:
	s_or_b64 exec, exec, s[0:1]
	v_cmp_gt_i32_e32 vcc, s26, v39
	s_and_b64 exec, exec, vcc
	s_cbranch_execz .LBB56_93
; %bb.79:
	v_cndmask_b32_e64 v2, 0, 1, s[6:7]
	v_cmp_ne_u32_e64 s[0:1], 1, v2
	s_andn2_b64 vcc, exec, s[6:7]
	v_mov_b32_e32 v2, 1.0
	s_cbranch_vccnz .LBB56_81
; %bb.80:
	v_div_scale_f32 v2, s[6:7], v3, v3, 1.0
	v_rcp_f32_e32 v4, v2
	v_div_scale_f32 v5, vcc, 1.0, v3, 1.0
	v_fma_f32 v6, -v2, v4, 1.0
	v_fmac_f32_e32 v4, v6, v4
	v_mul_f32_e32 v6, v5, v4
	v_fma_f32 v7, -v2, v6, v5
	v_fmac_f32_e32 v6, v7, v4
	v_fma_f32 v2, -v2, v6, v5
	v_div_fmas_f32 v2, v2, v4, v6
	v_div_fixup_f32 v2, v2, v3, 1.0
.LBB56_81:
	v_add_u32_e32 v4, s8, v36
	v_mul_lo_u32 v4, v4, s27
	v_add_u32_e32 v4, s34, v4
	v_cvt_f32_f16_sdwa v9, v49 dst_sel:DWORD dst_unused:UNUSED_PAD src0_sel:WORD_1
	v_cvt_f32_f16_e32 v8, v49
	v_cvt_f32_f16_sdwa v11, v54 dst_sel:DWORD dst_unused:UNUSED_PAD src0_sel:WORD_1
	v_cvt_f32_f16_e32 v10, v54
	v_mul_lo_u32 v4, s2, v4
	v_add_u32_e32 v4, s3, v4
	v_lshl_add_u32 v6, v4, 7, v37
	v_mov_b32_e32 v7, 0
	v_lshl_add_u64 v[16:17], v[6:7], 2, s[20:21]
	v_pk_mul_f32 v[6:7], v[2:3], v[8:9] op_sel_hi:[0,1]
	v_pk_mul_f32 v[8:9], v[2:3], v[10:11] op_sel_hi:[0,1]
	global_store_dwordx4 v[16:17], v[6:9], off
	s_and_saveexec_b64 s[6:7], s[4:5]
	s_cbranch_execz .LBB56_83
; %bb.82:
	v_ashrrev_i32_e32 v5, 31, v4
	v_lshl_add_u64 v[4:5], v[4:5], 3, s[22:23]
	v_mov_b32_e32 v2, v13
	global_store_dwordx2 v[4:5], v[2:3], off
.LBB56_83:
	s_or_b64 exec, exec, s[6:7]
	v_cmp_gt_i32_e32 vcc, s26, v35
	s_and_b64 exec, exec, vcc
	s_cbranch_execz .LBB56_93
; %bb.84:
	s_and_b64 vcc, exec, s[0:1]
	v_mov_b32_e32 v4, 1.0
	s_cbranch_vccnz .LBB56_86
; %bb.85:
	v_div_scale_f32 v2, s[6:7], v0, v0, 1.0
	v_rcp_f32_e32 v3, v2
	v_div_scale_f32 v4, vcc, 1.0, v0, 1.0
	v_fma_f32 v5, -v2, v3, 1.0
	v_fmac_f32_e32 v3, v5, v3
	v_mul_f32_e32 v5, v4, v3
	v_fma_f32 v6, -v2, v5, v4
	v_fmac_f32_e32 v5, v6, v3
	v_fma_f32 v2, -v2, v5, v4
	v_div_fmas_f32 v2, v2, v3, v5
	v_div_fixup_f32 v4, v2, v0, 1.0
.LBB56_86:
	v_add_u32_e32 v2, s8, v34
	v_mul_lo_u32 v2, v2, s27
	v_add_u32_e32 v2, s34, v2
	v_cvt_f32_f16_sdwa v9, v48 dst_sel:DWORD dst_unused:UNUSED_PAD src0_sel:WORD_1
	v_cvt_f32_f16_e32 v8, v48
	v_cvt_f32_f16_sdwa v11, v50 dst_sel:DWORD dst_unused:UNUSED_PAD src0_sel:WORD_1
	v_cvt_f32_f16_e32 v10, v50
	v_mul_lo_u32 v2, s2, v2
	v_add_u32_e32 v2, s3, v2
	v_lshl_add_u32 v6, v2, 7, v37
	v_mov_b32_e32 v7, 0
	v_lshl_add_u64 v[12:13], v[6:7], 2, s[20:21]
	v_pk_mul_f32 v[6:7], v[4:5], v[8:9] op_sel_hi:[0,1]
	v_pk_mul_f32 v[8:9], v[4:5], v[10:11] op_sel_hi:[0,1]
	global_store_dwordx4 v[12:13], v[6:9], off
	s_and_saveexec_b64 s[6:7], s[4:5]
	s_cbranch_execz .LBB56_88
; %bb.87:
	v_ashrrev_i32_e32 v3, 31, v2
	v_lshl_add_u64 v[2:3], v[2:3], 3, s[22:23]
	v_mov_b32_e32 v4, v14
	v_mov_b32_e32 v5, v0
	global_store_dwordx2 v[2:3], v[4:5], off
.LBB56_88:
	s_or_b64 exec, exec, s[6:7]
	v_cmp_gt_i32_e32 vcc, s26, v33
	s_and_b64 exec, exec, vcc
	s_cbranch_execz .LBB56_93
; %bb.89:
	s_and_b64 vcc, exec, s[0:1]
	v_mov_b32_e32 v0, 1.0
	s_cbranch_vccnz .LBB56_91
; %bb.90:
	v_div_scale_f32 v0, s[0:1], v1, v1, 1.0
	v_rcp_f32_e32 v2, v0
	v_div_scale_f32 v3, vcc, 1.0, v1, 1.0
	v_fma_f32 v4, -v0, v2, 1.0
	v_fmac_f32_e32 v2, v4, v2
	v_mul_f32_e32 v4, v3, v2
	v_fma_f32 v5, -v0, v4, v3
	v_fmac_f32_e32 v4, v5, v2
	v_fma_f32 v0, -v0, v4, v3
	v_div_fmas_f32 v0, v0, v2, v4
	v_div_fixup_f32 v0, v0, v1, 1.0
.LBB56_91:
	v_add_u32_e32 v2, s8, v32
	v_mul_lo_u32 v2, v2, s27
	v_add_u32_e32 v2, s34, v2
	v_cvt_f32_f16_sdwa v7, v45 dst_sel:DWORD dst_unused:UNUSED_PAD src0_sel:WORD_1
	v_cvt_f32_f16_e32 v6, v45
	v_cvt_f32_f16_sdwa v9, v46 dst_sel:DWORD dst_unused:UNUSED_PAD src0_sel:WORD_1
	v_cvt_f32_f16_e32 v8, v46
	v_mul_lo_u32 v2, s2, v2
	v_add_u32_e32 v2, s3, v2
	v_lshl_add_u32 v4, v2, 7, v37
	v_mov_b32_e32 v5, 0
	v_lshl_add_u64 v[10:11], v[4:5], 2, s[20:21]
	v_pk_mul_f32 v[4:5], v[0:1], v[6:7] op_sel_hi:[0,1]
	v_pk_mul_f32 v[6:7], v[0:1], v[8:9] op_sel_hi:[0,1]
	global_store_dwordx4 v[10:11], v[4:7], off
	s_and_b64 exec, exec, s[4:5]
	s_cbranch_execz .LBB56_93
; %bb.92:
	v_ashrrev_i32_e32 v3, 31, v2
	v_lshl_add_u64 v[2:3], v[2:3], 3, s[22:23]
	v_mov_b32_e32 v0, v15
	global_store_dwordx2 v[2:3], v[0:1], off
.LBB56_93:
	s_endpgm
	.section	.rodata,"a",@progbits
	.p2align	6, 0x0
	.amdhsa_kernel _ZL15flash_attn_tileILi128ELi128ELi32ELi1ELb0EEvPKcS1_S1_S1_S1_PKiPfP15HIP_vector_typeIfLj2EEffffjfiS5_IjLj3EEiiiiiiiiiiiliiliiiiil
		.amdhsa_group_segment_fixed_size 21504
		.amdhsa_private_segment_fixed_size 32
		.amdhsa_kernarg_size 464
		.amdhsa_user_sgpr_count 2
		.amdhsa_user_sgpr_dispatch_ptr 0
		.amdhsa_user_sgpr_queue_ptr 0
		.amdhsa_user_sgpr_kernarg_segment_ptr 1
		.amdhsa_user_sgpr_dispatch_id 0
		.amdhsa_user_sgpr_kernarg_preload_length 0
		.amdhsa_user_sgpr_kernarg_preload_offset 0
		.amdhsa_user_sgpr_private_segment_size 0
		.amdhsa_uses_dynamic_stack 0
		.amdhsa_enable_private_segment 1
		.amdhsa_system_sgpr_workgroup_id_x 1
		.amdhsa_system_sgpr_workgroup_id_y 1
		.amdhsa_system_sgpr_workgroup_id_z 1
		.amdhsa_system_sgpr_workgroup_info 0
		.amdhsa_system_vgpr_workitem_id 1
		.amdhsa_next_free_vgpr 114
		.amdhsa_next_free_sgpr 75
		.amdhsa_accum_offset 116
		.amdhsa_reserve_vcc 1
		.amdhsa_float_round_mode_32 0
		.amdhsa_float_round_mode_16_64 0
		.amdhsa_float_denorm_mode_32 3
		.amdhsa_float_denorm_mode_16_64 3
		.amdhsa_dx10_clamp 1
		.amdhsa_ieee_mode 1
		.amdhsa_fp16_overflow 0
		.amdhsa_tg_split 0
		.amdhsa_exception_fp_ieee_invalid_op 0
		.amdhsa_exception_fp_denorm_src 0
		.amdhsa_exception_fp_ieee_div_zero 0
		.amdhsa_exception_fp_ieee_overflow 0
		.amdhsa_exception_fp_ieee_underflow 0
		.amdhsa_exception_fp_ieee_inexact 0
		.amdhsa_exception_int_div_zero 0
	.end_amdhsa_kernel
	.section	.text._ZL15flash_attn_tileILi128ELi128ELi32ELi1ELb0EEvPKcS1_S1_S1_S1_PKiPfP15HIP_vector_typeIfLj2EEffffjfiS5_IjLj3EEiiiiiiiiiiiliiliiiiil,"axG",@progbits,_ZL15flash_attn_tileILi128ELi128ELi32ELi1ELb0EEvPKcS1_S1_S1_S1_PKiPfP15HIP_vector_typeIfLj2EEffffjfiS5_IjLj3EEiiiiiiiiiiiliiliiiiil,comdat
.Lfunc_end56:
	.size	_ZL15flash_attn_tileILi128ELi128ELi32ELi1ELb0EEvPKcS1_S1_S1_S1_PKiPfP15HIP_vector_typeIfLj2EEffffjfiS5_IjLj3EEiiiiiiiiiiiliiliiiiil, .Lfunc_end56-_ZL15flash_attn_tileILi128ELi128ELi32ELi1ELb0EEvPKcS1_S1_S1_S1_PKiPfP15HIP_vector_typeIfLj2EEffffjfiS5_IjLj3EEiiiiiiiiiiiliiliiiiil
                                        ; -- End function
	.set _ZL15flash_attn_tileILi128ELi128ELi32ELi1ELb0EEvPKcS1_S1_S1_S1_PKiPfP15HIP_vector_typeIfLj2EEffffjfiS5_IjLj3EEiiiiiiiiiiiliiliiiiil.num_vgpr, 114
	.set _ZL15flash_attn_tileILi128ELi128ELi32ELi1ELb0EEvPKcS1_S1_S1_S1_PKiPfP15HIP_vector_typeIfLj2EEffffjfiS5_IjLj3EEiiiiiiiiiiiliiliiiiil.num_agpr, 0
	.set _ZL15flash_attn_tileILi128ELi128ELi32ELi1ELb0EEvPKcS1_S1_S1_S1_PKiPfP15HIP_vector_typeIfLj2EEffffjfiS5_IjLj3EEiiiiiiiiiiiliiliiiiil.numbered_sgpr, 48
	.set _ZL15flash_attn_tileILi128ELi128ELi32ELi1ELb0EEvPKcS1_S1_S1_S1_PKiPfP15HIP_vector_typeIfLj2EEffffjfiS5_IjLj3EEiiiiiiiiiiiliiliiiiil.num_named_barrier, 0
	.set _ZL15flash_attn_tileILi128ELi128ELi32ELi1ELb0EEvPKcS1_S1_S1_S1_PKiPfP15HIP_vector_typeIfLj2EEffffjfiS5_IjLj3EEiiiiiiiiiiiliiliiiiil.private_seg_size, 32
	.set _ZL15flash_attn_tileILi128ELi128ELi32ELi1ELb0EEvPKcS1_S1_S1_S1_PKiPfP15HIP_vector_typeIfLj2EEffffjfiS5_IjLj3EEiiiiiiiiiiiliiliiiiil.uses_vcc, 1
	.set _ZL15flash_attn_tileILi128ELi128ELi32ELi1ELb0EEvPKcS1_S1_S1_S1_PKiPfP15HIP_vector_typeIfLj2EEffffjfiS5_IjLj3EEiiiiiiiiiiiliiliiiiil.uses_flat_scratch, 0
	.set _ZL15flash_attn_tileILi128ELi128ELi32ELi1ELb0EEvPKcS1_S1_S1_S1_PKiPfP15HIP_vector_typeIfLj2EEffffjfiS5_IjLj3EEiiiiiiiiiiiliiliiiiil.has_dyn_sized_stack, 0
	.set _ZL15flash_attn_tileILi128ELi128ELi32ELi1ELb0EEvPKcS1_S1_S1_S1_PKiPfP15HIP_vector_typeIfLj2EEffffjfiS5_IjLj3EEiiiiiiiiiiiliiliiiiil.has_recursion, 0
	.set _ZL15flash_attn_tileILi128ELi128ELi32ELi1ELb0EEvPKcS1_S1_S1_S1_PKiPfP15HIP_vector_typeIfLj2EEffffjfiS5_IjLj3EEiiiiiiiiiiiliiliiiiil.has_indirect_call, 0
	.section	.AMDGPU.csdata,"",@progbits
; Kernel info:
; codeLenInByte = 46792
; TotalNumSgprs: 54
; NumVgprs: 114
; NumAgprs: 0
; TotalNumVgprs: 114
; ScratchSize: 32
; MemoryBound: 0
; FloatMode: 240
; IeeeMode: 1
; LDSByteSize: 21504 bytes/workgroup (compile time only)
; SGPRBlocks: 10
; VGPRBlocks: 14
; NumSGPRsForWavesPerEU: 81
; NumVGPRsForWavesPerEU: 114
; AccumOffset: 116
; Occupancy: 4
; WaveLimiterHint : 1
; COMPUTE_PGM_RSRC2:SCRATCH_EN: 1
; COMPUTE_PGM_RSRC2:USER_SGPR: 2
; COMPUTE_PGM_RSRC2:TRAP_HANDLER: 0
; COMPUTE_PGM_RSRC2:TGID_X_EN: 1
; COMPUTE_PGM_RSRC2:TGID_Y_EN: 1
; COMPUTE_PGM_RSRC2:TGID_Z_EN: 1
; COMPUTE_PGM_RSRC2:TIDIG_COMP_CNT: 1
; COMPUTE_PGM_RSRC3_GFX90A:ACCUM_OFFSET: 28
; COMPUTE_PGM_RSRC3_GFX90A:TG_SPLIT: 0
	.section	.text._ZL33flash_attn_stream_k_fixup_uniformILi128ELi32ELi1EEvPfPK15HIP_vector_typeIfLj2EEiiiiiiS1_IjLj3EES5_S5_,"axG",@progbits,_ZL33flash_attn_stream_k_fixup_uniformILi128ELi32ELi1EEvPfPK15HIP_vector_typeIfLj2EEiiiiiiS1_IjLj3EES5_S5_,comdat
	.globl	_ZL33flash_attn_stream_k_fixup_uniformILi128ELi32ELi1EEvPfPK15HIP_vector_typeIfLj2EEiiiiiiS1_IjLj3EES5_S5_ ; -- Begin function _ZL33flash_attn_stream_k_fixup_uniformILi128ELi32ELi1EEvPfPK15HIP_vector_typeIfLj2EEiiiiiiS1_IjLj3EES5_S5_
	.p2align	8
	.type	_ZL33flash_attn_stream_k_fixup_uniformILi128ELi32ELi1EEvPfPK15HIP_vector_typeIfLj2EEiiiiiiS1_IjLj3EES5_S5_,@function
_ZL33flash_attn_stream_k_fixup_uniformILi128ELi32ELi1EEvPfPK15HIP_vector_typeIfLj2EEiiiiiiS1_IjLj3EES5_S5_: ; @_ZL33flash_attn_stream_k_fixup_uniformILi128ELi32ELi1EEvPfPK15HIP_vector_typeIfLj2EEiiiiiiS1_IjLj3EES5_S5_
; %bb.0:
	s_load_dwordx8 s[8:15], s[0:1], 0x1c
	s_load_dwordx2 s[6:7], s[0:1], 0x10
	s_load_dwordx4 s[20:23], s[0:1], 0x3c
	s_waitcnt lgkmcnt(0)
	s_mul_hi_u32 s5, s11, s2
	s_add_i32 s5, s2, s5
	s_lshr_b32 s5, s5, s12
	s_mul_i32 s11, s5, s13
	s_sub_i32 s11, s2, s11
	s_mul_hi_u32 s12, s11, s14
	s_add_i32 s12, s11, s12
	s_lshr_b32 s16, s12, s15
	s_mul_i32 s12, s16, s20
	s_sub_i32 s12, s11, s12
	;; [unrolled: 5-line block ×3, first 2 shown]
	s_lshl_b32 s12, s17, 5
	s_add_i32 s12, s12, s3
	s_cmp_lt_i32 s12, s6
	s_cselect_b64 s[12:13], -1, 0
	s_add_i32 s14, s11, s4
	s_cmp_lt_i32 s14, s9
	s_cselect_b64 s[14:15], -1, 0
	s_and_b64 s[12:13], s[12:13], s[14:15]
	s_andn2_b64 vcc, exec, s[12:13]
	s_cbranch_vccnz .LBB57_6
; %bb.1:
	s_load_dwordx4 s[12:15], s[0:1], 0x0
	s_mul_i32 s0, s5, s6
	s_add_i32 s0, s0, s3
	s_mul_i32 s0, s0, s7
	s_mul_i32 s16, s16, s9
	s_add_i32 s0, s0, s4
	s_add_i32 s0, s0, s16
	s_mul_i32 s1, s7, s17
	s_add_i32 s0, s0, s11
	s_lshl_b32 s1, s1, 12
	s_lshl_b32 s0, s0, 7
	s_add_i32 s1, s1, s0
	v_or_b32_e32 v4, s1, v0
	s_waitcnt lgkmcnt(0)
	v_mov_b32_e32 v2, s12
	v_mov_b32_e32 v3, s13
	v_ashrrev_i32_e32 v5, 31, v4
	v_lshl_add_u64 v[2:3], v[4:5], 2, v[2:3]
	global_load_dword v5, v[2:3], off
	s_mul_i32 s6, s10, s2
	s_add_i32 s7, s6, s10
	s_add_i32 s3, s3, s4
	s_lshl_b32 s0, s7, 5
	s_add_i32 s0, s3, s0
	s_sub_i32 s0, s0, 32
	s_ashr_i32 s1, s0, 31
	s_lshl_b64 s[0:1], s[0:1], 3
	s_add_u32 s0, s14, s0
	s_addc_u32 s1, s15, s1
	s_load_dword s9, s[0:1], 0x4
	s_add_i32 s4, s7, -2
	s_cmp_lt_i32 s4, s6
	s_cbranch_scc1 .LBB57_4
; %bb.2:
	s_lshl_b32 s4, s8, 7
	s_ashr_i32 s5, s4, 31
	s_lshl_b64 s[4:5], s[4:5], 2
	s_add_u32 s4, s14, s4
	s_addc_u32 s5, s15, s5
	s_add_i32 s2, s2, 1
	s_mul_i32 s2, s10, s2
	s_load_dword s0, s[0:1], 0x0
	s_lshl_b32 s1, s3, 7
	s_lshl_b32 s10, s2, 12
	s_add_i32 s1, s1, s10
	v_or_b32_e32 v0, s1, v0
	s_lshl_b32 s1, s2, 5
	s_add_i32 s1, s3, s1
	s_lshl_b32 s2, s8, 5
	s_add_i32 s1, s1, s2
	s_add_i32 s7, s7, -1
	v_add_u32_e32 v0, 0xffffe000, v0
	s_sub_i32 s2, s1, 64
	s_waitcnt lgkmcnt(0)
	v_mov_b32_e32 v7, s0
	v_mov_b32_e32 v4, s9
	s_mov_b32 s8, 0x3fb8aa3b
	s_mov_b32 s9, 0xc2ce8ed0
	;; [unrolled: 1-line block ×3, first 2 shown]
	v_mov_b32_e32 v6, 0x7f800000
	s_mov_b32 s11, 0xc1a00000
.LBB57_3:                               ; =>This Inner Loop Header: Depth=1
	v_ashrrev_i32_e32 v1, 31, v0
	v_lshl_add_u64 v[8:9], v[0:1], 2, s[4:5]
	global_load_dword v9, v[8:9], off
	s_ashr_i32 s3, s2, 31
	s_lshl_b64 s[0:1], s[2:3], 3
	s_add_u32 s0, s14, s0
	s_addc_u32 s1, s15, s1
	s_load_dwordx2 s[0:1], s[0:1], 0x0
	v_max_f32_e32 v1, v7, v7
	s_add_i32 s7, s7, -1
	s_sub_i32 s2, s2, 32
	v_add_u32_e32 v0, 0xfffff000, v0
	s_waitcnt lgkmcnt(0)
	v_max_f32_e64 v10, s0, s0
	v_max_f32_e32 v1, v1, v10
	v_sub_f32_e32 v11, s0, v1
	v_sub_f32_e32 v10, v7, v1
	v_mul_f32_e32 v12, 0x3fb8aa3b, v11
	v_mov_b32_e32 v7, v1
	v_mul_f32_e32 v1, 0x3fb8aa3b, v10
	v_fma_f32 v15, v11, s8, -v12
	v_rndne_f32_e32 v16, v12
	v_fma_f32 v13, v10, s8, -v1
	v_rndne_f32_e32 v14, v1
	v_fmac_f32_e32 v15, 0x32a5705f, v11
	v_sub_f32_e32 v12, v12, v16
	v_fmac_f32_e32 v13, 0x32a5705f, v10
	v_sub_f32_e32 v1, v1, v14
	v_add_f32_e32 v12, v12, v15
	v_cvt_i32_f32_e32 v16, v16
	v_add_f32_e32 v1, v1, v13
	v_exp_f32_e32 v12, v12
	v_cvt_i32_f32_e32 v14, v14
	v_exp_f32_e32 v1, v1
	v_cmp_ngt_f32_e32 vcc, s9, v11
	v_ldexp_f32 v12, v12, v16
	v_mov_b32_e32 v8, s1
	v_ldexp_f32 v1, v1, v14
	v_cmp_ngt_f32_e64 s[0:1], s9, v10
	v_cndmask_b32_e32 v12, 0, v12, vcc
	v_cmp_nlt_f32_e32 vcc, s10, v11
	v_cndmask_b32_e64 v1, 0, v1, s[0:1]
	v_cmp_nlt_f32_e64 s[0:1], s10, v10
	v_cndmask_b32_e32 v12, v6, v12, vcc
	v_cmp_le_f32_e32 vcc, s11, v11
	v_cndmask_b32_e64 v1, v6, v1, s[0:1]
	v_cmp_le_f32_e64 s[0:1], s11, v10
	v_cndmask_b32_e32 v12, 0, v12, vcc
	s_cmp_le_i32 s7, s6
	v_cndmask_b32_e64 v10, 0, v1, s[0:1]
	s_waitcnt vmcnt(0)
	v_pk_mul_f32 v[8:9], v[8:9], v[12:13] op_sel_hi:[1,0]
	s_nop 0
	v_pk_fma_f32 v[4:5], v[4:5], v[10:11], v[8:9] op_sel_hi:[1,0,1]
	s_cbranch_scc0 .LBB57_3
	s_branch .LBB57_5
.LBB57_4:
	s_waitcnt lgkmcnt(0)
	v_mov_b32_e32 v4, s9
.LBB57_5:
	s_waitcnt vmcnt(0)
	v_div_scale_f32 v0, s[0:1], v4, v4, v5
	v_rcp_f32_e32 v1, v0
	v_div_scale_f32 v6, vcc, v5, v4, v5
	v_fma_f32 v7, -v0, v1, 1.0
	v_fmac_f32_e32 v1, v7, v1
	v_mul_f32_e32 v7, v6, v1
	v_fma_f32 v8, -v0, v7, v6
	v_fmac_f32_e32 v7, v8, v1
	v_fma_f32 v0, -v0, v7, v6
	v_div_fmas_f32 v0, v0, v1, v7
	v_div_fixup_f32 v0, v0, v4, v5
	global_store_dword v[2:3], v0, off
.LBB57_6:
	s_endpgm
	.section	.rodata,"a",@progbits
	.p2align	6, 0x0
	.amdhsa_kernel _ZL33flash_attn_stream_k_fixup_uniformILi128ELi32ELi1EEvPfPK15HIP_vector_typeIfLj2EEiiiiiiS1_IjLj3EES5_S5_
		.amdhsa_group_segment_fixed_size 0
		.amdhsa_private_segment_fixed_size 0
		.amdhsa_kernarg_size 76
		.amdhsa_user_sgpr_count 2
		.amdhsa_user_sgpr_dispatch_ptr 0
		.amdhsa_user_sgpr_queue_ptr 0
		.amdhsa_user_sgpr_kernarg_segment_ptr 1
		.amdhsa_user_sgpr_dispatch_id 0
		.amdhsa_user_sgpr_kernarg_preload_length 0
		.amdhsa_user_sgpr_kernarg_preload_offset 0
		.amdhsa_user_sgpr_private_segment_size 0
		.amdhsa_uses_dynamic_stack 0
		.amdhsa_enable_private_segment 0
		.amdhsa_system_sgpr_workgroup_id_x 1
		.amdhsa_system_sgpr_workgroup_id_y 1
		.amdhsa_system_sgpr_workgroup_id_z 1
		.amdhsa_system_sgpr_workgroup_info 0
		.amdhsa_system_vgpr_workitem_id 0
		.amdhsa_next_free_vgpr 17
		.amdhsa_next_free_sgpr 24
		.amdhsa_accum_offset 20
		.amdhsa_reserve_vcc 1
		.amdhsa_float_round_mode_32 0
		.amdhsa_float_round_mode_16_64 0
		.amdhsa_float_denorm_mode_32 3
		.amdhsa_float_denorm_mode_16_64 3
		.amdhsa_dx10_clamp 1
		.amdhsa_ieee_mode 1
		.amdhsa_fp16_overflow 0
		.amdhsa_tg_split 0
		.amdhsa_exception_fp_ieee_invalid_op 0
		.amdhsa_exception_fp_denorm_src 0
		.amdhsa_exception_fp_ieee_div_zero 0
		.amdhsa_exception_fp_ieee_overflow 0
		.amdhsa_exception_fp_ieee_underflow 0
		.amdhsa_exception_fp_ieee_inexact 0
		.amdhsa_exception_int_div_zero 0
	.end_amdhsa_kernel
	.section	.text._ZL33flash_attn_stream_k_fixup_uniformILi128ELi32ELi1EEvPfPK15HIP_vector_typeIfLj2EEiiiiiiS1_IjLj3EES5_S5_,"axG",@progbits,_ZL33flash_attn_stream_k_fixup_uniformILi128ELi32ELi1EEvPfPK15HIP_vector_typeIfLj2EEiiiiiiS1_IjLj3EES5_S5_,comdat
.Lfunc_end57:
	.size	_ZL33flash_attn_stream_k_fixup_uniformILi128ELi32ELi1EEvPfPK15HIP_vector_typeIfLj2EEiiiiiiS1_IjLj3EES5_S5_, .Lfunc_end57-_ZL33flash_attn_stream_k_fixup_uniformILi128ELi32ELi1EEvPfPK15HIP_vector_typeIfLj2EEiiiiiiS1_IjLj3EES5_S5_
                                        ; -- End function
	.set _ZL33flash_attn_stream_k_fixup_uniformILi128ELi32ELi1EEvPfPK15HIP_vector_typeIfLj2EEiiiiiiS1_IjLj3EES5_S5_.num_vgpr, 17
	.set _ZL33flash_attn_stream_k_fixup_uniformILi128ELi32ELi1EEvPfPK15HIP_vector_typeIfLj2EEiiiiiiS1_IjLj3EES5_S5_.num_agpr, 0
	.set _ZL33flash_attn_stream_k_fixup_uniformILi128ELi32ELi1EEvPfPK15HIP_vector_typeIfLj2EEiiiiiiS1_IjLj3EES5_S5_.numbered_sgpr, 24
	.set _ZL33flash_attn_stream_k_fixup_uniformILi128ELi32ELi1EEvPfPK15HIP_vector_typeIfLj2EEiiiiiiS1_IjLj3EES5_S5_.num_named_barrier, 0
	.set _ZL33flash_attn_stream_k_fixup_uniformILi128ELi32ELi1EEvPfPK15HIP_vector_typeIfLj2EEiiiiiiS1_IjLj3EES5_S5_.private_seg_size, 0
	.set _ZL33flash_attn_stream_k_fixup_uniformILi128ELi32ELi1EEvPfPK15HIP_vector_typeIfLj2EEiiiiiiS1_IjLj3EES5_S5_.uses_vcc, 1
	.set _ZL33flash_attn_stream_k_fixup_uniformILi128ELi32ELi1EEvPfPK15HIP_vector_typeIfLj2EEiiiiiiS1_IjLj3EES5_S5_.uses_flat_scratch, 0
	.set _ZL33flash_attn_stream_k_fixup_uniformILi128ELi32ELi1EEvPfPK15HIP_vector_typeIfLj2EEiiiiiiS1_IjLj3EES5_S5_.has_dyn_sized_stack, 0
	.set _ZL33flash_attn_stream_k_fixup_uniformILi128ELi32ELi1EEvPfPK15HIP_vector_typeIfLj2EEiiiiiiS1_IjLj3EES5_S5_.has_recursion, 0
	.set _ZL33flash_attn_stream_k_fixup_uniformILi128ELi32ELi1EEvPfPK15HIP_vector_typeIfLj2EEiiiiiiS1_IjLj3EES5_S5_.has_indirect_call, 0
	.section	.AMDGPU.csdata,"",@progbits
; Kernel info:
; codeLenInByte = 816
; TotalNumSgprs: 30
; NumVgprs: 17
; NumAgprs: 0
; TotalNumVgprs: 17
; ScratchSize: 0
; MemoryBound: 0
; FloatMode: 240
; IeeeMode: 1
; LDSByteSize: 0 bytes/workgroup (compile time only)
; SGPRBlocks: 3
; VGPRBlocks: 2
; NumSGPRsForWavesPerEU: 30
; NumVGPRsForWavesPerEU: 17
; AccumOffset: 20
; Occupancy: 8
; WaveLimiterHint : 0
; COMPUTE_PGM_RSRC2:SCRATCH_EN: 0
; COMPUTE_PGM_RSRC2:USER_SGPR: 2
; COMPUTE_PGM_RSRC2:TRAP_HANDLER: 0
; COMPUTE_PGM_RSRC2:TGID_X_EN: 1
; COMPUTE_PGM_RSRC2:TGID_Y_EN: 1
; COMPUTE_PGM_RSRC2:TGID_Z_EN: 1
; COMPUTE_PGM_RSRC2:TIDIG_COMP_CNT: 0
; COMPUTE_PGM_RSRC3_GFX90A:ACCUM_OFFSET: 4
; COMPUTE_PGM_RSRC3_GFX90A:TG_SPLIT: 0
	.section	.text._ZL33flash_attn_stream_k_fixup_generalILi128ELi32ELi1EEvPfPK15HIP_vector_typeIfLj2EEiiiiS1_IjLj3EES5_S5_S5_,"axG",@progbits,_ZL33flash_attn_stream_k_fixup_generalILi128ELi32ELi1EEvPfPK15HIP_vector_typeIfLj2EEiiiiS1_IjLj3EES5_S5_S5_,comdat
	.globl	_ZL33flash_attn_stream_k_fixup_generalILi128ELi32ELi1EEvPfPK15HIP_vector_typeIfLj2EEiiiiS1_IjLj3EES5_S5_S5_ ; -- Begin function _ZL33flash_attn_stream_k_fixup_generalILi128ELi32ELi1EEvPfPK15HIP_vector_typeIfLj2EEiiiiS1_IjLj3EES5_S5_S5_
	.p2align	8
	.type	_ZL33flash_attn_stream_k_fixup_generalILi128ELi32ELi1EEvPfPK15HIP_vector_typeIfLj2EEiiiiS1_IjLj3EES5_S5_S5_,@function
_ZL33flash_attn_stream_k_fixup_generalILi128ELi32ELi1EEvPfPK15HIP_vector_typeIfLj2EEiiiiS1_IjLj3EES5_S5_S5_: ; @_ZL33flash_attn_stream_k_fixup_generalILi128ELi32ELi1EEvPfPK15HIP_vector_typeIfLj2EEiiiiS1_IjLj3EES5_S5_S5_
; %bb.0:
	s_load_dwordx4 s[8:11], s[0:1], 0x10
	s_load_dword s22, s[0:1], 0x50
	s_mov_b32 s12, 0
	s_waitcnt lgkmcnt(0)
	s_mul_hi_i32 s13, s11, s2
	s_cmp_lg_u64 s[12:13], 0
	s_mul_i32 s5, s11, s2
	s_cbranch_scc0 .LBB58_20
; %bb.1:
	s_add_u32 s6, s22, 0
	s_addc_u32 s7, 0, 0
	s_xor_b64 s[6:7], s[6:7], 0
	v_cvt_f32_u32_e32 v1, s6
	v_cvt_f32_u32_e32 v2, s7
	s_sub_u32 s12, 0, s6
	s_subb_u32 s18, 0, s7
	v_fmamk_f32 v1, v2, 0x4f800000, v1
	v_rcp_f32_e32 v1, v1
	s_nop 0
	v_mul_f32_e32 v1, 0x5f7ffffc, v1
	v_mul_f32_e32 v2, 0x2f800000, v1
	v_trunc_f32_e32 v2, v2
	v_fmamk_f32 v1, v2, 0xcf800000, v1
	v_cvt_u32_f32_e32 v2, v2
	v_cvt_u32_f32_e32 v1, v1
	v_readfirstlane_b32 s19, v2
	v_readfirstlane_b32 s14, v1
	s_mul_i32 s15, s12, s19
	s_mul_hi_u32 s21, s12, s14
	s_mul_i32 s20, s18, s14
	s_add_i32 s15, s21, s15
	s_add_i32 s15, s15, s20
	s_mul_i32 s23, s12, s14
	s_mul_i32 s21, s14, s15
	s_mul_hi_u32 s24, s14, s23
	s_mul_hi_u32 s20, s14, s15
	s_add_u32 s21, s24, s21
	s_addc_u32 s20, 0, s20
	s_mul_hi_u32 s25, s19, s23
	s_mul_i32 s23, s19, s23
	s_add_u32 s21, s21, s23
	s_mul_hi_u32 s24, s19, s15
	s_addc_u32 s20, s20, s25
	s_addc_u32 s21, s24, 0
	s_mul_i32 s15, s19, s15
	s_add_u32 s15, s20, s15
	s_addc_u32 s20, 0, s21
	s_add_u32 s21, s14, s15
	s_cselect_b64 s[14:15], -1, 0
	s_cmp_lg_u64 s[14:15], 0
	s_addc_u32 s19, s19, s20
	s_mul_i32 s14, s12, s19
	s_mul_hi_u32 s15, s12, s21
	s_add_i32 s14, s15, s14
	s_mul_i32 s18, s18, s21
	s_add_i32 s14, s14, s18
	s_mul_i32 s12, s12, s21
	s_mul_hi_u32 s18, s19, s12
	s_mul_i32 s20, s19, s12
	s_mul_i32 s24, s21, s14
	s_mul_hi_u32 s12, s21, s12
	s_mul_hi_u32 s23, s21, s14
	s_add_u32 s12, s12, s24
	s_addc_u32 s23, 0, s23
	s_add_u32 s12, s12, s20
	s_mul_hi_u32 s15, s19, s14
	s_addc_u32 s12, s23, s18
	s_addc_u32 s15, s15, 0
	s_mul_i32 s14, s19, s14
	s_add_u32 s12, s12, s14
	s_addc_u32 s18, 0, s15
	s_add_u32 s20, s21, s12
	s_cselect_b64 s[14:15], -1, 0
	s_cmp_lg_u64 s[14:15], 0
	s_addc_u32 s18, s19, s18
	s_ashr_i32 s14, s13, 31
	s_add_u32 s12, s5, s14
	s_mov_b32 s15, s14
	s_addc_u32 s13, s13, s14
	s_xor_b64 s[12:13], s[12:13], s[14:15]
	s_mul_i32 s21, s12, s18
	s_mul_hi_u32 s23, s12, s20
	s_mul_hi_u32 s19, s12, s18
	s_add_u32 s21, s23, s21
	s_addc_u32 s19, 0, s19
	s_mul_hi_u32 s24, s13, s20
	s_mul_i32 s20, s13, s20
	s_add_u32 s20, s21, s20
	s_mul_hi_u32 s23, s13, s18
	s_addc_u32 s19, s19, s24
	s_addc_u32 s20, s23, 0
	s_mul_i32 s18, s13, s18
	s_add_u32 s23, s19, s18
	s_addc_u32 s24, 0, s20
	s_mul_i32 s18, s6, s24
	s_mul_hi_u32 s19, s6, s23
	s_add_i32 s18, s19, s18
	s_mul_i32 s19, s7, s23
	s_add_i32 s25, s18, s19
	s_sub_i32 s20, s13, s25
	s_mul_i32 s18, s6, s23
	s_sub_u32 s12, s12, s18
	s_cselect_b64 s[18:19], -1, 0
	s_cmp_lg_u64 s[18:19], 0
	s_subb_u32 s26, s20, s7
	s_sub_u32 s27, s12, s6
	s_cselect_b64 s[20:21], -1, 0
	s_cmp_lg_u64 s[20:21], 0
	s_subb_u32 s20, s26, 0
	s_cmp_ge_u32 s20, s7
	s_cselect_b32 s21, -1, 0
	s_cmp_ge_u32 s27, s6
	s_cselect_b32 s26, -1, 0
	s_cmp_eq_u32 s20, s7
	s_cselect_b32 s20, s26, s21
	s_add_u32 s21, s23, 1
	s_addc_u32 s26, s24, 0
	s_add_u32 s27, s23, 2
	s_addc_u32 s28, s24, 0
	s_cmp_lg_u32 s20, 0
	s_cselect_b32 s20, s27, s21
	s_cselect_b32 s21, s28, s26
	s_cmp_lg_u64 s[18:19], 0
	s_subb_u32 s13, s13, s25
	s_cmp_ge_u32 s13, s7
	s_cselect_b32 s18, -1, 0
	s_cmp_ge_u32 s12, s6
	s_cselect_b32 s6, -1, 0
	s_cmp_eq_u32 s13, s7
	s_cselect_b32 s6, s6, s18
	s_cmp_lg_u32 s6, 0
	s_cselect_b32 s7, s21, s24
	s_cselect_b32 s6, s20, s23
	s_xor_b64 s[12:13], s[14:15], 0
	s_xor_b64 s[6:7], s[6:7], s[12:13]
	s_sub_u32 s6, s6, s12
	s_load_dwordx4 s[12:15], s[0:1], 0x44
	s_cbranch_execnz .LBB58_3
.LBB58_2:
	v_cvt_f32_u32_e32 v1, s22
	s_sub_i32 s6, 0, s22
	v_rcp_iflag_f32_e32 v1, v1
	s_nop 0
	v_mul_f32_e32 v1, 0x4f7ffffe, v1
	v_cvt_u32_f32_e32 v1, v1
	s_nop 0
	v_readfirstlane_b32 s7, v1
	s_mul_i32 s6, s6, s7
	s_mul_hi_u32 s6, s7, s6
	s_add_i32 s7, s7, s6
	s_mul_hi_u32 s6, s5, s7
	s_waitcnt lgkmcnt(0)
	s_mul_i32 s15, s6, s22
	s_sub_i32 s5, s5, s15
	s_add_i32 s7, s6, 1
	s_sub_i32 s15, s5, s22
	s_cmp_ge_u32 s5, s22
	s_cselect_b32 s6, s7, s6
	s_cselect_b32 s5, s15, s5
	s_add_i32 s7, s6, 1
	s_cmp_ge_u32 s5, s22
	s_cselect_b32 s6, s7, s6
.LBB58_3:
	s_add_i32 s5, s2, 1
	s_mul_hi_i32 s21, s11, s5
	s_mov_b32 s20, 0
	s_cmp_lg_u64 s[20:21], 0
	s_mul_i32 s5, s11, s5
	s_cbranch_scc0 .LBB58_21
; %bb.4:
	s_add_u32 s16, s22, 0
	s_addc_u32 s17, 0, 0
	s_xor_b64 s[18:19], s[16:17], 0
	v_cvt_f32_u32_e32 v1, s18
	v_cvt_f32_u32_e32 v2, s19
	s_sub_u32 s7, 0, s18
	s_waitcnt lgkmcnt(0)
	s_subb_u32 s15, 0, s19
	v_fmamk_f32 v1, v2, 0x4f800000, v1
	v_rcp_f32_e32 v1, v1
	s_nop 0
	v_mul_f32_e32 v1, 0x5f7ffffc, v1
	v_mul_f32_e32 v2, 0x2f800000, v1
	v_trunc_f32_e32 v2, v2
	v_fmamk_f32 v1, v2, 0xcf800000, v1
	v_cvt_u32_f32_e32 v2, v2
	v_cvt_u32_f32_e32 v1, v1
	v_readfirstlane_b32 s20, v2
	v_readfirstlane_b32 s23, v1
	s_mul_i32 s24, s7, s20
	s_mul_hi_u32 s26, s7, s23
	s_mul_i32 s25, s15, s23
	s_add_i32 s24, s26, s24
	s_add_i32 s24, s24, s25
	s_mul_i32 s27, s7, s23
	s_mul_i32 s26, s23, s24
	s_mul_hi_u32 s28, s23, s27
	s_mul_hi_u32 s25, s23, s24
	s_add_u32 s26, s28, s26
	s_addc_u32 s25, 0, s25
	s_mul_hi_u32 s29, s20, s27
	s_mul_i32 s27, s20, s27
	s_add_u32 s26, s26, s27
	s_mul_hi_u32 s28, s20, s24
	s_addc_u32 s25, s25, s29
	s_addc_u32 s26, s28, 0
	s_mul_i32 s24, s20, s24
	s_add_u32 s24, s25, s24
	s_addc_u32 s26, 0, s26
	s_add_u32 s23, s23, s24
	s_cselect_b64 s[24:25], -1, 0
	s_cmp_lg_u64 s[24:25], 0
	s_addc_u32 s20, s20, s26
	s_mul_i32 s24, s7, s20
	s_mul_hi_u32 s25, s7, s23
	s_add_i32 s24, s25, s24
	s_mul_i32 s15, s15, s23
	s_add_i32 s24, s24, s15
	s_mul_i32 s7, s7, s23
	s_mul_hi_u32 s25, s20, s7
	s_mul_i32 s26, s20, s7
	s_mul_i32 s28, s23, s24
	s_mul_hi_u32 s7, s23, s7
	s_mul_hi_u32 s27, s23, s24
	s_add_u32 s7, s7, s28
	s_addc_u32 s27, 0, s27
	s_add_u32 s7, s7, s26
	s_mul_hi_u32 s15, s20, s24
	s_addc_u32 s7, s27, s25
	s_addc_u32 s15, s15, 0
	s_mul_i32 s24, s20, s24
	s_add_u32 s7, s7, s24
	s_addc_u32 s15, 0, s15
	s_add_u32 s7, s23, s7
	s_cselect_b64 s[24:25], -1, 0
	s_cmp_lg_u64 s[24:25], 0
	s_addc_u32 s15, s20, s15
	s_ashr_i32 s24, s21, 31
	s_add_u32 s20, s5, s24
	s_mov_b32 s25, s24
	s_addc_u32 s21, s21, s24
	s_xor_b64 s[20:21], s[20:21], s[24:25]
	s_mul_i32 s26, s20, s15
	s_mul_hi_u32 s27, s20, s7
	s_mul_hi_u32 s23, s20, s15
	s_add_u32 s26, s27, s26
	s_addc_u32 s23, 0, s23
	s_mul_hi_u32 s28, s21, s7
	s_mul_i32 s7, s21, s7
	s_add_u32 s7, s26, s7
	s_mul_hi_u32 s27, s21, s15
	s_addc_u32 s7, s23, s28
	s_addc_u32 s23, s27, 0
	s_mul_i32 s15, s21, s15
	s_add_u32 s7, s7, s15
	s_addc_u32 s15, 0, s23
	s_mul_i32 s23, s18, s15
	s_mul_hi_u32 s26, s18, s7
	s_add_i32 s23, s26, s23
	s_mul_i32 s26, s19, s7
	s_add_i32 s23, s23, s26
	s_sub_i32 s28, s21, s23
	s_mul_i32 s26, s18, s7
	s_sub_u32 s20, s20, s26
	s_cselect_b64 s[26:27], -1, 0
	s_cmp_lg_u64 s[26:27], 0
	s_subb_u32 s30, s28, s19
	s_sub_u32 s31, s20, s18
	s_cselect_b64 s[28:29], -1, 0
	s_cmp_lg_u64 s[28:29], 0
	s_subb_u32 s28, s30, 0
	s_cmp_ge_u32 s28, s19
	s_cselect_b32 s29, -1, 0
	s_cmp_ge_u32 s31, s18
	s_cselect_b32 s30, -1, 0
	s_cmp_eq_u32 s28, s19
	s_cselect_b32 s28, s30, s29
	s_add_u32 s29, s7, 1
	s_addc_u32 s30, s15, 0
	s_add_u32 s31, s7, 2
	s_addc_u32 s33, s15, 0
	s_cmp_lg_u32 s28, 0
	s_cselect_b32 s28, s31, s29
	s_cselect_b32 s29, s33, s30
	s_cmp_lg_u64 s[26:27], 0
	s_subb_u32 s21, s21, s23
	s_cmp_ge_u32 s21, s19
	s_cselect_b32 s23, -1, 0
	s_cmp_ge_u32 s20, s18
	s_cselect_b32 s18, -1, 0
	s_cmp_eq_u32 s21, s19
	s_cselect_b32 s18, s18, s23
	s_cmp_lg_u32 s18, 0
	s_cselect_b32 s19, s29, s15
	s_cselect_b32 s18, s28, s7
	s_xor_b64 s[20:21], s[24:25], 0
	s_xor_b64 s[18:19], s[18:19], s[20:21]
	s_sub_u32 s18, s18, s20
	s_cbranch_execnz .LBB58_6
.LBB58_5:
	v_cvt_f32_u32_e32 v1, s22
	s_sub_i32 s7, 0, s22
	v_rcp_iflag_f32_e32 v1, v1
	s_nop 0
	v_mul_f32_e32 v1, 0x4f7ffffe, v1
	v_cvt_u32_f32_e32 v1, v1
	s_waitcnt lgkmcnt(0)
	v_readfirstlane_b32 s15, v1
	s_mul_i32 s7, s7, s15
	s_mul_hi_u32 s7, s15, s7
	s_add_i32 s15, s15, s7
	s_mul_hi_u32 s7, s5, s15
	s_mul_i32 s16, s7, s22
	s_sub_i32 s5, s5, s16
	s_add_i32 s15, s7, 1
	s_sub_i32 s16, s5, s22
	s_cmp_ge_u32 s5, s22
	s_cselect_b32 s7, s15, s7
	s_cselect_b32 s5, s16, s5
	s_add_i32 s15, s7, 1
	s_cmp_ge_u32 s5, s22
	s_cselect_b32 s18, s15, s7
.LBB58_6:
	s_cmp_eq_u32 s6, s18
	s_waitcnt lgkmcnt(0)
	s_mul_hi_u32 s5, s6, s12
	s_cselect_b64 s[16:17], -1, 0
	s_add_i32 s5, s5, s6
	s_lshr_b32 s7, s5, s13
	s_mul_i32 s5, s7, s14
	s_cmp_eq_u32 s5, s6
	s_mul_hi_u32 s5, s18, s12
	s_cselect_b64 s[20:21], -1, 0
	s_add_i32 s5, s5, s18
	s_lshr_b32 s5, s5, s13
	s_cmp_eq_u32 s7, s5
	s_mul_i32 s5, s5, s14
	s_cselect_b64 s[24:25], -1, 0
	s_cmp_lg_u32 s5, s18
	s_cselect_b64 s[18:19], -1, 0
	s_and_b64 s[18:19], s[24:25], s[18:19]
	s_or_b64 s[16:17], s[16:17], s[20:21]
	s_or_b64 s[16:17], s[16:17], s[18:19]
	s_and_b64 vcc, exec, s[16:17]
	s_cbranch_vccnz .LBB58_23
; %bb.7:
	s_load_dwordx8 s[24:31], s[0:1], 0x20
	s_load_dword s15, s[0:1], 0x40
	s_waitcnt lgkmcnt(0)
	s_mul_hi_u32 s5, s6, s24
	s_add_i32 s5, s5, s6
	s_lshr_b32 s5, s5, s25
	s_mul_i32 s16, s5, s26
	s_sub_i32 s16, s6, s16
	s_mul_hi_u32 s17, s16, s27
	s_add_i32 s17, s16, s17
	s_lshr_b32 s21, s17, s28
	s_mul_i32 s17, s21, s29
	s_sub_i32 s16, s16, s17
	;; [unrolled: 5-line block ×3, first 2 shown]
	s_mul_hi_u32 s16, s15, s12
	s_add_i32 s15, s15, s16
	s_lshr_b32 s23, s15, s13
	s_lshl_b32 s15, s23, 5
	s_add_i32 s15, s15, s3
	s_cmp_lt_i32 s15, s8
	s_cselect_b64 s[16:17], -1, 0
	s_add_i32 s15, s20, s4
	s_cmp_lt_i32 s15, s10
	s_cselect_b64 s[18:19], -1, 0
	s_and_b64 s[16:17], s[16:17], s[18:19]
	s_andn2_b64 vcc, exec, s[16:17]
	s_cbranch_vccnz .LBB58_23
; %bb.8:
	s_load_dwordx4 s[16:19], s[0:1], 0x0
	s_mov_b32 s0, 0
	s_lshl_b32 s24, s22, 7
	s_mov_b32 s25, s0
	s_add_i32 s15, s3, s4
	s_waitcnt lgkmcnt(0)
	v_mov_b32_e32 v2, s16
	v_mov_b32_e32 v3, s17
	s_lshl_b64 s[16:17], s[24:25], 2
	s_add_u32 s16, s18, s16
	s_mul_i32 s1, s5, s8
	s_addc_u32 s17, s19, s17
	s_add_i32 s1, s1, s3
	s_mul_i32 s1, s1, s9
	s_mul_i32 s21, s21, s10
	s_add_i32 s1, s1, s4
	s_add_i32 s1, s1, s21
	s_mul_i32 s5, s9, s23
	s_add_i32 s1, s1, s20
	s_lshl_b32 s5, s5, 12
	s_lshl_b32 s1, s1, 7
	s_add_i32 s5, s5, s1
	v_or_b32_e32 v4, s5, v0
	v_ashrrev_i32_e32 v5, 31, v4
	v_lshl_add_u64 v[2:3], v[4:5], 2, v[2:3]
	global_load_dword v1, v[2:3], off
	v_cvt_f32_u32_e32 v4, s22
	s_lshl_b32 s1, s2, 5
	s_add_i32 s4, s1, s15
	s_ashr_i32 s5, s4, 31
	s_lshl_b64 s[4:5], s[4:5], 3
	v_rcp_iflag_f32_e32 v4, v4
	s_add_u32 s4, s18, s4
	s_addc_u32 s5, s19, s5
	s_load_dwordx2 s[4:5], s[4:5], 0x0
	v_mul_f32_e32 v4, 0x4f7ffffe, v4
	v_cvt_u32_f32_e32 v7, v4
	s_add_i32 s24, s2, -1
	v_lshl_or_b32 v6, s15, 7, v0
	s_waitcnt lgkmcnt(0)
	v_mov_b32_e32 v0, s5
	v_mov_b32_e32 v9, s4
	s_mov_b32 s10, 0x3fb8aa3b
	s_mov_b32 s20, 0xc2ce8ed0
	;; [unrolled: 1-line block ×4, first 2 shown]
	v_mov_b32_e32 v8, 0x7f800000
	s_mul_hi_i32 s1, s24, s11
	s_cmp_lg_u64 s[0:1], 0
	s_mul_i32 s8, s24, s11
	s_cbranch_scc0 .LBB58_19
.LBB58_9:
	s_add_u32 s2, s22, 0
	s_addc_u32 s3, 0, 0
	s_xor_b64 s[2:3], s[2:3], 0
	v_cvt_f32_u32_e32 v4, s2
	v_cvt_f32_u32_e32 v5, s3
	s_sub_u32 s9, 0, s2
	s_subb_u32 s25, 0, s3
	v_fmac_f32_e32 v4, 0x4f800000, v5
	v_rcp_f32_e32 v4, v4
	s_nop 0
	v_mul_f32_e32 v4, 0x5f7ffffc, v4
	v_mul_f32_e32 v5, 0x2f800000, v4
	v_trunc_f32_e32 v5, v5
	v_fmac_f32_e32 v4, 0xcf800000, v5
	v_cvt_u32_f32_e32 v5, v5
	v_cvt_u32_f32_e32 v4, v4
	v_readfirstlane_b32 s26, v5
	v_readfirstlane_b32 s4, v4
	s_mul_i32 s5, s9, s26
	s_mul_hi_u32 s28, s9, s4
	s_mul_i32 s27, s25, s4
	s_add_i32 s5, s28, s5
	s_mul_i32 s29, s9, s4
	s_add_i32 s5, s5, s27
	s_mul_i32 s28, s4, s5
	s_mul_hi_u32 s30, s4, s29
	s_mul_hi_u32 s27, s4, s5
	s_add_u32 s28, s30, s28
	s_addc_u32 s27, 0, s27
	s_mul_hi_u32 s31, s26, s29
	s_mul_i32 s29, s26, s29
	s_add_u32 s28, s28, s29
	s_mul_hi_u32 s30, s26, s5
	s_addc_u32 s27, s27, s31
	s_addc_u32 s28, s30, 0
	s_mul_i32 s5, s26, s5
	s_add_u32 s5, s27, s5
	s_addc_u32 s27, 0, s28
	s_add_u32 s28, s4, s5
	s_cselect_b64 s[4:5], -1, 0
	s_cmp_lg_u64 s[4:5], 0
	s_addc_u32 s26, s26, s27
	s_mul_i32 s4, s9, s26
	s_mul_hi_u32 s5, s9, s28
	s_add_i32 s4, s5, s4
	s_mul_i32 s25, s25, s28
	s_add_i32 s4, s4, s25
	s_mul_i32 s9, s9, s28
	s_mul_hi_u32 s25, s26, s9
	s_mul_i32 s27, s26, s9
	s_mul_i32 s30, s28, s4
	s_mul_hi_u32 s9, s28, s9
	s_mul_hi_u32 s29, s28, s4
	s_add_u32 s9, s9, s30
	s_addc_u32 s29, 0, s29
	s_add_u32 s9, s9, s27
	s_mul_hi_u32 s5, s26, s4
	s_addc_u32 s9, s29, s25
	s_addc_u32 s5, s5, 0
	s_mul_i32 s4, s26, s4
	s_add_u32 s4, s9, s4
	s_addc_u32 s9, 0, s5
	s_add_u32 s25, s28, s4
	s_cselect_b64 s[4:5], -1, 0
	s_cmp_lg_u64 s[4:5], 0
	s_addc_u32 s9, s26, s9
	s_ashr_i32 s4, s1, 31
	s_add_u32 s26, s8, s4
	s_mov_b32 s5, s4
	s_addc_u32 s27, s1, s4
	s_xor_b64 s[26:27], s[26:27], s[4:5]
	s_mul_i32 s28, s26, s9
	s_mul_hi_u32 s29, s26, s25
	s_mul_hi_u32 s1, s26, s9
	s_add_u32 s28, s29, s28
	s_addc_u32 s1, 0, s1
	s_mul_hi_u32 s30, s27, s25
	s_mul_i32 s25, s27, s25
	s_add_u32 s25, s28, s25
	s_mul_hi_u32 s29, s27, s9
	s_addc_u32 s1, s1, s30
	s_addc_u32 s25, s29, 0
	s_mul_i32 s9, s27, s9
	s_add_u32 s1, s1, s9
	s_addc_u32 s9, 0, s25
	s_mul_i32 s25, s2, s9
	s_mul_hi_u32 s28, s2, s1
	s_add_i32 s25, s28, s25
	s_mul_i32 s28, s3, s1
	s_add_i32 s25, s25, s28
	s_sub_i32 s30, s27, s25
	s_mul_i32 s28, s2, s1
	s_sub_u32 s26, s26, s28
	s_cselect_b64 s[28:29], -1, 0
	s_cmp_lg_u64 s[28:29], 0
	s_subb_u32 s33, s30, s3
	s_sub_u32 s34, s26, s2
	s_cselect_b64 s[30:31], -1, 0
	s_cmp_lg_u64 s[30:31], 0
	s_subb_u32 s30, s33, 0
	s_cmp_ge_u32 s30, s3
	s_cselect_b32 s31, -1, 0
	s_cmp_ge_u32 s34, s2
	s_cselect_b32 s33, -1, 0
	s_cmp_eq_u32 s30, s3
	s_cselect_b32 s30, s33, s31
	s_add_u32 s31, s1, 1
	s_addc_u32 s33, s9, 0
	s_add_u32 s34, s1, 2
	s_addc_u32 s35, s9, 0
	s_cmp_lg_u32 s30, 0
	s_cselect_b32 s30, s34, s31
	s_cselect_b32 s31, s35, s33
	s_cmp_lg_u64 s[28:29], 0
	s_subb_u32 s25, s27, s25
	s_cmp_ge_u32 s25, s3
	s_cselect_b32 s27, -1, 0
	s_cmp_ge_u32 s26, s2
	s_cselect_b32 s2, -1, 0
	s_cmp_eq_u32 s25, s3
	s_cselect_b32 s2, s2, s27
	s_cmp_lg_u32 s2, 0
	s_cselect_b32 s3, s31, s9
	s_cselect_b32 s2, s30, s1
	s_xor_b64 s[4:5], s[4:5], 0
	s_xor_b64 s[2:3], s[2:3], s[4:5]
	s_sub_u32 s4, s2, s4
	s_cbranch_execnz .LBB58_11
.LBB58_10:
	s_sub_i32 s1, 0, s22
	v_readfirstlane_b32 s2, v7
	s_mul_i32 s1, s1, s2
	s_mul_hi_u32 s1, s2, s1
	s_add_i32 s2, s2, s1
	s_mul_hi_u32 s1, s8, s2
	s_mul_i32 s3, s1, s22
	s_sub_i32 s3, s8, s3
	s_add_i32 s2, s1, 1
	s_sub_i32 s4, s3, s22
	s_cmp_ge_u32 s3, s22
	s_cselect_b32 s1, s2, s1
	s_cselect_b32 s3, s4, s3
	s_add_i32 s2, s1, 1
	s_cmp_ge_u32 s3, s22
	s_cselect_b32 s4, s2, s1
.LBB58_11:
	s_cmp_lg_u32 s6, s4
	s_cbranch_scc0 .LBB58_15
; %bb.12:
	s_add_i32 s1, s24, s22
	s_lshl_b32 s1, s1, 5
	s_add_i32 s2, s1, s15
	s_mov_b32 s3, s0
	s_lshl_b64 s[2:3], s[2:3], 3
	s_add_u32 s8, s18, s2
	s_mul_hi_u32 s1, s4, s12
	s_addc_u32 s9, s19, s3
	s_add_i32 s1, s1, s4
	s_lshr_b32 s1, s1, s13
	s_mul_i32 s2, s1, s14
	s_cmp_eq_u32 s2, s4
	s_cselect_b64 s[2:3], -1, 0
	s_cmp_lt_u32 s1, s7
	s_cselect_b64 s[26:27], -1, 0
	s_or_b64 s[26:27], s[26:27], s[2:3]
	s_mov_b64 s[2:3], -1
	s_and_b64 vcc, exec, s[26:27]
	s_mov_b32 s1, s24
	s_mov_b32 s25, s6
	s_cbranch_vccnz .LBB58_14
; %bb.13:
	s_add_i32 s1, s24, -1
	s_mov_b64 s[2:3], 0
	s_mov_b32 s25, s4
.LBB58_14:
	v_lshl_add_u32 v4, s24, 12, v6
	v_ashrrev_i32_e32 v5, 31, v4
	v_lshl_add_u64 v[4:5], v[4:5], 2, s[16:17]
	global_load_dword v5, v[4:5], off
	s_load_dwordx2 s[4:5], s[8:9], 0x0
	v_max_f32_e32 v4, v9, v9
	s_waitcnt lgkmcnt(0)
	v_max_f32_e64 v10, s4, s4
	v_max_f32_e32 v10, v4, v10
	v_sub_f32_e32 v11, v9, v10
	v_sub_f32_e32 v13, s4, v10
	v_mul_f32_e32 v4, 0x3fb8aa3b, v11
	v_mul_f32_e32 v12, 0x3fb8aa3b, v13
	v_fma_f32 v14, v11, s10, -v4
	v_rndne_f32_e32 v15, v4
	v_fma_f32 v16, v13, s10, -v12
	v_rndne_f32_e32 v17, v12
	v_fmac_f32_e32 v14, 0x32a5705f, v11
	v_sub_f32_e32 v4, v4, v15
	v_fmac_f32_e32 v16, 0x32a5705f, v13
	v_sub_f32_e32 v12, v12, v17
	v_add_f32_e32 v4, v4, v14
	v_cvt_i32_f32_e32 v15, v15
	v_add_f32_e32 v12, v12, v16
	v_exp_f32_e32 v14, v4
	v_cvt_i32_f32_e32 v17, v17
	v_exp_f32_e32 v12, v12
	v_cmp_ngt_f32_e32 vcc, s20, v11
	v_ldexp_f32 v14, v14, v15
	v_mov_b32_e32 v4, s5
	v_ldexp_f32 v12, v12, v17
	v_cndmask_b32_e32 v14, 0, v14, vcc
	v_cmp_ngt_f32_e32 vcc, s20, v13
	s_nop 1
	v_cndmask_b32_e32 v12, 0, v12, vcc
	v_cmp_nlt_f32_e32 vcc, s21, v11
	s_nop 1
	v_cndmask_b32_e32 v14, v8, v14, vcc
	v_cmp_nlt_f32_e32 vcc, s21, v13
	s_nop 1
	v_cndmask_b32_e32 v15, v8, v12, vcc
	v_cmp_le_f32_e32 vcc, s23, v11
	s_nop 1
	v_cndmask_b32_e32 v12, 0, v14, vcc
	v_cmp_le_f32_e32 vcc, s23, v13
	s_nop 1
	v_cndmask_b32_e32 v14, 0, v15, vcc
	s_waitcnt vmcnt(0)
	v_pk_mul_f32 v[4:5], v[4:5], v[14:15] op_sel_hi:[1,0]
	s_nop 0
	v_pk_fma_f32 v[4:5], v[0:1], v[12:13], v[4:5] op_sel_hi:[1,0,1]
	s_cbranch_execz .LBB58_16
	s_branch .LBB58_17
.LBB58_15:
                                        ; implicit-def: $vgpr4_vgpr5
                                        ; implicit-def: $sgpr2_sgpr3
                                        ; implicit-def: $vgpr10
                                        ; implicit-def: $sgpr1
                                        ; implicit-def: $sgpr25
.LBB58_16:
	s_add_i32 s1, s24, -1
	s_mov_b64 s[2:3], 0
	s_mov_b32 s25, s6
	v_mov_b32_e32 v10, v9
	s_waitcnt vmcnt(0)
	v_mov_b64_e32 v[4:5], v[0:1]
.LBB58_17:
	s_andn2_b64 vcc, exec, s[2:3]
	s_cbranch_vccz .LBB58_22
; %bb.18:
	s_mov_b32 s6, s25
	s_mov_b32 s24, s1
	v_mov_b32_e32 v9, v10
	s_waitcnt vmcnt(0)
	v_mov_b64_e32 v[0:1], v[4:5]
	s_mul_hi_i32 s1, s24, s11
	s_cmp_lg_u64 s[0:1], 0
	s_mul_i32 s8, s24, s11
	s_cbranch_scc1 .LBB58_9
.LBB58_19:
                                        ; implicit-def: $sgpr4_sgpr5
	s_branch .LBB58_10
.LBB58_20:
                                        ; implicit-def: $sgpr6_sgpr7
	s_load_dwordx4 s[12:15], s[0:1], 0x44
	s_branch .LBB58_2
.LBB58_21:
                                        ; implicit-def: $sgpr18_sgpr19
	s_branch .LBB58_5
.LBB58_22:
	v_div_scale_f32 v0, s[0:1], v4, v4, v5
	s_waitcnt vmcnt(0)
	v_rcp_f32_e32 v1, v0
	v_div_scale_f32 v6, vcc, v5, v4, v5
	v_fma_f32 v7, -v0, v1, 1.0
	v_fmac_f32_e32 v1, v7, v1
	v_mul_f32_e32 v7, v6, v1
	v_fma_f32 v8, -v0, v7, v6
	v_fmac_f32_e32 v7, v8, v1
	v_fma_f32 v0, -v0, v7, v6
	v_div_fmas_f32 v0, v0, v1, v7
	v_div_fixup_f32 v0, v0, v4, v5
	global_store_dword v[2:3], v0, off
.LBB58_23:
	s_endpgm
	.section	.rodata,"a",@progbits
	.p2align	6, 0x0
	.amdhsa_kernel _ZL33flash_attn_stream_k_fixup_generalILi128ELi32ELi1EEvPfPK15HIP_vector_typeIfLj2EEiiiiS1_IjLj3EES5_S5_S5_
		.amdhsa_group_segment_fixed_size 0
		.amdhsa_private_segment_fixed_size 0
		.amdhsa_kernarg_size 336
		.amdhsa_user_sgpr_count 2
		.amdhsa_user_sgpr_dispatch_ptr 0
		.amdhsa_user_sgpr_queue_ptr 0
		.amdhsa_user_sgpr_kernarg_segment_ptr 1
		.amdhsa_user_sgpr_dispatch_id 0
		.amdhsa_user_sgpr_kernarg_preload_length 0
		.amdhsa_user_sgpr_kernarg_preload_offset 0
		.amdhsa_user_sgpr_private_segment_size 0
		.amdhsa_uses_dynamic_stack 0
		.amdhsa_enable_private_segment 0
		.amdhsa_system_sgpr_workgroup_id_x 1
		.amdhsa_system_sgpr_workgroup_id_y 1
		.amdhsa_system_sgpr_workgroup_id_z 1
		.amdhsa_system_sgpr_workgroup_info 0
		.amdhsa_system_vgpr_workitem_id 0
		.amdhsa_next_free_vgpr 18
		.amdhsa_next_free_sgpr 36
		.amdhsa_accum_offset 20
		.amdhsa_reserve_vcc 1
		.amdhsa_float_round_mode_32 0
		.amdhsa_float_round_mode_16_64 0
		.amdhsa_float_denorm_mode_32 3
		.amdhsa_float_denorm_mode_16_64 3
		.amdhsa_dx10_clamp 1
		.amdhsa_ieee_mode 1
		.amdhsa_fp16_overflow 0
		.amdhsa_tg_split 0
		.amdhsa_exception_fp_ieee_invalid_op 0
		.amdhsa_exception_fp_denorm_src 0
		.amdhsa_exception_fp_ieee_div_zero 0
		.amdhsa_exception_fp_ieee_overflow 0
		.amdhsa_exception_fp_ieee_underflow 0
		.amdhsa_exception_fp_ieee_inexact 0
		.amdhsa_exception_int_div_zero 0
	.end_amdhsa_kernel
	.section	.text._ZL33flash_attn_stream_k_fixup_generalILi128ELi32ELi1EEvPfPK15HIP_vector_typeIfLj2EEiiiiS1_IjLj3EES5_S5_S5_,"axG",@progbits,_ZL33flash_attn_stream_k_fixup_generalILi128ELi32ELi1EEvPfPK15HIP_vector_typeIfLj2EEiiiiS1_IjLj3EES5_S5_S5_,comdat
.Lfunc_end58:
	.size	_ZL33flash_attn_stream_k_fixup_generalILi128ELi32ELi1EEvPfPK15HIP_vector_typeIfLj2EEiiiiS1_IjLj3EES5_S5_S5_, .Lfunc_end58-_ZL33flash_attn_stream_k_fixup_generalILi128ELi32ELi1EEvPfPK15HIP_vector_typeIfLj2EEiiiiS1_IjLj3EES5_S5_S5_
                                        ; -- End function
	.set _ZL33flash_attn_stream_k_fixup_generalILi128ELi32ELi1EEvPfPK15HIP_vector_typeIfLj2EEiiiiS1_IjLj3EES5_S5_S5_.num_vgpr, 18
	.set _ZL33flash_attn_stream_k_fixup_generalILi128ELi32ELi1EEvPfPK15HIP_vector_typeIfLj2EEiiiiS1_IjLj3EES5_S5_S5_.num_agpr, 0
	.set _ZL33flash_attn_stream_k_fixup_generalILi128ELi32ELi1EEvPfPK15HIP_vector_typeIfLj2EEiiiiS1_IjLj3EES5_S5_S5_.numbered_sgpr, 36
	.set _ZL33flash_attn_stream_k_fixup_generalILi128ELi32ELi1EEvPfPK15HIP_vector_typeIfLj2EEiiiiS1_IjLj3EES5_S5_S5_.num_named_barrier, 0
	.set _ZL33flash_attn_stream_k_fixup_generalILi128ELi32ELi1EEvPfPK15HIP_vector_typeIfLj2EEiiiiS1_IjLj3EES5_S5_S5_.private_seg_size, 0
	.set _ZL33flash_attn_stream_k_fixup_generalILi128ELi32ELi1EEvPfPK15HIP_vector_typeIfLj2EEiiiiS1_IjLj3EES5_S5_S5_.uses_vcc, 1
	.set _ZL33flash_attn_stream_k_fixup_generalILi128ELi32ELi1EEvPfPK15HIP_vector_typeIfLj2EEiiiiS1_IjLj3EES5_S5_S5_.uses_flat_scratch, 0
	.set _ZL33flash_attn_stream_k_fixup_generalILi128ELi32ELi1EEvPfPK15HIP_vector_typeIfLj2EEiiiiS1_IjLj3EES5_S5_S5_.has_dyn_sized_stack, 0
	.set _ZL33flash_attn_stream_k_fixup_generalILi128ELi32ELi1EEvPfPK15HIP_vector_typeIfLj2EEiiiiS1_IjLj3EES5_S5_S5_.has_recursion, 0
	.set _ZL33flash_attn_stream_k_fixup_generalILi128ELi32ELi1EEvPfPK15HIP_vector_typeIfLj2EEiiiiS1_IjLj3EES5_S5_S5_.has_indirect_call, 0
	.section	.AMDGPU.csdata,"",@progbits
; Kernel info:
; codeLenInByte = 2932
; TotalNumSgprs: 42
; NumVgprs: 18
; NumAgprs: 0
; TotalNumVgprs: 18
; ScratchSize: 0
; MemoryBound: 0
; FloatMode: 240
; IeeeMode: 1
; LDSByteSize: 0 bytes/workgroup (compile time only)
; SGPRBlocks: 5
; VGPRBlocks: 2
; NumSGPRsForWavesPerEU: 42
; NumVGPRsForWavesPerEU: 18
; AccumOffset: 20
; Occupancy: 8
; WaveLimiterHint : 0
; COMPUTE_PGM_RSRC2:SCRATCH_EN: 0
; COMPUTE_PGM_RSRC2:USER_SGPR: 2
; COMPUTE_PGM_RSRC2:TRAP_HANDLER: 0
; COMPUTE_PGM_RSRC2:TGID_X_EN: 1
; COMPUTE_PGM_RSRC2:TGID_Y_EN: 1
; COMPUTE_PGM_RSRC2:TGID_Z_EN: 1
; COMPUTE_PGM_RSRC2:TIDIG_COMP_CNT: 0
; COMPUTE_PGM_RSRC3_GFX90A:ACCUM_OFFSET: 4
; COMPUTE_PGM_RSRC3_GFX90A:TG_SPLIT: 0
	.section	.text._ZL15flash_attn_tileILi128ELi128ELi16ELi1ELb0EEvPKcS1_S1_S1_S1_PKiPfP15HIP_vector_typeIfLj2EEffffjfiS5_IjLj3EEiiiiiiiiiiiliiliiiiil,"axG",@progbits,_ZL15flash_attn_tileILi128ELi128ELi16ELi1ELb0EEvPKcS1_S1_S1_S1_PKiPfP15HIP_vector_typeIfLj2EEffffjfiS5_IjLj3EEiiiiiiiiiiiliiliiiiil,comdat
	.globl	_ZL15flash_attn_tileILi128ELi128ELi16ELi1ELb0EEvPKcS1_S1_S1_S1_PKiPfP15HIP_vector_typeIfLj2EEffffjfiS5_IjLj3EEiiiiiiiiiiiliiliiiiil ; -- Begin function _ZL15flash_attn_tileILi128ELi128ELi16ELi1ELb0EEvPKcS1_S1_S1_S1_PKiPfP15HIP_vector_typeIfLj2EEffffjfiS5_IjLj3EEiiiiiiiiiiiliiliiiiil
	.p2align	8
	.type	_ZL15flash_attn_tileILi128ELi128ELi16ELi1ELb0EEvPKcS1_S1_S1_S1_PKiPfP15HIP_vector_typeIfLj2EEffffjfiS5_IjLj3EEiiiiiiiiiiiliiliiiiil,@function
_ZL15flash_attn_tileILi128ELi128ELi16ELi1ELb0EEvPKcS1_S1_S1_S1_PKiPfP15HIP_vector_typeIfLj2EEffffjfiS5_IjLj3EEiiiiiiiiiiiliiliiiiil: ; @_ZL15flash_attn_tileILi128ELi128ELi16ELi1ELb0EEvPKcS1_S1_S1_S1_PKiPfP15HIP_vector_typeIfLj2EEffffjfiS5_IjLj3EEiiiiiiiiiiiliiliiiiil
; %bb.0:
	s_load_dwordx4 s[28:31], s[0:1], 0x5c
	s_load_dwordx2 s[38:39], s[0:1], 0x80
	s_load_dwordx16 s[12:27], s[0:1], 0x0
	s_load_dwordx2 s[40:41], s[0:1], 0xb8
	s_mov_b64 s[36:37], 0
	s_waitcnt lgkmcnt(0)
	v_cvt_f32_u32_e32 v1, s31
	s_sub_i32 s5, 0, s31
	v_rcp_iflag_f32_e32 v1, v1
	s_nop 0
	v_mul_f32_e32 v1, 0x4f7ffffe, v1
	v_cvt_u32_f32_e32 v1, v1
	s_nop 0
	v_readfirstlane_b32 s6, v1
	s_mul_i32 s5, s5, s6
	s_mul_hi_u32 s5, s6, s5
	s_add_i32 s6, s6, s5
	s_mul_hi_u32 s5, s4, s6
	s_mul_i32 s6, s5, s31
	s_sub_i32 s6, s4, s6
	s_add_i32 s7, s5, 1
	s_sub_i32 s8, s6, s31
	s_cmp_ge_u32 s6, s31
	s_cselect_b32 s5, s7, s5
	s_cselect_b32 s6, s8, s6
	s_add_i32 s7, s5, 1
	s_cmp_ge_u32 s6, s31
	s_cselect_b32 s33, s7, s5
	s_abs_i32 s5, s39
	v_cvt_f32_u32_e32 v1, s5
	s_mul_i32 s8, s33, s31
	s_sub_i32 s9, 0, s5
	s_sub_i32 s34, s4, s8
	v_rcp_iflag_f32_e32 v1, v1
	s_abs_i32 s7, s31
	s_xor_b32 s6, s31, s39
	s_ashr_i32 s6, s6, 31
	v_mul_f32_e32 v1, 0x4f7ffffe, v1
	v_cvt_u32_f32_e32 v1, v1
	s_nop 0
	v_readfirstlane_b32 s4, v1
	s_mul_i32 s9, s9, s4
	s_mul_hi_u32 s8, s4, s9
	s_add_i32 s4, s4, s8
	s_mul_hi_u32 s4, s7, s4
	s_mul_i32 s8, s4, s5
	s_sub_i32 s7, s7, s8
	s_add_i32 s9, s4, 1
	s_sub_i32 s8, s7, s5
	s_cmp_ge_u32 s7, s5
	s_cselect_b32 s4, s9, s4
	s_cselect_b32 s7, s8, s7
	s_add_i32 s8, s4, 1
	s_cmp_ge_u32 s7, s5
	s_cselect_b32 s4, s8, s4
	s_xor_b32 s4, s4, s6
	s_sub_i32 s39, s4, s6
	s_abs_i32 s42, s39
	v_cvt_f32_u32_e32 v1, s42
	s_sub_i32 s4, 0, s42
	s_abs_i32 s43, s34
	v_rcp_iflag_f32_e32 v1, v1
	s_nop 0
	v_mul_f32_e32 v1, 0x4f7ffffe, v1
	v_cvt_u32_f32_e32 v1, v1
	s_nop 0
	v_readfirstlane_b32 s5, v1
	s_mul_i32 s4, s4, s5
	s_mul_hi_u32 s4, s5, s4
	s_add_i32 s4, s5, s4
	s_cmp_eq_u64 s[18:19], 0
	s_cbranch_scc1 .LBB59_2
; %bb.1:
	s_abs_i32 s5, s40
	v_cvt_f32_u32_e32 v1, s5
	s_sub_i32 s10, 0, s5
	s_abs_i32 s9, s33
	s_ashr_i32 s8, s33, 31
	v_rcp_iflag_f32_e32 v1, v1
	s_load_dwordx2 s[6:7], s[0:1], 0xc8
	v_mul_f32_e32 v1, 0x4f7ffffe, v1
	v_cvt_u32_f32_e32 v1, v1
	s_nop 0
	v_readfirstlane_b32 s11, v1
	s_mul_i32 s10, s10, s11
	s_mul_hi_u32 s10, s11, s10
	s_add_i32 s11, s11, s10
	s_mul_hi_u32 s10, s9, s11
	s_mul_i32 s10, s10, s5
	s_sub_i32 s9, s9, s10
	s_sub_i32 s10, s9, s5
	s_cmp_ge_u32 s9, s5
	s_cselect_b32 s9, s10, s9
	s_sub_i32 s10, s9, s5
	s_cmp_ge_u32 s9, s5
	s_cselect_b32 s5, s10, s9
	s_xor_b32 s5, s5, s8
	s_sub_i32 s5, s5, s8
	s_ashr_i32 s8, s5, 31
	s_waitcnt lgkmcnt(0)
	s_mul_hi_u32 s9, s6, s5
	s_mul_i32 s8, s6, s8
	s_mul_i32 s7, s7, s5
	s_add_i32 s8, s9, s8
	s_add_i32 s8, s8, s7
	s_mul_i32 s5, s6, s5
	s_add_u32 s36, s18, s5
	s_addc_u32 s37, s19, s8
.LBB59_2:
	s_load_dwordx4 s[8:11], s[0:1], 0x40
	s_mul_hi_u32 s18, s43, s4
	s_load_dword s4, s[0:1], 0x50
	v_mov_b32_e32 v25, 1.0
	s_waitcnt lgkmcnt(0)
	v_cmp_le_f32_e64 s[6:7], s9, 0
	s_and_b64 vcc, exec, s[6:7]
	s_cbranch_vccnz .LBB59_4
; %bb.3:
	v_mov_b32_e32 v1, s4
	v_sub_co_u32_e32 v1, vcc, s34, v1
	v_mov_b32_e32 v2, s11
	v_mov_b32_e32 v3, s10
	s_add_i32 s4, s34, 1
	v_lshlrev_b32_e32 v1, 1, v1
	v_cndmask_b32_e32 v2, v2, v3, vcc
	v_or_b32_e32 v1, 1, v1
	v_mov_b32_e32 v3, s4
	v_cndmask_b32_e32 v1, v1, v3, vcc
	v_cvt_f32_i32_e32 v1, v1
	v_cmp_neq_f32_e32 vcc, 1.0, v2
	s_mov_b32 s4, 0x3f2aaaab
	s_movk_i32 s6, 0x204
	v_cndmask_b32_e32 v1, 1.0, v1, vcc
	v_cmp_neq_f32_e32 vcc, 0, v1
	s_mov_b32 s5, 0x42b17218
	s_mov_b32 s7, 0x3fb8aa3b
	v_cndmask_b32_e32 v18, 1.0, v2, vcc
	v_frexp_mant_f32_e64 v2, |v18|
	v_cmp_gt_f32_e32 vcc, s4, v2
	s_mov_b32 s4, 0x3f317218
	s_brev_b32 s9, -2
	v_cndmask_b32_e64 v3, 1.0, 2.0, vcc
	v_mul_f32_e32 v2, v2, v3
	v_add_f32_e32 v5, 1.0, v2
	v_rcp_f32_e32 v10, v5
	v_add_f32_e32 v3, -1.0, v5
	v_sub_f32_e32 v7, v2, v3
	v_add_f32_e32 v3, -1.0, v2
	v_mul_f32_e32 v11, v3, v10
	v_mul_f32_e32 v4, v5, v11
	v_fma_f32 v6, v11, v5, -v4
	v_fmac_f32_e32 v6, v11, v7
	v_add_f32_e32 v2, v4, v6
	v_sub_f32_e32 v5, v3, v2
	v_pk_add_f32 v[8:9], v[2:3], v[4:5] neg_lo:[0,1] neg_hi:[0,1]
	v_mov_b32_e32 v7, v2
	v_pk_add_f32 v[2:3], v[8:9], v[6:7] neg_lo:[0,1] neg_hi:[0,1]
	v_mov_b32_e32 v6, 0x3e91f4c4
	v_add_f32_e32 v2, v2, v3
	v_add_f32_e32 v2, v5, v2
	v_mul_f32_e32 v3, v10, v2
	v_add_f32_e32 v2, v11, v3
	v_sub_f32_e32 v4, v2, v11
	v_sub_f32_e32 v12, v3, v4
	v_mul_f32_e32 v3, v2, v2
	v_fma_f32 v5, v2, v2, -v3
	v_add_f32_e32 v4, v12, v12
	v_fmac_f32_e32 v5, v2, v4
	v_add_f32_e32 v4, v3, v5
	v_fmac_f32_e32 v6, 0x3e76c4e1, v4
	v_fmaak_f32 v6, v4, v6, 0x3ecccdef
	v_sub_f32_e32 v3, v4, v3
	v_sub_f32_e32 v13, v5, v3
	v_mul_f32_e32 v3, v4, v6
	v_fma_f32 v5, v4, v6, -v3
	v_fmac_f32_e32 v5, v13, v6
	v_add_f32_e32 v6, v3, v5
	v_add_f32_e32 v7, 0x3f2aaaaa, v6
	v_sub_f32_e32 v3, v6, v3
	v_sub_f32_e32 v3, v5, v3
	v_add_f32_e32 v5, 0xbf2aaaaa, v7
	v_add_f32_e32 v3, 0x31739010, v3
	v_sub_f32_e32 v5, v6, v5
	v_pk_mul_f32 v[8:9], v[2:3], v[4:5]
	v_pk_add_f32 v[10:11], v[2:3], v[4:5]
	v_fma_f32 v6, v4, v2, -v8
	v_fmac_f32_e32 v6, v4, v12
	v_mov_b32_e32 v9, v11
	v_fmac_f32_e32 v6, v13, v2
	v_pk_add_f32 v[4:5], v[8:9], v[6:7]
	v_ldexp_f32 v14, v12, 1
	v_sub_f32_e32 v3, v4, v8
	v_sub_f32_e32 v3, v6, v3
	v_sub_f32_e32 v6, v7, v5
	v_add_f32_e32 v9, v11, v6
	v_pk_mul_f32 v[6:7], v[4:5], v[4:5] op_sel:[0,1] op_sel_hi:[1,0]
	v_cvt_f64_f32_e64 v[10:11], |v18|
	v_frexp_exp_i32_f64_e32 v7, v[10:11]
	v_subbrev_co_u32_e32 v7, vcc, 0, v7, vcc
	v_cvt_f32_i32_e32 v7, v7
	v_fma_f32 v8, v4, v5, -v6
	v_fmac_f32_e32 v8, v4, v9
	v_fmac_f32_e32 v8, v3, v5
	v_mul_f32_e32 v4, 0x3f317218, v7
	v_fma_f32 v3, v7, s4, -v4
	v_fmamk_f32 v10, v7, 0xb102e308, v3
	v_ldexp_f32 v11, v2, 1
	v_add_f32_e32 v5, v6, v8
	v_pk_add_f32 v[2:3], v[4:5], v[10:11]
	v_mov_b32_e32 v12, v5
	v_mov_b32_e32 v13, v3
	;; [unrolled: 1-line block ×3, first 2 shown]
	v_pk_add_f32 v[6:7], v[12:13], v[6:7] neg_lo:[0,1] neg_hi:[0,1]
	v_mov_b32_e32 v9, v5
	v_pk_add_f32 v[6:7], v[8:9], v[6:7] neg_lo:[0,1] neg_hi:[0,1]
	v_mov_b32_e32 v11, v2
	v_add_f32_e32 v5, v14, v6
	v_add_f32_e32 v5, v5, v7
	v_pk_add_f32 v[6:7], v[2:3], v[4:5] neg_lo:[0,1] neg_hi:[0,1]
	v_pk_add_f32 v[8:9], v[2:3], v[4:5]
	v_mov_b32_e32 v16, v3
	v_mov_b32_e32 v7, v9
	v_pk_add_f32 v[12:13], v[10:11], v[6:7] neg_lo:[0,1] neg_hi:[0,1]
	v_pk_add_f32 v[6:7], v[10:11], v[6:7]
	v_mov_b32_e32 v4, v5
	v_pk_add_f32 v[10:11], v[6:7], v[2:3] op_sel:[1,0] op_sel_hi:[0,1] neg_lo:[0,1] neg_hi:[0,1]
	v_pk_add_f32 v[14:15], v[8:9], v[10:11] op_sel_hi:[1,0] neg_lo:[0,1] neg_hi:[0,1]
	v_mov_b32_e32 v8, v9
	v_mov_b32_e32 v9, v7
	v_mov_b32_e32 v17, v10
	v_pk_add_f32 v[8:9], v[8:9], v[16:17] neg_lo:[0,1] neg_hi:[0,1]
	v_mov_b32_e32 v5, v2
	v_pk_add_f32 v[2:3], v[4:5], v[8:9] neg_lo:[0,1] neg_hi:[0,1]
	v_mov_b32_e32 v14, v12
	v_pk_add_f32 v[4:5], v[14:15], v[2:3]
	v_mov_b32_e32 v13, v7
	v_pk_add_f32 v[8:9], v[4:5], v[4:5] op_sel:[0,1] op_sel_hi:[1,0]
	s_mov_b32 s4, 0x7f800000
	v_pk_add_f32 v[6:7], v[6:7], v[8:9] op_sel:[1,0] op_sel_hi:[0,1]
	v_mov_b32_e32 v5, v6
	v_pk_add_f32 v[10:11], v[4:5], v[12:13] neg_lo:[0,1] neg_hi:[0,1]
	v_mov_b32_e32 v3, v8
	v_sub_f32_e32 v4, v4, v10
	v_pk_add_f32 v[2:3], v[2:3], v[10:11] neg_lo:[0,1] neg_hi:[0,1]
	v_sub_f32_e32 v4, v12, v4
	v_add_f32_e32 v2, v2, v4
	v_add_f32_e32 v2, v2, v3
	;; [unrolled: 1-line block ×3, first 2 shown]
	v_sub_f32_e32 v4, v3, v6
	v_sub_f32_e32 v2, v2, v4
	v_mul_f32_e32 v4, v1, v3
	v_fma_f32 v3, v1, v3, -v4
	v_fmac_f32_e32 v3, v1, v2
	v_add_f32_e32 v2, v4, v3
	v_cmp_class_f32_e64 vcc, v4, s6
	v_sub_f32_e32 v5, v2, v4
	v_sub_f32_e32 v3, v3, v5
	v_cndmask_b32_e32 v2, v2, v4, vcc
	v_mov_b32_e32 v4, 0x37000000
	v_cmp_eq_f32_e32 vcc, s5, v2
	v_cmp_class_f32_e64 s[10:11], v18, s6
	s_nop 0
	v_cndmask_b32_e32 v4, 0, v4, vcc
	v_sub_f32_e32 v5, v2, v4
	v_mul_f32_e32 v6, 0x3fb8aa3b, v5
	v_fma_f32 v7, v5, s7, -v6
	v_rndne_f32_e32 v8, v6
	v_fmamk_f32 v7, v5, 0x32a5705f, v7
	v_sub_f32_e32 v6, v6, v8
	v_add_f32_e32 v6, v6, v7
	v_exp_f32_e32 v6, v6
	v_cvt_i32_f32_e32 v7, v8
	v_cmp_neq_f32_e64 vcc, |v2|, s4
	s_mov_b32 s4, 0xc2ce8ed0
	s_nop 0
	v_cndmask_b32_e32 v2, 0, v3, vcc
	v_ldexp_f32 v3, v6, v7
	v_cmp_ngt_f32_e32 vcc, s4, v5
	v_add_f32_e32 v2, v4, v2
	v_mov_b32_e32 v4, 0x7f800000
	v_cndmask_b32_e32 v3, 0, v3, vcc
	v_cmp_nlt_f32_e32 vcc, s5, v5
	v_mov_b32_e32 v5, 0x7fc00000
	s_nop 0
	v_cndmask_b32_e32 v3, v4, v3, vcc
	v_fma_f32 v2, v3, v2, v3
	v_cmp_class_f32_e64 vcc, v3, s6
	v_cmp_gt_f32_e64 s[6:7], 0, v1
	s_nop 0
	v_cndmask_b32_e32 v2, v2, v3, vcc
	v_trunc_f32_e32 v3, v1
	v_cmp_eq_f32_e32 vcc, v3, v1
	v_mul_f32_e32 v3, 0.5, v1
	v_trunc_f32_e32 v6, v3
	v_cmp_neq_f32_e64 s[4:5], v6, v3
	s_and_b64 s[4:5], vcc, s[4:5]
	s_nop 0
	v_cndmask_b32_e64 v3, 1.0, v18, s[4:5]
	v_bfi_b32 v2, s9, v2, v3
	v_cndmask_b32_e32 v3, v5, v2, vcc
	v_cmp_gt_f32_e32 vcc, 0, v18
	s_nop 1
	v_cndmask_b32_e32 v2, v2, v3, vcc
	v_cmp_eq_f32_e32 vcc, 0, v18
	s_xor_b64 s[6:7], s[6:7], vcc
	v_cndmask_b32_e64 v1, v4, 0, s[6:7]
	v_cndmask_b32_e64 v3, 0, v18, s[4:5]
	v_bfi_b32 v1, s9, v1, v3
	s_or_b64 vcc, vcc, s[10:11]
	v_cndmask_b32_e32 v1, v2, v1, vcc
	v_cmp_o_f32_e32 vcc, v18, v18
	s_nop 1
	v_cndmask_b32_e32 v25, v5, v1, vcc
.LBB59_4:
	s_load_dwordx4 s[44:47], s[0:1], 0x70
	v_bfe_u32 v24, v0, 10, 10
	s_ashr_i32 s4, s39, 31
	s_lshl_b32 s39, s2, 4
	v_lshlrev_b32_e32 v44, 1, v24
	s_waitcnt lgkmcnt(0)
	s_mul_i32 s5, s33, s46
	s_ashr_i32 s35, s34, 31
	s_ashr_i32 s7, s5, 31
	v_add_u32_e32 v46, s39, v44
	v_or_b32_e32 v42, 1, v44
	s_mul_i32 s6, s34, s45
	s_add_u32 s5, s12, s5
	v_and_b32_e32 v36, 0x3ff, v0
	v_mul_hi_u32 v0, v46, s28
	v_add_u32_e32 v43, s39, v42
	s_addc_u32 s7, s13, s7
	s_ashr_i32 s9, s6, 31
	v_add_u32_e32 v0, v46, v0
	v_mul_hi_u32 v1, v43, s28
	s_add_u32 s6, s5, s6
	v_lshrrev_b32_e32 v0, s29, v0
	v_add_u32_e32 v1, v43, v1
	s_addc_u32 s7, s7, s9
	s_ashr_i32 s45, s44, 31
	v_mul_lo_u32 v0, v0, s30
	v_lshrrev_b32_e32 v1, s29, v1
	s_lshr_b64 s[10:11], s[44:45], 2
	v_lshlrev_b32_e32 v4, 4, v36
	v_mov_b32_e32 v5, 0
	v_sub_u32_e32 v0, v46, v0
	v_mul_lo_u32 v1, v1, s30
	v_lshl_add_u64 v[2:3], s[6:7], 0, v[4:5]
	v_mad_u64_u32 v[6:7], s[6:7], s10, v0, 0
	v_sub_u32_e32 v1, v43, v1
	v_mov_b32_e32 v4, v7
	s_lshr_b32 s5, s45, 2
	v_mad_u64_u32 v[10:11], s[6:7], s10, v1, 0
	v_mad_u64_u32 v[8:9], s[6:7], s5, v0, v[4:5]
	v_mov_b32_e32 v4, v11
	v_mov_b32_e32 v7, v8
	v_mad_u64_u32 v[12:13], s[6:7], s5, v1, v[4:5]
	v_lshl_add_u64 v[6:7], v[6:7], 2, v[2:3]
	v_mov_b32_e32 v11, v12
	global_load_dwordx4 v[6:9], v[6:7], off
	v_lshl_add_u64 v[2:3], v[10:11], 2, v[2:3]
	global_load_dwordx4 v[10:13], v[2:3], off
	v_lshlrev_b32_e32 v47, 3, v36
	v_lshlrev_b32_e32 v31, 9, v24
	v_add_u32_e32 v1, 0x4400, v47
	v_add_u32_e32 v4, v1, v31
	s_cmp_eq_u64 s[22:23], 0
	v_lshl_add_u32 v1, v42, 8, v1
	s_waitcnt vmcnt(1)
	v_fma_mixlo_f16 v2, s8, v6, 0
	v_fma_mixlo_f16 v3, s8, v7, 0
	v_fma_mixlo_f16 v6, s8, v8, 0
	v_fma_mixlo_f16 v7, s8, v9, 0
	s_waitcnt vmcnt(0)
	v_fma_mixlo_f16 v8, s8, v10, 0
	v_fma_mixlo_f16 v9, s8, v11, 0
	v_lshlrev_b32_e32 v3, 16, v3
	v_and_b32_e32 v2, 0xffff, v2
	v_fma_mixlo_f16 v10, s8, v12, 0
	v_fma_mixlo_f16 v11, s8, v13, 0
	v_lshlrev_b32_e32 v7, 16, v7
	v_and_b32_e32 v6, 0xffff, v6
	v_lshlrev_b32_e32 v9, 16, v9
	v_and_b32_e32 v8, 0xffff, v8
	v_or_b32_e32 v2, v3, v2
	v_lshlrev_b32_e32 v11, 16, v11
	v_and_b32_e32 v10, 0xffff, v10
	v_or3_b32 v3, v7, v6, 0
	v_or_b32_e32 v6, v9, v8
	v_or3_b32 v2, 0, 0, v2
	v_or3_b32 v7, v11, v10, 0
	;; [unrolled: 1-line block ×3, first 2 shown]
	ds_write_b64 v4, v[2:3]
	ds_write_b64 v1, v[6:7]
	s_waitcnt lgkmcnt(0)
	s_barrier
	s_cbranch_scc1 .LBB59_6
; %bb.5:
	s_load_dword s5, s[0:1], 0xd0
	s_mov_b32 s7, 0
	s_waitcnt lgkmcnt(0)
	s_mul_i32 s5, s5, s33
	s_add_i32 s6, s5, s2
	s_lshl_b64 s[6:7], s[6:7], 2
	s_add_u32 s6, s22, s6
	s_addc_u32 s7, s23, s7
	s_load_dword s38, s[6:7], 0x0
.LBB59_6:
	s_nop 0
	s_load_dwordx2 s[6:7], s[0:1], 0x8c
	s_load_dwordx4 s[44:47], s[0:1], 0x98
	s_ashr_i32 s5, s33, 31
	s_ashr_i32 s41, s41, 1
	s_mul_i32 s10, s18, s42
	s_waitcnt lgkmcnt(0)
	s_ashr_i32 s8, s6, 2
	s_mul_hi_u32 s6, s44, s33
	s_mul_i32 s9, s44, s5
	s_add_i32 s6, s6, s9
	s_mul_i32 s9, s45, s33
	s_ashr_i32 s2, s46, 2
	s_add_i32 s6, s6, s9
	s_mul_i32 s9, s44, s33
	s_add_u32 s9, s14, s9
	s_addc_u32 s6, s15, s6
	s_sub_i32 s10, s43, s10
	s_xor_b32 s4, s35, s4
	s_add_i32 s11, s18, 1
	s_sub_i32 s14, s10, s42
	s_cmp_ge_u32 s10, s42
	s_cselect_b32 s11, s11, s18
	s_cselect_b32 s10, s14, s10
	s_add_i32 s14, s11, 1
	s_cmp_ge_u32 s10, s42
	s_cselect_b32 s10, s14, s11
	s_load_dwordx2 s[12:13], s[0:1], 0xa8
	s_xor_b32 s10, s10, s4
	s_sub_i32 s4, s10, s4
	s_mul_i32 s7, s4, s7
	s_ashr_i32 s10, s7, 31
	s_add_u32 s9, s9, s7
	s_addc_u32 s10, s6, s10
	s_waitcnt lgkmcnt(0)
	s_mul_hi_u32 s6, s12, s33
	s_mul_i32 s5, s12, s5
	s_add_i32 s5, s6, s5
	s_mul_i32 s6, s13, s33
	s_add_i32 s5, s5, s6
	s_mul_i32 s6, s12, s33
	s_add_u32 s6, s16, s6
	s_mul_i32 s4, s4, s47
	s_addc_u32 s5, s17, s5
	s_ashr_i32 s7, s4, 31
	s_add_u32 s22, s6, s4
	v_lshlrev_b32_e32 v45, 2, v36
	s_addc_u32 s23, s5, s7
	s_lshl_b32 s40, s3, 6
	s_sub_i32 s11, s38, 64
	s_cmp_ge_i32 s40, s11
	v_mul_lo_u32 v33, v0, s41
	v_lshrrev_b32_e32 v1, 4, v36
	v_and_b32_e32 v0, 60, v45
	v_or_b32_e32 v30, 1, v46
	v_mbcnt_lo_u32_b32 v32, -1, 0
	s_cbranch_scc1 .LBB59_19
; %bb.7:
	v_add_u32_e32 v2, v1, v44
	v_lshlrev_b32_e32 v4, 2, v0
	s_movk_i32 s4, 0x110
	v_mad_u32_u24 v34, v2, s4, v4
	v_mul_lo_u32 v8, s8, v2
	s_lshl_b32 s4, s8, 4
	v_add_u32_e32 v10, s4, v8
	v_mul_hi_u32 v5, s28, v30
	v_add_u32_e32 v12, s4, v10
	s_cmp_lg_u64 s[36:37], 0
	v_add_u32_e32 v5, v30, v5
	v_add_u32_e32 v14, s4, v12
	s_cselect_b64 s[4:5], -1, 0
	v_lshrrev_b32_e32 v5, s29, v5
	v_mul_lo_u32 v16, s2, v2
	s_lshl_b32 s6, s2, 4
	v_mul_lo_u32 v5, v5, s30
	v_add_u32_e32 v18, s6, v16
	v_sub_u32_e32 v5, v30, v5
	v_add_u32_e32 v20, s6, v18
	v_mov_b32_e32 v3, 0
	v_mul_lo_u32 v41, v5, s41
	v_mov_b32_e32 v5, 0x5400
	v_lshl_or_b32 v49, v2, 8, v4
	v_add_u32_e32 v22, s6, v20
	s_add_u32 s6, s0, 0xd0
	v_cndmask_b32_e64 v4, 0, 1, s[4:5]
	v_ashrrev_i32_e32 v9, 31, v8
	v_add_u32_e32 v35, 0x1100, v34
	v_ashrrev_i32_e32 v11, 31, v10
	v_add_u32_e32 v37, 0x2200, v34
	;; [unrolled: 2-line block ×4, first 2 shown]
	v_mul_u32_u24_e32 v40, 0x110, v36
	v_lshl_add_u32 v48, v24, 8, v5
	v_ashrrev_i32_e32 v17, 31, v16
	v_add_u32_e32 v50, 0x1000, v49
	v_ashrrev_i32_e32 v19, 31, v18
	v_add_u32_e32 v51, 0x2000, v49
	;; [unrolled: 2-line block ×3, first 2 shown]
	v_ashrrev_i32_e32 v23, 31, v22
	s_addc_u32 s7, s1, 0
	v_mov_b32_e32 v56, 0xfeffffff
	v_lshlrev_b32_e32 v2, 2, v0
	s_mov_b32 s12, 0x3fb8aa3b
	s_mov_b32 s13, 0xc2ce8ed0
	;; [unrolled: 1-line block ×4, first 2 shown]
	v_cmp_ne_u32_e64 s[4:5], 1, v4
	v_mbcnt_hi_u32_b32 v53, -1, v32
	v_mov_b32_e32 v54, 0x7f800000
	v_mov_b32_e32 v26, v3
	;; [unrolled: 1-line block ×8, first 2 shown]
.LBB59_8:                               ; =>This Inner Loop Header: Depth=1
	s_mul_hi_i32 s17, s40, s8
	s_mul_i32 s16, s40, s8
	s_lshl_b64 s[16:17], s[16:17], 2
	s_add_u32 s16, s9, s16
	s_addc_u32 s17, s10, s17
	v_lshl_add_u64 v[6:7], v[8:9], 2, s[16:17]
	v_lshl_add_u64 v[6:7], v[6:7], 0, v[2:3]
	;; [unrolled: 1-line block ×4, first 2 shown]
	global_load_dwordx4 v[60:63], v[6:7], off
	global_load_dwordx4 v[64:67], v[58:59], off
	v_lshl_add_u64 v[6:7], v[12:13], 2, s[16:17]
	v_lshl_add_u64 v[6:7], v[6:7], 0, v[2:3]
	;; [unrolled: 1-line block ×4, first 2 shown]
	global_load_dwordx4 v[68:71], v[6:7], off
	global_load_dwordx4 v[72:75], v[58:59], off
	v_mov_b32_e32 v59, 0
	v_mov_b32_e32 v57, 0
	;; [unrolled: 1-line block ×3, first 2 shown]
	s_and_b64 vcc, exec, s[4:5]
	s_waitcnt vmcnt(3)
	ds_write_b128 v34, v[60:63]
	s_waitcnt vmcnt(2)
	ds_write_b128 v35, v[64:67]
	;; [unrolled: 2-line block ×4, first 2 shown]
	s_waitcnt lgkmcnt(0)
	s_barrier
	ds_read_b128 v[62:65], v40
	ds_read_b128 v[66:69], v39
	ds_read_b128 v[70:73], v40 offset:8704
	ds_read_b128 v[74:77], v39 offset:256
	s_waitcnt lgkmcnt(2)
	;;#ASMSTART
	v_dot2_f32_f16 v59, v62, v66, v59
	;;#ASMEND
	s_nop 0
	;;#ASMSTART
	v_dot2_f32_f16 v59, v63, v67, v59
	;;#ASMEND
	v_mov_b32_e32 v60, 0
	;;#ASMSTART
	v_dot2_f32_f16 v59, v64, v68, v59
	;;#ASMEND
	v_add_u32_e32 v61, s40, v36
	;;#ASMSTART
	v_dot2_f32_f16 v59, v65, v69, v59
	;;#ASMEND
	s_waitcnt lgkmcnt(0)
	;;#ASMSTART
	v_dot2_f32_f16 v57, v62, v74, v57
	;;#ASMEND
	v_add_u32_e32 v6, v61, v33
	;;#ASMSTART
	v_dot2_f32_f16 v57, v63, v75, v57
	;;#ASMEND
	v_ashrrev_i32_e32 v7, 31, v6
	;;#ASMSTART
	v_dot2_f32_f16 v57, v64, v76, v57
	;;#ASMEND
	s_nop 0
	;;#ASMSTART
	v_dot2_f32_f16 v57, v65, v77, v57
	;;#ASMEND
	;;#ASMSTART
	v_dot2_f32_f16 v60, v70, v66, v60
	;;#ASMEND
	s_nop 0
	;;#ASMSTART
	v_dot2_f32_f16 v60, v71, v67, v60
	;;#ASMEND
	s_nop 0
	;; [unrolled: 4-line block ×3, first 2 shown]
	;;#ASMSTART
	v_dot2_f32_f16 v60, v73, v69, v60
	;;#ASMEND
	;;#ASMSTART
	v_dot2_f32_f16 v58, v70, v74, v58
	;;#ASMEND
	s_nop 0
	;;#ASMSTART
	v_dot2_f32_f16 v58, v71, v75, v58
	;;#ASMEND
	s_nop 0
	;; [unrolled: 4-line block ×3, first 2 shown]
	;;#ASMSTART
	v_dot2_f32_f16 v58, v73, v77, v58
	;;#ASMEND
	ds_read_b128 v[62:65], v39 offset:16
	ds_read_b128 v[66:69], v40 offset:16
	;; [unrolled: 1-line block ×4, first 2 shown]
	s_waitcnt lgkmcnt(2)
	;;#ASMSTART
	v_dot2_f32_f16 v59, v66, v62, v59
	;;#ASMEND
	s_nop 0
	;;#ASMSTART
	v_dot2_f32_f16 v59, v67, v63, v59
	;;#ASMEND
	s_nop 0
	;; [unrolled: 4-line block ×3, first 2 shown]
	;;#ASMSTART
	v_dot2_f32_f16 v59, v69, v65, v59
	;;#ASMEND
	s_waitcnt lgkmcnt(0)
	;;#ASMSTART
	v_dot2_f32_f16 v57, v66, v74, v57
	;;#ASMEND
	s_nop 0
	;;#ASMSTART
	v_dot2_f32_f16 v57, v67, v75, v57
	;;#ASMEND
	s_nop 0
	;;#ASMSTART
	v_dot2_f32_f16 v57, v68, v76, v57
	;;#ASMEND
	s_nop 0
	;;#ASMSTART
	v_dot2_f32_f16 v57, v69, v77, v57
	;;#ASMEND
	;;#ASMSTART
	v_dot2_f32_f16 v60, v70, v62, v60
	;;#ASMEND
	s_nop 0
	;;#ASMSTART
	v_dot2_f32_f16 v60, v71, v63, v60
	;;#ASMEND
	s_nop 0
	;;#ASMSTART
	v_dot2_f32_f16 v60, v72, v64, v60
	;;#ASMEND
	s_nop 0
	;;#ASMSTART
	v_dot2_f32_f16 v60, v73, v65, v60
	;;#ASMEND
	;; [unrolled: 15-line block ×3, first 2 shown]
	ds_read_b128 v[62:65], v39 offset:32
	ds_read_b128 v[66:69], v40 offset:32
	;; [unrolled: 1-line block ×4, first 2 shown]
	s_waitcnt lgkmcnt(2)
	;;#ASMSTART
	v_dot2_f32_f16 v59, v66, v62, v59
	;;#ASMEND
	s_nop 0
	;;#ASMSTART
	v_dot2_f32_f16 v59, v67, v63, v59
	;;#ASMEND
	s_nop 0
	;; [unrolled: 4-line block ×3, first 2 shown]
	;;#ASMSTART
	v_dot2_f32_f16 v59, v69, v65, v59
	;;#ASMEND
	s_waitcnt lgkmcnt(0)
	;;#ASMSTART
	v_dot2_f32_f16 v57, v66, v74, v57
	;;#ASMEND
	s_nop 0
	;;#ASMSTART
	v_dot2_f32_f16 v57, v67, v75, v57
	;;#ASMEND
	s_nop 0
	;;#ASMSTART
	v_dot2_f32_f16 v57, v68, v76, v57
	;;#ASMEND
	s_nop 0
	;;#ASMSTART
	v_dot2_f32_f16 v57, v69, v77, v57
	;;#ASMEND
	;;#ASMSTART
	v_dot2_f32_f16 v60, v70, v62, v60
	;;#ASMEND
	s_nop 0
	;;#ASMSTART
	v_dot2_f32_f16 v60, v71, v63, v60
	;;#ASMEND
	s_nop 0
	;;#ASMSTART
	v_dot2_f32_f16 v60, v72, v64, v60
	;;#ASMEND
	s_nop 0
	;;#ASMSTART
	v_dot2_f32_f16 v60, v73, v65, v60
	;;#ASMEND
	;; [unrolled: 15-line block ×3, first 2 shown]
	ds_read_b128 v[62:65], v39 offset:48
	ds_read_b128 v[66:69], v40 offset:48
	;; [unrolled: 1-line block ×4, first 2 shown]
	s_waitcnt lgkmcnt(2)
	;;#ASMSTART
	v_dot2_f32_f16 v59, v66, v62, v59
	;;#ASMEND
	s_nop 0
	;;#ASMSTART
	v_dot2_f32_f16 v59, v67, v63, v59
	;;#ASMEND
	s_nop 0
	;; [unrolled: 4-line block ×3, first 2 shown]
	;;#ASMSTART
	v_dot2_f32_f16 v59, v69, v65, v59
	;;#ASMEND
	s_waitcnt lgkmcnt(0)
	;;#ASMSTART
	v_dot2_f32_f16 v57, v66, v74, v57
	;;#ASMEND
	s_nop 0
	;;#ASMSTART
	v_dot2_f32_f16 v57, v67, v75, v57
	;;#ASMEND
	s_nop 0
	;;#ASMSTART
	v_dot2_f32_f16 v57, v68, v76, v57
	;;#ASMEND
	s_nop 0
	;;#ASMSTART
	v_dot2_f32_f16 v57, v69, v77, v57
	;;#ASMEND
	;;#ASMSTART
	v_dot2_f32_f16 v60, v70, v62, v60
	;;#ASMEND
	s_nop 0
	;;#ASMSTART
	v_dot2_f32_f16 v60, v71, v63, v60
	;;#ASMEND
	s_nop 0
	;;#ASMSTART
	v_dot2_f32_f16 v60, v72, v64, v60
	;;#ASMEND
	s_nop 0
	;;#ASMSTART
	v_dot2_f32_f16 v60, v73, v65, v60
	;;#ASMEND
	;;#ASMSTART
	v_dot2_f32_f16 v58, v70, v74, v58
	;;#ASMEND
	s_nop 0
	;;#ASMSTART
	v_dot2_f32_f16 v58, v71, v75, v58
	;;#ASMEND
	s_nop 0
	;;#ASMSTART
	v_dot2_f32_f16 v58, v72, v76, v58
	;;#ASMEND
	s_nop 0
	;;#ASMSTART
	v_dot2_f32_f16 v58, v73, v77, v58
	;;#ASMEND
	ds_read_b128 v[62:65], v39 offset:64
	ds_read_b128 v[66:69], v40 offset:64
	;; [unrolled: 1-line block ×4, first 2 shown]
	s_waitcnt lgkmcnt(2)
	;;#ASMSTART
	v_dot2_f32_f16 v59, v66, v62, v59
	;;#ASMEND
	s_nop 0
	;;#ASMSTART
	v_dot2_f32_f16 v59, v67, v63, v59
	;;#ASMEND
	s_nop 0
	;; [unrolled: 4-line block ×3, first 2 shown]
	;;#ASMSTART
	v_dot2_f32_f16 v59, v69, v65, v59
	;;#ASMEND
	s_waitcnt lgkmcnt(0)
	;;#ASMSTART
	v_dot2_f32_f16 v57, v66, v74, v57
	;;#ASMEND
	s_nop 0
	;;#ASMSTART
	v_dot2_f32_f16 v57, v67, v75, v57
	;;#ASMEND
	s_nop 0
	;;#ASMSTART
	v_dot2_f32_f16 v57, v68, v76, v57
	;;#ASMEND
	s_nop 0
	;;#ASMSTART
	v_dot2_f32_f16 v57, v69, v77, v57
	;;#ASMEND
	;;#ASMSTART
	v_dot2_f32_f16 v60, v70, v62, v60
	;;#ASMEND
	s_nop 0
	;;#ASMSTART
	v_dot2_f32_f16 v60, v71, v63, v60
	;;#ASMEND
	s_nop 0
	;;#ASMSTART
	v_dot2_f32_f16 v60, v72, v64, v60
	;;#ASMEND
	s_nop 0
	;;#ASMSTART
	v_dot2_f32_f16 v60, v73, v65, v60
	;;#ASMEND
	;; [unrolled: 15-line block ×3, first 2 shown]
	ds_read_b128 v[62:65], v39 offset:80
	ds_read_b128 v[66:69], v40 offset:80
	;; [unrolled: 1-line block ×4, first 2 shown]
	s_waitcnt lgkmcnt(2)
	;;#ASMSTART
	v_dot2_f32_f16 v59, v66, v62, v59
	;;#ASMEND
	s_nop 0
	;;#ASMSTART
	v_dot2_f32_f16 v59, v67, v63, v59
	;;#ASMEND
	s_nop 0
	;; [unrolled: 4-line block ×3, first 2 shown]
	;;#ASMSTART
	v_dot2_f32_f16 v59, v69, v65, v59
	;;#ASMEND
	s_waitcnt lgkmcnt(0)
	;;#ASMSTART
	v_dot2_f32_f16 v57, v66, v74, v57
	;;#ASMEND
	s_nop 0
	;;#ASMSTART
	v_dot2_f32_f16 v57, v67, v75, v57
	;;#ASMEND
	s_nop 0
	;;#ASMSTART
	v_dot2_f32_f16 v57, v68, v76, v57
	;;#ASMEND
	s_nop 0
	;;#ASMSTART
	v_dot2_f32_f16 v57, v69, v77, v57
	;;#ASMEND
	;;#ASMSTART
	v_dot2_f32_f16 v60, v70, v62, v60
	;;#ASMEND
	s_nop 0
	;;#ASMSTART
	v_dot2_f32_f16 v60, v71, v63, v60
	;;#ASMEND
	s_nop 0
	;;#ASMSTART
	v_dot2_f32_f16 v60, v72, v64, v60
	;;#ASMEND
	s_nop 0
	;;#ASMSTART
	v_dot2_f32_f16 v60, v73, v65, v60
	;;#ASMEND
	;; [unrolled: 15-line block ×3, first 2 shown]
	ds_read_b128 v[62:65], v39 offset:96
	ds_read_b128 v[66:69], v40 offset:96
	;; [unrolled: 1-line block ×4, first 2 shown]
	s_waitcnt lgkmcnt(2)
	;;#ASMSTART
	v_dot2_f32_f16 v59, v66, v62, v59
	;;#ASMEND
	s_nop 0
	;;#ASMSTART
	v_dot2_f32_f16 v59, v67, v63, v59
	;;#ASMEND
	s_nop 0
	;;#ASMSTART
	v_dot2_f32_f16 v59, v68, v64, v59
	;;#ASMEND
	s_nop 0
	;;#ASMSTART
	v_dot2_f32_f16 v59, v69, v65, v59
	;;#ASMEND
	s_waitcnt lgkmcnt(0)
	;;#ASMSTART
	v_dot2_f32_f16 v57, v66, v74, v57
	;;#ASMEND
	s_nop 0
	;;#ASMSTART
	v_dot2_f32_f16 v57, v67, v75, v57
	;;#ASMEND
	s_nop 0
	;;#ASMSTART
	v_dot2_f32_f16 v57, v68, v76, v57
	;;#ASMEND
	s_nop 0
	;;#ASMSTART
	v_dot2_f32_f16 v57, v69, v77, v57
	;;#ASMEND
	;;#ASMSTART
	v_dot2_f32_f16 v60, v70, v62, v60
	;;#ASMEND
	s_nop 0
	;;#ASMSTART
	v_dot2_f32_f16 v60, v71, v63, v60
	;;#ASMEND
	s_nop 0
	;;#ASMSTART
	v_dot2_f32_f16 v60, v72, v64, v60
	;;#ASMEND
	s_nop 0
	;;#ASMSTART
	v_dot2_f32_f16 v60, v73, v65, v60
	;;#ASMEND
	;; [unrolled: 15-line block ×3, first 2 shown]
	ds_read_b128 v[62:65], v39 offset:112
	ds_read_b128 v[66:69], v40 offset:112
	ds_read_b128 v[70:73], v40 offset:8816
	ds_read_b128 v[74:77], v39 offset:368
	s_waitcnt lgkmcnt(2)
	;;#ASMSTART
	v_dot2_f32_f16 v59, v66, v62, v59
	;;#ASMEND
	s_nop 0
	;;#ASMSTART
	v_dot2_f32_f16 v59, v67, v63, v59
	;;#ASMEND
	s_nop 0
	;; [unrolled: 4-line block ×3, first 2 shown]
	;;#ASMSTART
	v_dot2_f32_f16 v59, v69, v65, v59
	;;#ASMEND
	s_waitcnt lgkmcnt(0)
	;;#ASMSTART
	v_dot2_f32_f16 v57, v66, v74, v57
	;;#ASMEND
	s_nop 0
	;;#ASMSTART
	v_dot2_f32_f16 v57, v67, v75, v57
	;;#ASMEND
	s_nop 0
	;;#ASMSTART
	v_dot2_f32_f16 v57, v68, v76, v57
	;;#ASMEND
	s_nop 0
	;;#ASMSTART
	v_dot2_f32_f16 v57, v69, v77, v57
	;;#ASMEND
	;;#ASMSTART
	v_dot2_f32_f16 v60, v70, v62, v60
	;;#ASMEND
	s_nop 0
	;;#ASMSTART
	v_dot2_f32_f16 v60, v71, v63, v60
	;;#ASMEND
	s_nop 0
	;;#ASMSTART
	v_dot2_f32_f16 v60, v72, v64, v60
	;;#ASMEND
	s_nop 0
	;;#ASMSTART
	v_dot2_f32_f16 v60, v73, v65, v60
	;;#ASMEND
	;;#ASMSTART
	v_dot2_f32_f16 v58, v70, v74, v58
	;;#ASMEND
	s_nop 0
	;;#ASMSTART
	v_dot2_f32_f16 v58, v71, v75, v58
	;;#ASMEND
	s_nop 0
	;;#ASMSTART
	v_dot2_f32_f16 v58, v72, v76, v58
	;;#ASMEND
	s_nop 0
	;;#ASMSTART
	v_dot2_f32_f16 v58, v73, v77, v58
	;;#ASMEND
	ds_read_b128 v[62:65], v39 offset:128
	ds_read_b128 v[66:69], v40 offset:128
	;; [unrolled: 1-line block ×4, first 2 shown]
	s_waitcnt lgkmcnt(2)
	;;#ASMSTART
	v_dot2_f32_f16 v59, v66, v62, v59
	;;#ASMEND
	s_nop 0
	;;#ASMSTART
	v_dot2_f32_f16 v59, v67, v63, v59
	;;#ASMEND
	s_nop 0
	;; [unrolled: 4-line block ×3, first 2 shown]
	;;#ASMSTART
	v_dot2_f32_f16 v59, v69, v65, v59
	;;#ASMEND
	s_waitcnt lgkmcnt(0)
	;;#ASMSTART
	v_dot2_f32_f16 v57, v66, v74, v57
	;;#ASMEND
	s_nop 0
	;;#ASMSTART
	v_dot2_f32_f16 v57, v67, v75, v57
	;;#ASMEND
	s_nop 0
	;;#ASMSTART
	v_dot2_f32_f16 v57, v68, v76, v57
	;;#ASMEND
	s_nop 0
	;;#ASMSTART
	v_dot2_f32_f16 v57, v69, v77, v57
	;;#ASMEND
	;;#ASMSTART
	v_dot2_f32_f16 v60, v70, v62, v60
	;;#ASMEND
	s_nop 0
	;;#ASMSTART
	v_dot2_f32_f16 v60, v71, v63, v60
	;;#ASMEND
	s_nop 0
	;;#ASMSTART
	v_dot2_f32_f16 v60, v72, v64, v60
	;;#ASMEND
	s_nop 0
	;;#ASMSTART
	v_dot2_f32_f16 v60, v73, v65, v60
	;;#ASMEND
	;; [unrolled: 15-line block ×3, first 2 shown]
	ds_read_b128 v[62:65], v39 offset:144
	ds_read_b128 v[66:69], v40 offset:144
	;; [unrolled: 1-line block ×4, first 2 shown]
	s_waitcnt lgkmcnt(2)
	;;#ASMSTART
	v_dot2_f32_f16 v59, v66, v62, v59
	;;#ASMEND
	s_nop 0
	;;#ASMSTART
	v_dot2_f32_f16 v59, v67, v63, v59
	;;#ASMEND
	s_nop 0
	;; [unrolled: 4-line block ×3, first 2 shown]
	;;#ASMSTART
	v_dot2_f32_f16 v59, v69, v65, v59
	;;#ASMEND
	s_waitcnt lgkmcnt(0)
	;;#ASMSTART
	v_dot2_f32_f16 v57, v66, v74, v57
	;;#ASMEND
	s_nop 0
	;;#ASMSTART
	v_dot2_f32_f16 v57, v67, v75, v57
	;;#ASMEND
	s_nop 0
	;;#ASMSTART
	v_dot2_f32_f16 v57, v68, v76, v57
	;;#ASMEND
	s_nop 0
	;;#ASMSTART
	v_dot2_f32_f16 v57, v69, v77, v57
	;;#ASMEND
	;;#ASMSTART
	v_dot2_f32_f16 v60, v70, v62, v60
	;;#ASMEND
	s_nop 0
	;;#ASMSTART
	v_dot2_f32_f16 v60, v71, v63, v60
	;;#ASMEND
	s_nop 0
	;;#ASMSTART
	v_dot2_f32_f16 v60, v72, v64, v60
	;;#ASMEND
	s_nop 0
	;;#ASMSTART
	v_dot2_f32_f16 v60, v73, v65, v60
	;;#ASMEND
	;; [unrolled: 15-line block ×3, first 2 shown]
	ds_read_b128 v[62:65], v39 offset:160
	ds_read_b128 v[66:69], v40 offset:160
	;; [unrolled: 1-line block ×4, first 2 shown]
	s_waitcnt lgkmcnt(2)
	;;#ASMSTART
	v_dot2_f32_f16 v59, v66, v62, v59
	;;#ASMEND
	s_nop 0
	;;#ASMSTART
	v_dot2_f32_f16 v59, v67, v63, v59
	;;#ASMEND
	s_nop 0
	;; [unrolled: 4-line block ×3, first 2 shown]
	;;#ASMSTART
	v_dot2_f32_f16 v59, v69, v65, v59
	;;#ASMEND
	s_waitcnt lgkmcnt(0)
	;;#ASMSTART
	v_dot2_f32_f16 v57, v66, v74, v57
	;;#ASMEND
	s_nop 0
	;;#ASMSTART
	v_dot2_f32_f16 v57, v67, v75, v57
	;;#ASMEND
	s_nop 0
	;;#ASMSTART
	v_dot2_f32_f16 v57, v68, v76, v57
	;;#ASMEND
	s_nop 0
	;;#ASMSTART
	v_dot2_f32_f16 v57, v69, v77, v57
	;;#ASMEND
	;;#ASMSTART
	v_dot2_f32_f16 v60, v70, v62, v60
	;;#ASMEND
	s_nop 0
	;;#ASMSTART
	v_dot2_f32_f16 v60, v71, v63, v60
	;;#ASMEND
	s_nop 0
	;;#ASMSTART
	v_dot2_f32_f16 v60, v72, v64, v60
	;;#ASMEND
	s_nop 0
	;;#ASMSTART
	v_dot2_f32_f16 v60, v73, v65, v60
	;;#ASMEND
	;;#ASMSTART
	v_dot2_f32_f16 v58, v70, v74, v58
	;;#ASMEND
	s_nop 0
	;;#ASMSTART
	v_dot2_f32_f16 v58, v71, v75, v58
	;;#ASMEND
	s_nop 0
	;;#ASMSTART
	v_dot2_f32_f16 v58, v72, v76, v58
	;;#ASMEND
	s_nop 0
	;;#ASMSTART
	v_dot2_f32_f16 v58, v73, v77, v58
	;;#ASMEND
	ds_read_b128 v[62:65], v39 offset:176
	ds_read_b128 v[66:69], v40 offset:176
	;; [unrolled: 1-line block ×4, first 2 shown]
	s_waitcnt lgkmcnt(2)
	;;#ASMSTART
	v_dot2_f32_f16 v59, v66, v62, v59
	;;#ASMEND
	s_nop 0
	;;#ASMSTART
	v_dot2_f32_f16 v59, v67, v63, v59
	;;#ASMEND
	s_nop 0
	;;#ASMSTART
	v_dot2_f32_f16 v59, v68, v64, v59
	;;#ASMEND
	s_nop 0
	;;#ASMSTART
	v_dot2_f32_f16 v59, v69, v65, v59
	;;#ASMEND
	s_waitcnt lgkmcnt(0)
	;;#ASMSTART
	v_dot2_f32_f16 v57, v66, v74, v57
	;;#ASMEND
	s_nop 0
	;;#ASMSTART
	v_dot2_f32_f16 v57, v67, v75, v57
	;;#ASMEND
	s_nop 0
	;;#ASMSTART
	v_dot2_f32_f16 v57, v68, v76, v57
	;;#ASMEND
	s_nop 0
	;;#ASMSTART
	v_dot2_f32_f16 v57, v69, v77, v57
	;;#ASMEND
	;;#ASMSTART
	v_dot2_f32_f16 v60, v70, v62, v60
	;;#ASMEND
	s_nop 0
	;;#ASMSTART
	v_dot2_f32_f16 v60, v71, v63, v60
	;;#ASMEND
	s_nop 0
	;;#ASMSTART
	v_dot2_f32_f16 v60, v72, v64, v60
	;;#ASMEND
	s_nop 0
	;;#ASMSTART
	v_dot2_f32_f16 v60, v73, v65, v60
	;;#ASMEND
	;;#ASMSTART
	v_dot2_f32_f16 v58, v70, v74, v58
	;;#ASMEND
	s_nop 0
	;;#ASMSTART
	v_dot2_f32_f16 v58, v71, v75, v58
	;;#ASMEND
	s_nop 0
	;;#ASMSTART
	v_dot2_f32_f16 v58, v72, v76, v58
	;;#ASMEND
	s_nop 0
	;;#ASMSTART
	v_dot2_f32_f16 v58, v73, v77, v58
	;;#ASMEND
	ds_read_b128 v[62:65], v39 offset:192
	ds_read_b128 v[66:69], v40 offset:192
	;; [unrolled: 1-line block ×4, first 2 shown]
	s_waitcnt lgkmcnt(2)
	;;#ASMSTART
	v_dot2_f32_f16 v59, v66, v62, v59
	;;#ASMEND
	s_nop 0
	;;#ASMSTART
	v_dot2_f32_f16 v59, v67, v63, v59
	;;#ASMEND
	s_nop 0
	;; [unrolled: 4-line block ×3, first 2 shown]
	;;#ASMSTART
	v_dot2_f32_f16 v59, v69, v65, v59
	;;#ASMEND
	s_waitcnt lgkmcnt(0)
	;;#ASMSTART
	v_dot2_f32_f16 v57, v66, v74, v57
	;;#ASMEND
	s_nop 0
	;;#ASMSTART
	v_dot2_f32_f16 v57, v67, v75, v57
	;;#ASMEND
	s_nop 0
	;;#ASMSTART
	v_dot2_f32_f16 v57, v68, v76, v57
	;;#ASMEND
	s_nop 0
	;;#ASMSTART
	v_dot2_f32_f16 v57, v69, v77, v57
	;;#ASMEND
	;;#ASMSTART
	v_dot2_f32_f16 v60, v70, v62, v60
	;;#ASMEND
	s_nop 0
	;;#ASMSTART
	v_dot2_f32_f16 v60, v71, v63, v60
	;;#ASMEND
	s_nop 0
	;;#ASMSTART
	v_dot2_f32_f16 v60, v72, v64, v60
	;;#ASMEND
	s_nop 0
	;;#ASMSTART
	v_dot2_f32_f16 v60, v73, v65, v60
	;;#ASMEND
	;; [unrolled: 15-line block ×3, first 2 shown]
	ds_read_b128 v[62:65], v39 offset:208
	ds_read_b128 v[66:69], v40 offset:208
	;; [unrolled: 1-line block ×4, first 2 shown]
	s_waitcnt lgkmcnt(2)
	;;#ASMSTART
	v_dot2_f32_f16 v59, v66, v62, v59
	;;#ASMEND
	s_nop 0
	;;#ASMSTART
	v_dot2_f32_f16 v59, v67, v63, v59
	;;#ASMEND
	s_nop 0
	;; [unrolled: 4-line block ×3, first 2 shown]
	;;#ASMSTART
	v_dot2_f32_f16 v59, v69, v65, v59
	;;#ASMEND
	s_waitcnt lgkmcnt(0)
	;;#ASMSTART
	v_dot2_f32_f16 v57, v66, v74, v57
	;;#ASMEND
	s_nop 0
	;;#ASMSTART
	v_dot2_f32_f16 v57, v67, v75, v57
	;;#ASMEND
	s_nop 0
	;;#ASMSTART
	v_dot2_f32_f16 v57, v68, v76, v57
	;;#ASMEND
	s_nop 0
	;;#ASMSTART
	v_dot2_f32_f16 v57, v69, v77, v57
	;;#ASMEND
	;;#ASMSTART
	v_dot2_f32_f16 v60, v70, v62, v60
	;;#ASMEND
	s_nop 0
	;;#ASMSTART
	v_dot2_f32_f16 v60, v71, v63, v60
	;;#ASMEND
	s_nop 0
	;;#ASMSTART
	v_dot2_f32_f16 v60, v72, v64, v60
	;;#ASMEND
	s_nop 0
	;;#ASMSTART
	v_dot2_f32_f16 v60, v73, v65, v60
	;;#ASMEND
	;; [unrolled: 15-line block ×3, first 2 shown]
	ds_read_b128 v[62:65], v40 offset:224
	ds_read_b128 v[66:69], v39 offset:224
	;; [unrolled: 1-line block ×4, first 2 shown]
	s_waitcnt lgkmcnt(2)
	;;#ASMSTART
	v_dot2_f32_f16 v59, v62, v66, v59
	;;#ASMEND
	s_nop 0
	;;#ASMSTART
	v_dot2_f32_f16 v59, v63, v67, v59
	;;#ASMEND
	s_nop 0
	;; [unrolled: 4-line block ×3, first 2 shown]
	;;#ASMSTART
	v_dot2_f32_f16 v59, v65, v69, v59
	;;#ASMEND
	s_waitcnt lgkmcnt(0)
	;;#ASMSTART
	v_dot2_f32_f16 v57, v62, v74, v57
	;;#ASMEND
	s_nop 0
	;;#ASMSTART
	v_dot2_f32_f16 v57, v63, v75, v57
	;;#ASMEND
	s_nop 0
	;;#ASMSTART
	v_dot2_f32_f16 v57, v64, v76, v57
	;;#ASMEND
	s_nop 0
	;;#ASMSTART
	v_dot2_f32_f16 v57, v65, v77, v57
	;;#ASMEND
	;;#ASMSTART
	v_dot2_f32_f16 v60, v70, v66, v60
	;;#ASMEND
	s_nop 0
	;;#ASMSTART
	v_dot2_f32_f16 v60, v71, v67, v60
	;;#ASMEND
	s_nop 0
	;;#ASMSTART
	v_dot2_f32_f16 v60, v72, v68, v60
	;;#ASMEND
	s_nop 0
	;;#ASMSTART
	v_dot2_f32_f16 v60, v73, v69, v60
	;;#ASMEND
	;; [unrolled: 15-line block ×3, first 2 shown]
	ds_read_b128 v[62:65], v40 offset:240
	ds_read_b128 v[66:69], v39 offset:240
	;; [unrolled: 1-line block ×4, first 2 shown]
	s_waitcnt lgkmcnt(2)
	;;#ASMSTART
	v_dot2_f32_f16 v59, v62, v66, v59
	;;#ASMEND
	s_nop 0
	;;#ASMSTART
	v_dot2_f32_f16 v59, v63, v67, v59
	;;#ASMEND
	s_nop 0
	;; [unrolled: 4-line block ×3, first 2 shown]
	;;#ASMSTART
	v_dot2_f32_f16 v59, v65, v69, v59
	;;#ASMEND
	s_waitcnt lgkmcnt(0)
	;;#ASMSTART
	v_dot2_f32_f16 v57, v62, v74, v57
	;;#ASMEND
	v_mov_b32_e32 v62, 0
	;;#ASMSTART
	v_dot2_f32_f16 v57, v63, v75, v57
	;;#ASMEND
	s_nop 0
	;;#ASMSTART
	v_dot2_f32_f16 v57, v64, v76, v57
	;;#ASMEND
	s_nop 0
	;;#ASMSTART
	v_dot2_f32_f16 v57, v65, v77, v57
	;;#ASMEND
	;;#ASMSTART
	v_dot2_f32_f16 v60, v70, v66, v60
	;;#ASMEND
	s_nop 0
	;;#ASMSTART
	v_dot2_f32_f16 v60, v71, v67, v60
	;;#ASMEND
	s_nop 0
	;; [unrolled: 4-line block ×3, first 2 shown]
	;;#ASMSTART
	v_dot2_f32_f16 v60, v73, v69, v60
	;;#ASMEND
	;;#ASMSTART
	v_dot2_f32_f16 v58, v70, v74, v58
	;;#ASMEND
	s_nop 0
	;;#ASMSTART
	v_dot2_f32_f16 v58, v71, v75, v58
	;;#ASMEND
	s_nop 0
	;; [unrolled: 4-line block ×3, first 2 shown]
	;;#ASMSTART
	v_dot2_f32_f16 v58, v73, v77, v58
	;;#ASMEND
	s_cbranch_vccnz .LBB59_10
; %bb.9:                                ;   in Loop: Header=BB59_8 Depth=1
	v_lshl_add_u64 v[62:63], v[6:7], 1, s[36:37]
	global_load_ushort v62, v[62:63], off
	s_waitcnt vmcnt(0)
	v_cvt_f32_f16_e32 v62, v62
	v_mul_f32_e32 v62, v25, v62
.LBB59_10:                              ;   in Loop: Header=BB59_8 Depth=1
	v_mov_b32_e32 v63, 0
	s_and_b64 vcc, exec, s[4:5]
	v_mov_b32_e32 v65, 0
	s_cbranch_vccnz .LBB59_12
; %bb.11:                               ;   in Loop: Header=BB59_8 Depth=1
	v_lshl_add_u64 v[6:7], v[6:7], 1, s[36:37]
	global_load_ushort v6, v[6:7], off offset:64
	s_waitcnt vmcnt(0)
	v_cvt_f32_f16_e32 v6, v6
	v_mul_f32_e32 v65, v25, v6
.LBB59_12:                              ;   in Loop: Header=BB59_8 Depth=1
	v_and_b32_e32 v7, 0x60, v53
	v_add_f32_e32 v62, v59, v62
	v_add_u32_e32 v7, 32, v7
	v_xor_b32_e32 v59, 16, v53
	v_cmp_lt_i32_e32 vcc, v59, v7
	v_add_f32_e32 v6, 0x40051340, v62
	s_nop 0
	v_cndmask_b32_e32 v59, v53, v59, vcc
	v_lshlrev_b32_e32 v64, 2, v59
	v_add_f32_e32 v59, v60, v65
	v_add_f32_e32 v60, 0x40051340, v59
	v_max3_f32 v6, v56, v6, v60
	ds_bpermute_b32 v60, v64, v6
	v_xor_b32_e32 v65, 8, v53
	v_cmp_lt_i32_e32 vcc, v65, v7
	s_waitcnt lgkmcnt(0)
	v_max_f32_e32 v60, v60, v60
	v_cndmask_b32_e32 v65, v53, v65, vcc
	v_lshlrev_b32_e32 v67, 2, v65
	v_max_f32_e32 v6, v6, v60
	ds_bpermute_b32 v60, v67, v6
	v_xor_b32_e32 v65, 4, v53
	v_cmp_lt_i32_e32 vcc, v65, v7
	s_waitcnt lgkmcnt(0)
	v_max_f32_e32 v60, v60, v60
	v_cndmask_b32_e32 v65, v53, v65, vcc
	v_lshlrev_b32_e32 v66, 2, v65
	v_max_f32_e32 v6, v6, v60
	;; [unrolled: 8-line block ×3, first 2 shown]
	ds_bpermute_b32 v68, v65, v6
	v_xor_b32_e32 v60, 1, v53
	v_cmp_lt_i32_e32 vcc, v60, v7
	s_nop 1
	v_cndmask_b32_e32 v7, v53, v60, vcc
	v_lshlrev_b32_e32 v60, 2, v7
	s_waitcnt lgkmcnt(0)
	v_max_f32_e32 v7, v68, v68
	v_max_f32_e32 v68, v6, v7
	ds_bpermute_b32 v69, v60, v68
	v_add_u32_e32 v6, v61, v41
	s_and_b64 vcc, exec, s[4:5]
	v_ashrrev_i32_e32 v7, 31, v6
	s_cbranch_vccnz .LBB59_14
; %bb.13:                               ;   in Loop: Header=BB59_8 Depth=1
	v_lshl_add_u64 v[70:71], v[6:7], 1, s[36:37]
	global_load_ushort v61, v[70:71], off
	s_waitcnt vmcnt(0)
	v_cvt_f32_f16_e32 v61, v61
	v_mul_f32_e32 v63, v25, v61
.LBB59_14:                              ;   in Loop: Header=BB59_8 Depth=1
	s_and_b64 vcc, exec, s[4:5]
	s_cbranch_vccnz .LBB59_16
; %bb.15:                               ;   in Loop: Header=BB59_8 Depth=1
	v_lshl_add_u64 v[6:7], v[6:7], 1, s[36:37]
	global_load_ushort v6, v[6:7], off offset:64
	s_waitcnt vmcnt(0)
	v_cvt_f32_f16_e32 v6, v6
	v_mul_f32_e32 v6, v25, v6
	s_branch .LBB59_17
.LBB59_16:                              ;   in Loop: Header=BB59_8 Depth=1
	v_mov_b32_e32 v6, 0
.LBB59_17:                              ;   in Loop: Header=BB59_8 Depth=1
	v_add_f32_e32 v80, v57, v63
	v_add_f32_e32 v81, v58, v6
	;; [unrolled: 1-line block ×4, first 2 shown]
	v_max3_f32 v6, v55, v7, v6
	ds_bpermute_b32 v7, v64, v6
	s_waitcnt lgkmcnt(1)
	v_max_f32_e32 v57, v69, v69
	v_max_f32_e32 v58, v68, v68
	s_mul_hi_i32 s17, s40, s2
	s_mul_i32 s16, s40, s2
	s_waitcnt lgkmcnt(0)
	v_max_f32_e32 v7, v7, v7
	v_max_f32_e32 v7, v6, v7
	ds_bpermute_b32 v61, v67, v7
	v_max_f32_e32 v6, v58, v57
	v_sub_f32_e32 v82, v62, v6
	v_mul_f32_e32 v58, 0x3fb8aa3b, v82
	v_rndne_f32_e32 v62, v58
	s_waitcnt lgkmcnt(0)
	v_max_f32_e32 v57, v61, v61
	v_max_f32_e32 v7, v7, v57
	ds_bpermute_b32 v57, v66, v7
	v_fma_f32 v61, v82, s12, -v58
	v_fmac_f32_e32 v61, 0x32a5705f, v82
	v_sub_f32_e32 v58, v58, v62
	v_add_f32_e32 v58, v58, v61
	s_waitcnt lgkmcnt(0)
	v_max_f32_e32 v57, v57, v57
	v_max_f32_e32 v7, v7, v57
	ds_bpermute_b32 v57, v65, v7
	v_cvt_i32_f32_e32 v62, v62
	v_exp_f32_e32 v58, v58
	v_sub_f32_e32 v83, v56, v6
	v_sub_f32_e32 v84, v59, v6
	s_waitcnt lgkmcnt(0)
	v_max_f32_e32 v57, v57, v57
	v_max_f32_e32 v7, v7, v57
	ds_bpermute_b32 v57, v60, v7
	v_ldexp_f32 v85, v58, v62
	s_lshl_b64 s[16:17], s[16:17], 2
	s_add_u32 s16, s22, s16
	s_addc_u32 s17, s23, s17
	s_waitcnt lgkmcnt(0)
	v_max_f32_e32 v56, v57, v57
	v_max_f32_e32 v7, v7, v56
	v_mul_f32_e32 v56, 0x3fb8aa3b, v84
	v_fma_f32 v57, v84, s12, -v56
	v_rndne_f32_e32 v58, v56
	v_fmac_f32_e32 v57, 0x32a5705f, v84
	v_sub_f32_e32 v56, v56, v58
	v_add_f32_e32 v56, v56, v57
	v_exp_f32_e32 v86, v56
	v_lshl_add_u64 v[56:57], v[16:17], 2, s[16:17]
	v_lshl_add_u64 v[72:73], v[56:57], 0, v[2:3]
	;; [unrolled: 1-line block ×7, first 2 shown]
	s_barrier
	v_cvt_i32_f32_e32 v87, v58
	v_lshl_add_u64 v[78:79], v[56:57], 0, v[2:3]
	global_load_dwordx4 v[56:59], v[72:73], off
	global_load_dwordx4 v[60:63], v[74:75], off
	;; [unrolled: 1-line block ×4, first 2 shown]
	v_mul_f32_e32 v74, 0x3fb8aa3b, v83
	v_fma_f32 v75, v83, s12, -v74
	v_rndne_f32_e32 v76, v74
	v_fmac_f32_e32 v75, 0x32a5705f, v83
	v_sub_f32_e32 v74, v74, v76
	v_add_f32_e32 v74, v74, v75
	v_cmp_ngt_f32_e32 vcc, s13, v82
	v_exp_f32_e32 v75, v74
	v_cvt_i32_f32_e32 v76, v76
	v_cndmask_b32_e32 v72, 0, v85, vcc
	v_cmp_nlt_f32_e32 vcc, s14, v82
	v_ldexp_f32 v73, v86, v87
	v_sub_f32_e32 v55, v55, v7
	v_cndmask_b32_e32 v72, v54, v72, vcc
	v_cmp_ngt_f32_e32 vcc, s13, v84
	s_nop 1
	v_cndmask_b32_e32 v73, 0, v73, vcc
	v_cmp_nlt_f32_e32 vcc, s14, v84
	s_nop 1
	v_cndmask_b32_e32 v74, v54, v73, vcc
	v_ldexp_f32 v73, v75, v76
	v_sub_f32_e32 v75, v80, v7
	v_mul_f32_e32 v77, 0x3fb8aa3b, v75
	v_cmp_ngt_f32_e32 vcc, s13, v83
	v_fma_f32 v78, v75, s12, -v77
	v_rndne_f32_e32 v79, v77
	v_cndmask_b32_e32 v73, 0, v73, vcc
	v_cmp_nlt_f32_e32 vcc, s14, v83
	v_fmac_f32_e32 v78, 0x32a5705f, v75
	v_sub_f32_e32 v77, v77, v79
	v_cndmask_b32_e32 v76, v54, v73, vcc
	v_add_f32_e32 v77, v77, v78
	v_cvt_f16_f32_e32 v73, v76
	v_exp_f32_e32 v77, v77
	v_cvt_i32_f32_e32 v78, v79
	v_cmp_ngt_f32_e32 vcc, s13, v75
	v_mul_u32_u24_e32 v80, 0x10001, v73
	v_pk_mul_f16 v27, v27, v80
	v_ldexp_f32 v73, v77, v78
	v_cndmask_b32_e32 v73, 0, v73, vcc
	v_cmp_nlt_f32_e32 vcc, s14, v75
	v_sub_f32_e32 v75, v81, v7
	v_mul_f32_e32 v77, 0x3fb8aa3b, v75
	v_fma_f32 v78, v75, s12, -v77
	v_rndne_f32_e32 v79, v77
	v_fmac_f32_e32 v78, 0x32a5705f, v75
	v_sub_f32_e32 v77, v77, v79
	v_add_f32_e32 v77, v77, v78
	v_cvt_i32_f32_e32 v78, v79
	v_mul_f32_e32 v79, 0x3fb8aa3b, v55
	v_fma_f32 v81, v55, s12, -v79
	v_rndne_f32_e32 v82, v79
	v_fmac_f32_e32 v81, 0x32a5705f, v55
	v_sub_f32_e32 v79, v79, v82
	v_exp_f32_e32 v77, v77
	v_add_f32_e32 v79, v79, v81
	v_exp_f32_e32 v79, v79
	v_cvt_i32_f32_e32 v81, v82
	v_cndmask_b32_e32 v73, v54, v73, vcc
	v_ldexp_f32 v77, v77, v78
	v_cmp_ngt_f32_e32 vcc, s13, v75
	s_nop 1
	v_cndmask_b32_e32 v78, 0, v77, vcc
	v_ldexp_f32 v77, v79, v81
	v_cmp_ngt_f32_e32 vcc, s13, v55
	s_nop 1
	v_cndmask_b32_e32 v77, 0, v77, vcc
	v_cmp_nlt_f32_e32 vcc, s14, v55
	s_nop 1
	v_cndmask_b32_e32 v77, v54, v77, vcc
	v_cmp_nlt_f32_e32 vcc, s14, v75
	v_cvt_f16_f32_e32 v55, v77
	v_mul_u32_u24_e32 v55, 0x10001, v55
	v_cndmask_b32_e32 v75, v54, v78, vcc
	v_pk_add_f32 v[78:79], v[72:73], v[74:75]
	v_cvt_pk_f16_f32 v72, v72, v73
	v_pk_fma_f32 v[4:5], v[4:5], v[76:77], v[78:79]
	v_add_u32_e32 v76, v48, v45
	v_cvt_pk_f16_f32 v73, v74, v75
	ds_write2_b32 v76, v72, v73 offset1:32
	s_waitcnt vmcnt(3)
	ds_write_b128 v49, v[56:59]
	s_waitcnt vmcnt(2)
	ds_write_b128 v50, v[60:63]
	;; [unrolled: 2-line block ×4, first 2 shown]
	s_waitcnt lgkmcnt(0)
	s_barrier
	ds_read_b128 v[56:59], v48
	ds_read2_b64 v[60:63], v47 offset1:32
	ds_read_b128 v[64:67], v48 offset:16
	ds_read_b128 v[68:71], v48 offset:32
	;; [unrolled: 1-line block ×3, first 2 shown]
	s_waitcnt lgkmcnt(4)
	v_mul_u32_u24_sdwa v76, v56, s15 dst_sel:DWORD dst_unused:UNUSED_PAD src0_sel:WORD_0 src1_sel:DWORD
	v_mul_u32_u24_sdwa v56, v56, s15 dst_sel:DWORD dst_unused:UNUSED_PAD src0_sel:WORD_1 src1_sel:DWORD
	s_waitcnt lgkmcnt(3)
	v_pk_mul_f16 v77, v60, v76
	v_pk_mul_f16 v60, v60, v56
	v_pk_mul_f16 v26, v26, v55
	v_pk_fma_f16 v29, v29, v80, v77
	v_pk_fma_f16 v28, v28, v55, v60
	v_mul_u32_u24_sdwa v60, v57, s15 dst_sel:DWORD dst_unused:UNUSED_PAD src0_sel:WORD_0 src1_sel:DWORD
	v_mul_u32_u24_sdwa v57, v57, s15 dst_sel:DWORD dst_unused:UNUSED_PAD src0_sel:WORD_1 src1_sel:DWORD
	v_pk_fma_f16 v55, v61, v76, v27
	v_pk_fma_f16 v56, v61, v56, v26
	v_pk_fma_f16 v61, v62, v60, v29
	v_pk_fma_f16 v62, v62, v57, v28
	ds_read2_b64 v[26:29], v47 offset0:64 offset1:96
	v_pk_fma_f16 v55, v63, v60, v55
	v_pk_fma_f16 v56, v63, v57, v56
	v_mul_u32_u24_sdwa v57, v58, s15 dst_sel:DWORD dst_unused:UNUSED_PAD src0_sel:WORD_0 src1_sel:DWORD
	v_mul_u32_u24_sdwa v58, v58, s15 dst_sel:DWORD dst_unused:UNUSED_PAD src0_sel:WORD_1 src1_sel:DWORD
	s_waitcnt lgkmcnt(0)
	v_pk_fma_f16 v60, v26, v57, v61
	v_pk_fma_f16 v26, v26, v58, v62
	;; [unrolled: 1-line block ×4, first 2 shown]
	v_mul_u32_u24_sdwa v61, v59, s15 dst_sel:DWORD dst_unused:UNUSED_PAD src0_sel:WORD_0 src1_sel:DWORD
	v_mul_u32_u24_sdwa v62, v59, s15 dst_sel:DWORD dst_unused:UNUSED_PAD src0_sel:WORD_1 src1_sel:DWORD
	ds_read2_b64 v[56:59], v47 offset0:128 offset1:160
	v_pk_fma_f16 v60, v28, v61, v60
	v_pk_fma_f16 v26, v28, v62, v26
	;; [unrolled: 1-line block ×4, first 2 shown]
	v_mul_u32_u24_sdwa v29, v64, s15 dst_sel:DWORD dst_unused:UNUSED_PAD src0_sel:WORD_0 src1_sel:DWORD
	v_mul_u32_u24_sdwa v55, v64, s15 dst_sel:DWORD dst_unused:UNUSED_PAD src0_sel:WORD_1 src1_sel:DWORD
	s_waitcnt lgkmcnt(0)
	v_pk_fma_f16 v60, v56, v29, v60
	v_pk_fma_f16 v26, v56, v55, v26
	v_pk_fma_f16 v56, v57, v29, v28
	v_pk_fma_f16 v55, v57, v55, v27
	v_mul_u32_u24_sdwa v57, v65, s15 dst_sel:DWORD dst_unused:UNUSED_PAD src0_sel:WORD_0 src1_sel:DWORD
	v_mul_u32_u24_sdwa v61, v65, s15 dst_sel:DWORD dst_unused:UNUSED_PAD src0_sel:WORD_1 src1_sel:DWORD
	v_pk_fma_f16 v60, v58, v57, v60
	v_pk_fma_f16 v58, v58, v61, v26
	ds_read2_b64 v[26:29], v47 offset0:192 offset1:224
	v_pk_fma_f16 v56, v59, v57, v56
	v_pk_fma_f16 v55, v59, v61, v55
	v_mul_u32_u24_sdwa v57, v66, s15 dst_sel:DWORD dst_unused:UNUSED_PAD src0_sel:WORD_0 src1_sel:DWORD
	v_mul_u32_u24_sdwa v59, v66, s15 dst_sel:DWORD dst_unused:UNUSED_PAD src0_sel:WORD_1 src1_sel:DWORD
	v_add_u32_e32 v63, 0x800, v47
	s_waitcnt lgkmcnt(0)
	v_pk_fma_f16 v60, v26, v57, v60
	v_pk_fma_f16 v26, v26, v59, v58
	;; [unrolled: 1-line block ×4, first 2 shown]
	ds_read2_b64 v[56:59], v63 offset1:32
	v_mul_u32_u24_sdwa v55, v67, s15 dst_sel:DWORD dst_unused:UNUSED_PAD src0_sel:WORD_0 src1_sel:DWORD
	v_mul_u32_u24_sdwa v62, v67, s15 dst_sel:DWORD dst_unused:UNUSED_PAD src0_sel:WORD_1 src1_sel:DWORD
	v_pk_fma_f16 v60, v28, v55, v60
	v_pk_fma_f16 v26, v28, v62, v26
	;; [unrolled: 1-line block ×4, first 2 shown]
	v_mul_u32_u24_sdwa v29, v68, s15 dst_sel:DWORD dst_unused:UNUSED_PAD src0_sel:WORD_0 src1_sel:DWORD
	v_mul_u32_u24_sdwa v55, v68, s15 dst_sel:DWORD dst_unused:UNUSED_PAD src0_sel:WORD_1 src1_sel:DWORD
	s_waitcnt lgkmcnt(0)
	v_pk_fma_f16 v60, v56, v29, v60
	v_pk_fma_f16 v26, v56, v55, v26
	;; [unrolled: 1-line block ×4, first 2 shown]
	v_mul_u32_u24_sdwa v57, v69, s15 dst_sel:DWORD dst_unused:UNUSED_PAD src0_sel:WORD_0 src1_sel:DWORD
	v_mul_u32_u24_sdwa v61, v69, s15 dst_sel:DWORD dst_unused:UNUSED_PAD src0_sel:WORD_1 src1_sel:DWORD
	v_pk_fma_f16 v60, v58, v57, v60
	v_pk_fma_f16 v58, v58, v61, v26
	ds_read2_b64 v[26:29], v63 offset0:64 offset1:96
	v_pk_fma_f16 v56, v59, v57, v56
	v_pk_fma_f16 v55, v59, v61, v55
	v_mul_u32_u24_sdwa v57, v70, s15 dst_sel:DWORD dst_unused:UNUSED_PAD src0_sel:WORD_0 src1_sel:DWORD
	v_mul_u32_u24_sdwa v59, v70, s15 dst_sel:DWORD dst_unused:UNUSED_PAD src0_sel:WORD_1 src1_sel:DWORD
	s_waitcnt lgkmcnt(0)
	v_pk_fma_f16 v60, v26, v57, v60
	v_pk_fma_f16 v26, v26, v59, v58
	;; [unrolled: 1-line block ×4, first 2 shown]
	ds_read2_b64 v[56:59], v63 offset0:128 offset1:160
	v_mul_u32_u24_sdwa v55, v71, s15 dst_sel:DWORD dst_unused:UNUSED_PAD src0_sel:WORD_0 src1_sel:DWORD
	v_mul_u32_u24_sdwa v62, v71, s15 dst_sel:DWORD dst_unused:UNUSED_PAD src0_sel:WORD_1 src1_sel:DWORD
	v_pk_fma_f16 v60, v28, v55, v60
	v_pk_fma_f16 v26, v28, v62, v26
	;; [unrolled: 1-line block ×4, first 2 shown]
	v_mul_u32_u24_sdwa v29, v72, s15 dst_sel:DWORD dst_unused:UNUSED_PAD src0_sel:WORD_0 src1_sel:DWORD
	v_mul_u32_u24_sdwa v55, v72, s15 dst_sel:DWORD dst_unused:UNUSED_PAD src0_sel:WORD_1 src1_sel:DWORD
	s_waitcnt lgkmcnt(0)
	v_pk_fma_f16 v60, v56, v29, v60
	v_pk_fma_f16 v26, v56, v55, v26
	;; [unrolled: 1-line block ×4, first 2 shown]
	v_mul_u32_u24_sdwa v57, v73, s15 dst_sel:DWORD dst_unused:UNUSED_PAD src0_sel:WORD_0 src1_sel:DWORD
	v_mul_u32_u24_sdwa v61, v73, s15 dst_sel:DWORD dst_unused:UNUSED_PAD src0_sel:WORD_1 src1_sel:DWORD
	v_pk_fma_f16 v60, v58, v57, v60
	v_pk_fma_f16 v58, v58, v61, v26
	ds_read2_b64 v[26:29], v63 offset0:192 offset1:224
	v_pk_fma_f16 v56, v59, v57, v56
	v_pk_fma_f16 v55, v59, v61, v55
	v_mul_u32_u24_sdwa v57, v74, s15 dst_sel:DWORD dst_unused:UNUSED_PAD src0_sel:WORD_0 src1_sel:DWORD
	v_mul_u32_u24_sdwa v59, v74, s15 dst_sel:DWORD dst_unused:UNUSED_PAD src0_sel:WORD_1 src1_sel:DWORD
	s_waitcnt lgkmcnt(0)
	v_pk_fma_f16 v60, v26, v57, v60
	v_pk_fma_f16 v56, v27, v57, v56
	v_pk_fma_f16 v27, v27, v59, v55
	v_mul_u32_u24_sdwa v55, v75, s15 dst_sel:DWORD dst_unused:UNUSED_PAD src0_sel:WORD_0 src1_sel:DWORD
	v_pk_fma_f16 v26, v26, v59, v58
	v_pk_fma_f16 v65, v28, v55, v60
	;; [unrolled: 1-line block ×3, first 2 shown]
	ds_read_b128 v[56:59], v48 offset:64
	v_add_u32_e32 v68, 0x1000, v47
	ds_read2_b64 v[60:63], v68 offset1:32
	v_mul_u32_u24_sdwa v64, v75, s15 dst_sel:DWORD dst_unused:UNUSED_PAD src0_sel:WORD_1 src1_sel:DWORD
	v_pk_fma_f16 v66, v28, v64, v26
	v_pk_fma_f16 v64, v29, v64, v27
	ds_read_b128 v[26:29], v48 offset:80
	s_waitcnt lgkmcnt(2)
	v_mul_u32_u24_sdwa v67, v56, s15 dst_sel:DWORD dst_unused:UNUSED_PAD src0_sel:WORD_0 src1_sel:DWORD
	v_mul_u32_u24_sdwa v56, v56, s15 dst_sel:DWORD dst_unused:UNUSED_PAD src0_sel:WORD_1 src1_sel:DWORD
	s_waitcnt lgkmcnt(1)
	v_pk_fma_f16 v65, v60, v67, v65
	v_pk_fma_f16 v60, v60, v56, v66
	;; [unrolled: 1-line block ×4, first 2 shown]
	v_mul_u32_u24_sdwa v61, v57, s15 dst_sel:DWORD dst_unused:UNUSED_PAD src0_sel:WORD_0 src1_sel:DWORD
	v_pk_fma_f16 v69, v62, v61, v65
	ds_read2_b64 v[64:67], v68 offset0:64 offset1:96
	v_mul_u32_u24_sdwa v57, v57, s15 dst_sel:DWORD dst_unused:UNUSED_PAD src0_sel:WORD_1 src1_sel:DWORD
	v_pk_fma_f16 v60, v62, v57, v60
	v_pk_fma_f16 v55, v63, v61, v55
	;; [unrolled: 1-line block ×3, first 2 shown]
	v_mul_u32_u24_sdwa v57, v58, s15 dst_sel:DWORD dst_unused:UNUSED_PAD src0_sel:WORD_0 src1_sel:DWORD
	v_mul_u32_u24_sdwa v58, v58, s15 dst_sel:DWORD dst_unused:UNUSED_PAD src0_sel:WORD_1 src1_sel:DWORD
	s_waitcnt lgkmcnt(0)
	v_pk_fma_f16 v61, v64, v57, v69
	v_pk_fma_f16 v60, v64, v58, v60
	v_pk_fma_f16 v55, v65, v57, v55
	v_pk_fma_f16 v62, v65, v58, v56
	v_mul_u32_u24_sdwa v63, v59, s15 dst_sel:DWORD dst_unused:UNUSED_PAD src0_sel:WORD_0 src1_sel:DWORD
	v_mul_u32_u24_sdwa v64, v59, s15 dst_sel:DWORD dst_unused:UNUSED_PAD src0_sel:WORD_1 src1_sel:DWORD
	ds_read2_b64 v[56:59], v68 offset0:128 offset1:160
	v_pk_fma_f16 v61, v66, v63, v61
	v_pk_fma_f16 v60, v66, v64, v60
	;; [unrolled: 1-line block ×4, first 2 shown]
	v_mul_u32_u24_sdwa v63, v26, s15 dst_sel:DWORD dst_unused:UNUSED_PAD src0_sel:WORD_0 src1_sel:DWORD
	v_mul_u32_u24_sdwa v26, v26, s15 dst_sel:DWORD dst_unused:UNUSED_PAD src0_sel:WORD_1 src1_sel:DWORD
	s_waitcnt lgkmcnt(0)
	v_pk_fma_f16 v61, v56, v63, v61
	v_pk_fma_f16 v56, v56, v26, v60
	;; [unrolled: 1-line block ×4, first 2 shown]
	v_mul_u32_u24_sdwa v57, v27, s15 dst_sel:DWORD dst_unused:UNUSED_PAD src0_sel:WORD_0 src1_sel:DWORD
	v_pk_fma_f16 v64, v58, v57, v61
	ds_read2_b64 v[60:63], v68 offset0:192 offset1:224
	v_mul_u32_u24_sdwa v27, v27, s15 dst_sel:DWORD dst_unused:UNUSED_PAD src0_sel:WORD_1 src1_sel:DWORD
	v_pk_fma_f16 v56, v58, v27, v56
	v_pk_fma_f16 v55, v59, v57, v55
	v_pk_fma_f16 v26, v59, v27, v26
	v_mul_u32_u24_sdwa v27, v28, s15 dst_sel:DWORD dst_unused:UNUSED_PAD src0_sel:WORD_0 src1_sel:DWORD
	v_mul_u32_u24_sdwa v28, v28, s15 dst_sel:DWORD dst_unused:UNUSED_PAD src0_sel:WORD_1 src1_sel:DWORD
	s_waitcnt lgkmcnt(0)
	v_pk_fma_f16 v57, v60, v27, v64
	v_pk_fma_f16 v27, v61, v27, v55
	;; [unrolled: 1-line block ×3, first 2 shown]
	v_mul_u32_u24_sdwa v26, v29, s15 dst_sel:DWORD dst_unused:UNUSED_PAD src0_sel:WORD_0 src1_sel:DWORD
	v_pk_fma_f16 v56, v60, v28, v56
	v_mul_u32_u24_sdwa v60, v29, s15 dst_sel:DWORD dst_unused:UNUSED_PAD src0_sel:WORD_1 src1_sel:DWORD
	v_pk_fma_f16 v64, v62, v26, v57
	v_pk_fma_f16 v66, v63, v26, v27
	ds_read_b128 v[26:29], v48 offset:96
	v_add_u32_e32 v68, 0x1800, v47
	v_pk_fma_f16 v65, v62, v60, v56
	ds_read2_b64 v[56:59], v68 offset1:32
	v_pk_fma_f16 v55, v63, v60, v55
	ds_read_b128 v[60:63], v48 offset:112
	s_waitcnt lgkmcnt(2)
	v_mul_u32_u24_sdwa v67, v26, s15 dst_sel:DWORD dst_unused:UNUSED_PAD src0_sel:WORD_0 src1_sel:DWORD
	v_mul_u32_u24_sdwa v26, v26, s15 dst_sel:DWORD dst_unused:UNUSED_PAD src0_sel:WORD_1 src1_sel:DWORD
	s_waitcnt lgkmcnt(1)
	v_pk_fma_f16 v64, v56, v67, v64
	v_pk_fma_f16 v56, v56, v26, v65
	v_pk_fma_f16 v26, v57, v26, v55
	v_mul_u32_u24_sdwa v55, v27, s15 dst_sel:DWORD dst_unused:UNUSED_PAD src0_sel:WORD_0 src1_sel:DWORD
	v_pk_fma_f16 v69, v57, v67, v66
	v_pk_fma_f16 v57, v58, v55, v64
	ds_read2_b64 v[64:67], v68 offset0:64 offset1:96
	v_mul_u32_u24_sdwa v27, v27, s15 dst_sel:DWORD dst_unused:UNUSED_PAD src0_sel:WORD_1 src1_sel:DWORD
	v_pk_fma_f16 v56, v58, v27, v56
	v_pk_fma_f16 v55, v59, v55, v69
	v_pk_fma_f16 v26, v59, v27, v26
	v_mul_u32_u24_sdwa v27, v28, s15 dst_sel:DWORD dst_unused:UNUSED_PAD src0_sel:WORD_0 src1_sel:DWORD
	v_mul_u32_u24_sdwa v28, v28, s15 dst_sel:DWORD dst_unused:UNUSED_PAD src0_sel:WORD_1 src1_sel:DWORD
	s_waitcnt lgkmcnt(0)
	v_pk_fma_f16 v57, v64, v27, v57
	v_pk_fma_f16 v56, v64, v28, v56
	v_pk_fma_f16 v55, v65, v27, v55
	v_pk_fma_f16 v58, v65, v28, v26
	v_mul_u32_u24_sdwa v59, v29, s15 dst_sel:DWORD dst_unused:UNUSED_PAD src0_sel:WORD_0 src1_sel:DWORD
	v_mul_u32_u24_sdwa v64, v29, s15 dst_sel:DWORD dst_unused:UNUSED_PAD src0_sel:WORD_1 src1_sel:DWORD
	ds_read2_b64 v[26:29], v68 offset0:128 offset1:160
	v_pk_fma_f16 v57, v66, v59, v57
	v_pk_fma_f16 v56, v66, v64, v56
	v_pk_fma_f16 v55, v67, v59, v55
	v_pk_fma_f16 v58, v67, v64, v58
	v_mul_u32_u24_sdwa v59, v60, s15 dst_sel:DWORD dst_unused:UNUSED_PAD src0_sel:WORD_0 src1_sel:DWORD
	v_mul_u32_u24_sdwa v60, v60, s15 dst_sel:DWORD dst_unused:UNUSED_PAD src0_sel:WORD_1 src1_sel:DWORD
	s_waitcnt lgkmcnt(0)
	v_pk_fma_f16 v57, v26, v59, v57
	v_pk_fma_f16 v26, v26, v60, v56
	v_pk_fma_f16 v55, v27, v59, v55
	v_pk_fma_f16 v27, v27, v60, v58
	v_mul_u32_u24_sdwa v60, v61, s15 dst_sel:DWORD dst_unused:UNUSED_PAD src0_sel:WORD_0 src1_sel:DWORD
	v_pk_fma_f16 v64, v28, v60, v57
	ds_read2_b64 v[56:59], v68 offset0:192 offset1:224
	v_mul_u32_u24_sdwa v61, v61, s15 dst_sel:DWORD dst_unused:UNUSED_PAD src0_sel:WORD_1 src1_sel:DWORD
	v_pk_fma_f16 v26, v28, v61, v26
	v_pk_fma_f16 v28, v29, v60, v55
	v_pk_fma_f16 v27, v29, v61, v27
	v_mul_u32_u24_sdwa v29, v62, s15 dst_sel:DWORD dst_unused:UNUSED_PAD src0_sel:WORD_0 src1_sel:DWORD
	v_mul_u32_u24_sdwa v55, v62, s15 dst_sel:DWORD dst_unused:UNUSED_PAD src0_sel:WORD_1 src1_sel:DWORD
	s_waitcnt lgkmcnt(0)
	v_pk_fma_f16 v60, v56, v29, v64
	v_pk_fma_f16 v26, v56, v55, v26
	v_pk_fma_f16 v28, v57, v29, v28
	v_pk_fma_f16 v55, v57, v55, v27
	v_mul_u32_u24_sdwa v27, v63, s15 dst_sel:DWORD dst_unused:UNUSED_PAD src0_sel:WORD_0 src1_sel:DWORD
	v_mul_u32_u24_sdwa v56, v63, s15 dst_sel:DWORD dst_unused:UNUSED_PAD src0_sel:WORD_1 src1_sel:DWORD
	v_pk_fma_f16 v64, v58, v27, v60
	v_pk_fma_f16 v65, v58, v56, v26
	v_pk_fma_f16 v66, v59, v27, v28
	ds_read_b128 v[26:29], v48 offset:128
	v_add_u32_e32 v68, 0x2000, v47
	ds_read2_b64 v[60:63], v68 offset1:32
	v_pk_fma_f16 v55, v59, v56, v55
	ds_read_b128 v[56:59], v48 offset:144
	s_waitcnt lgkmcnt(2)
	v_mul_u32_u24_sdwa v67, v26, s15 dst_sel:DWORD dst_unused:UNUSED_PAD src0_sel:WORD_0 src1_sel:DWORD
	v_mul_u32_u24_sdwa v26, v26, s15 dst_sel:DWORD dst_unused:UNUSED_PAD src0_sel:WORD_1 src1_sel:DWORD
	s_waitcnt lgkmcnt(1)
	v_pk_fma_f16 v64, v60, v67, v64
	v_pk_fma_f16 v60, v60, v26, v65
	v_pk_fma_f16 v26, v61, v26, v55
	v_mul_u32_u24_sdwa v55, v27, s15 dst_sel:DWORD dst_unused:UNUSED_PAD src0_sel:WORD_0 src1_sel:DWORD
	v_pk_fma_f16 v69, v61, v67, v66
	v_pk_fma_f16 v61, v62, v55, v64
	ds_read2_b64 v[64:67], v68 offset0:64 offset1:96
	v_mul_u32_u24_sdwa v27, v27, s15 dst_sel:DWORD dst_unused:UNUSED_PAD src0_sel:WORD_1 src1_sel:DWORD
	v_pk_fma_f16 v60, v62, v27, v60
	v_pk_fma_f16 v55, v63, v55, v69
	v_pk_fma_f16 v26, v63, v27, v26
	v_mul_u32_u24_sdwa v27, v28, s15 dst_sel:DWORD dst_unused:UNUSED_PAD src0_sel:WORD_0 src1_sel:DWORD
	v_mul_u32_u24_sdwa v28, v28, s15 dst_sel:DWORD dst_unused:UNUSED_PAD src0_sel:WORD_1 src1_sel:DWORD
	s_waitcnt lgkmcnt(0)
	v_pk_fma_f16 v61, v64, v27, v61
	v_pk_fma_f16 v60, v64, v28, v60
	v_pk_fma_f16 v55, v65, v27, v55
	v_pk_fma_f16 v62, v65, v28, v26
	v_mul_u32_u24_sdwa v63, v29, s15 dst_sel:DWORD dst_unused:UNUSED_PAD src0_sel:WORD_0 src1_sel:DWORD
	v_mul_u32_u24_sdwa v64, v29, s15 dst_sel:DWORD dst_unused:UNUSED_PAD src0_sel:WORD_1 src1_sel:DWORD
	ds_read2_b64 v[26:29], v68 offset0:128 offset1:160
	v_pk_fma_f16 v61, v66, v63, v61
	v_pk_fma_f16 v60, v66, v64, v60
	v_pk_fma_f16 v55, v67, v63, v55
	v_pk_fma_f16 v62, v67, v64, v62
	v_mul_u32_u24_sdwa v63, v56, s15 dst_sel:DWORD dst_unused:UNUSED_PAD src0_sel:WORD_0 src1_sel:DWORD
	v_mul_u32_u24_sdwa v56, v56, s15 dst_sel:DWORD dst_unused:UNUSED_PAD src0_sel:WORD_1 src1_sel:DWORD
	s_waitcnt lgkmcnt(0)
	v_pk_fma_f16 v61, v26, v63, v61
	v_pk_fma_f16 v26, v26, v56, v60
	v_pk_fma_f16 v55, v27, v63, v55
	v_pk_fma_f16 v27, v27, v56, v62
	v_mul_u32_u24_sdwa v56, v57, s15 dst_sel:DWORD dst_unused:UNUSED_PAD src0_sel:WORD_0 src1_sel:DWORD
	v_pk_fma_f16 v64, v28, v56, v61
	ds_read2_b64 v[60:63], v68 offset0:192 offset1:224
	v_mul_u32_u24_sdwa v57, v57, s15 dst_sel:DWORD dst_unused:UNUSED_PAD src0_sel:WORD_1 src1_sel:DWORD
	v_pk_fma_f16 v26, v28, v57, v26
	v_pk_fma_f16 v28, v29, v56, v55
	v_pk_fma_f16 v27, v29, v57, v27
	v_mul_u32_u24_sdwa v29, v58, s15 dst_sel:DWORD dst_unused:UNUSED_PAD src0_sel:WORD_0 src1_sel:DWORD
	v_mul_u32_u24_sdwa v55, v58, s15 dst_sel:DWORD dst_unused:UNUSED_PAD src0_sel:WORD_1 src1_sel:DWORD
	s_waitcnt lgkmcnt(0)
	v_pk_fma_f16 v56, v60, v29, v64
	v_pk_fma_f16 v26, v60, v55, v26
	v_pk_fma_f16 v28, v61, v29, v28
	v_pk_fma_f16 v55, v61, v55, v27
	v_mul_u32_u24_sdwa v27, v59, s15 dst_sel:DWORD dst_unused:UNUSED_PAD src0_sel:WORD_0 src1_sel:DWORD
	v_mul_u32_u24_sdwa v60, v59, s15 dst_sel:DWORD dst_unused:UNUSED_PAD src0_sel:WORD_1 src1_sel:DWORD
	v_pk_fma_f16 v64, v62, v27, v56
	v_pk_fma_f16 v65, v62, v60, v26
	v_pk_fma_f16 v66, v63, v27, v28
	ds_read_b128 v[26:29], v48 offset:160
	v_add_u32_e32 v68, 0x2800, v47
	;; [unrolled: 60-line block ×4, first 2 shown]
	ds_read2_b64 v[56:59], v68 offset1:32
	v_pk_fma_f16 v55, v63, v60, v55
	ds_read_b128 v[60:63], v48 offset:240
	s_waitcnt lgkmcnt(2)
	v_mul_u32_u24_sdwa v67, v26, s15 dst_sel:DWORD dst_unused:UNUSED_PAD src0_sel:WORD_0 src1_sel:DWORD
	v_mul_u32_u24_sdwa v26, v26, s15 dst_sel:DWORD dst_unused:UNUSED_PAD src0_sel:WORD_1 src1_sel:DWORD
	s_waitcnt lgkmcnt(1)
	v_pk_fma_f16 v64, v56, v67, v64
	v_pk_fma_f16 v56, v56, v26, v65
	v_pk_fma_f16 v26, v57, v26, v55
	v_mul_u32_u24_sdwa v55, v27, s15 dst_sel:DWORD dst_unused:UNUSED_PAD src0_sel:WORD_0 src1_sel:DWORD
	v_pk_fma_f16 v69, v57, v67, v66
	v_pk_fma_f16 v57, v58, v55, v64
	ds_read2_b64 v[64:67], v68 offset0:64 offset1:96
	v_mul_u32_u24_sdwa v27, v27, s15 dst_sel:DWORD dst_unused:UNUSED_PAD src0_sel:WORD_1 src1_sel:DWORD
	v_pk_fma_f16 v56, v58, v27, v56
	v_pk_fma_f16 v55, v59, v55, v69
	;; [unrolled: 1-line block ×3, first 2 shown]
	v_mul_u32_u24_sdwa v27, v28, s15 dst_sel:DWORD dst_unused:UNUSED_PAD src0_sel:WORD_0 src1_sel:DWORD
	v_mul_u32_u24_sdwa v28, v28, s15 dst_sel:DWORD dst_unused:UNUSED_PAD src0_sel:WORD_1 src1_sel:DWORD
	s_waitcnt lgkmcnt(0)
	v_pk_fma_f16 v57, v64, v27, v57
	v_pk_fma_f16 v56, v64, v28, v56
	v_pk_fma_f16 v55, v65, v27, v55
	v_pk_fma_f16 v58, v65, v28, v26
	v_mul_u32_u24_sdwa v59, v29, s15 dst_sel:DWORD dst_unused:UNUSED_PAD src0_sel:WORD_0 src1_sel:DWORD
	v_mul_u32_u24_sdwa v64, v29, s15 dst_sel:DWORD dst_unused:UNUSED_PAD src0_sel:WORD_1 src1_sel:DWORD
	ds_read2_b64 v[26:29], v68 offset0:128 offset1:160
	v_pk_fma_f16 v57, v66, v59, v57
	v_pk_fma_f16 v56, v66, v64, v56
	;; [unrolled: 1-line block ×4, first 2 shown]
	v_mul_u32_u24_sdwa v59, v60, s15 dst_sel:DWORD dst_unused:UNUSED_PAD src0_sel:WORD_0 src1_sel:DWORD
	v_mul_u32_u24_sdwa v60, v60, s15 dst_sel:DWORD dst_unused:UNUSED_PAD src0_sel:WORD_1 src1_sel:DWORD
	s_waitcnt lgkmcnt(0)
	v_pk_fma_f16 v57, v26, v59, v57
	v_pk_fma_f16 v26, v26, v60, v56
	;; [unrolled: 1-line block ×4, first 2 shown]
	v_mul_u32_u24_sdwa v60, v61, s15 dst_sel:DWORD dst_unused:UNUSED_PAD src0_sel:WORD_0 src1_sel:DWORD
	v_pk_fma_f16 v64, v28, v60, v57
	ds_read2_b64 v[56:59], v68 offset0:192 offset1:224
	s_waitcnt lgkmcnt(0)
	s_barrier
	s_load_dword s16, s[6:7], 0x4
	v_mul_u32_u24_sdwa v61, v61, s15 dst_sel:DWORD dst_unused:UNUSED_PAD src0_sel:WORD_1 src1_sel:DWORD
	v_pk_fma_f16 v26, v28, v61, v26
	v_pk_fma_f16 v28, v29, v60, v55
	;; [unrolled: 1-line block ×3, first 2 shown]
	v_mul_u32_u24_sdwa v29, v62, s15 dst_sel:DWORD dst_unused:UNUSED_PAD src0_sel:WORD_0 src1_sel:DWORD
	v_mul_u32_u24_sdwa v55, v62, s15 dst_sel:DWORD dst_unused:UNUSED_PAD src0_sel:WORD_1 src1_sel:DWORD
	s_waitcnt lgkmcnt(0)
	s_lshl_b32 s16, s16, 6
	v_pk_fma_f16 v60, v56, v29, v64
	v_pk_fma_f16 v26, v56, v55, v26
	;; [unrolled: 1-line block ×4, first 2 shown]
	v_mul_u32_u24_sdwa v27, v63, s15 dst_sel:DWORD dst_unused:UNUSED_PAD src0_sel:WORD_0 src1_sel:DWORD
	v_mul_u32_u24_sdwa v57, v63, s15 dst_sel:DWORD dst_unused:UNUSED_PAD src0_sel:WORD_1 src1_sel:DWORD
	s_add_i32 s40, s16, s40
	v_pk_fma_f16 v29, v58, v27, v60
	v_pk_fma_f16 v28, v58, v57, v26
	;; [unrolled: 1-line block ×3, first 2 shown]
	s_cmp_lt_i32 s40, s11
	v_pk_fma_f16 v26, v59, v57, v55
	s_cbranch_scc0 .LBB59_20
; %bb.18:                               ;   in Loop: Header=BB59_8 Depth=1
	v_mov_b32_e32 v56, v6
	v_mov_b32_e32 v55, v7
	s_branch .LBB59_8
.LBB59_19:
	v_mov_b32_e32 v6, 0xfeffffff
	v_mov_b32_e32 v7, v6
	;; [unrolled: 1-line block ×7, first 2 shown]
.LBB59_20:
	s_cmp_gt_i32 s38, s40
	s_cbranch_scc1 .LBB59_22
; %bb.21:
	v_mbcnt_hi_u32_b32 v48, -1, v32
	v_and_b32_e32 v2, 0x60, v48
	v_add_u32_e32 v49, 32, v2
	v_xor_b32_e32 v50, 16, v48
	v_xor_b32_e32 v51, 8, v48
	;; [unrolled: 1-line block ×5, first 2 shown]
	s_cbranch_execz .LBB59_23
	s_branch .LBB59_43
.LBB59_22:
                                        ; implicit-def: $vgpr48
                                        ; implicit-def: $vgpr49
                                        ; implicit-def: $vgpr50
                                        ; implicit-def: $vgpr51
                                        ; implicit-def: $vgpr52
                                        ; implicit-def: $vgpr53
                                        ; implicit-def: $vgpr54
.LBB59_23:
	s_mul_hi_i32 s5, s40, s8
	s_mul_i32 s4, s40, s8
	s_sub_i32 s38, s38, s40
	s_lshl_b64 s[4:5], s[4:5], 2
	v_add_u32_e32 v14, v1, v44
	s_mov_b64 s[6:7], src_private_base
	s_add_u32 s12, s9, s4
	v_mul_lo_u32 v10, s8, v14
	s_mov_b32 s4, 0
	s_addc_u32 s13, s10, s5
	v_ashrrev_i32_e32 v11, 31, v10
	s_mov_b32 s6, s4
	v_mov_b32_e32 v9, 0
	v_lshlrev_b32_e32 v8, 2, v0
	s_mov_b32 s5, s4
	v_mov_b32_e32 v40, s6
	v_lshl_add_u64 v[0:1], v[10:11], 2, s[12:13]
	v_mov_b32_e32 v39, s5
	v_mov_b32_e32 v38, s4
	v_lshl_add_u64 v[0:1], v[0:1], 0, v[8:9]
	v_mov_b32_e32 v18, s7
	v_cmp_gt_i32_e64 s[16:17], s38, v14
	v_mov_b32_e32 v19, 0
	scratch_store_dword off, v9, off
	scratch_store_dwordx3 off, v[38:40], off offset:4
	v_cndmask_b32_e64 v1, v18, v1, s[16:17]
	v_cndmask_b32_e64 v0, v19, v0, s[16:17]
	flat_load_dwordx4 v[0:3], v[0:1]
	s_lshl_b32 s8, s8, 4
	v_add_u32_e32 v10, s8, v10
	v_ashrrev_i32_e32 v11, 31, v10
	s_movk_i32 s4, 0x110
	v_add_u32_e32 v15, 16, v14
	v_lshl_add_u64 v[12:13], v[10:11], 2, s[12:13]
	v_mad_u32_u24 v22, v14, s4, v8
	v_lshl_add_u64 v[12:13], v[12:13], 0, v[8:9]
	v_cmp_gt_i32_e64 s[6:7], s38, v15
	scratch_store_dword off, v9, off
	scratch_store_dwordx3 off, v[38:40], off offset:4
	v_cndmask_b32_e64 v13, v18, v13, s[6:7]
	v_cndmask_b32_e64 v12, v19, v12, s[6:7]
	v_add_u32_e32 v10, s8, v10
	v_ashrrev_i32_e32 v11, 31, v10
	v_add_u32_e32 v17, 32, v14
	v_cmp_gt_i32_e64 s[4:5], s38, v17
	v_add_u32_e32 v16, 48, v14
	s_cmp_lg_u64 s[36:37], 0
	s_cselect_b64 s[10:11], -1, 0
	s_waitcnt vmcnt(0) lgkmcnt(0)
	ds_write_b128 v22, v[0:3]
	flat_load_dwordx4 v[0:3], v[12:13]
	v_lshl_add_u64 v[12:13], v[10:11], 2, s[12:13]
	v_lshl_add_u64 v[12:13], v[12:13], 0, v[8:9]
	v_cndmask_b32_e64 v13, v18, v13, s[4:5]
	v_cndmask_b32_e64 v12, v19, v12, s[4:5]
	scratch_store_dword off, v9, off
	scratch_store_dwordx3 off, v[38:40], off offset:4
	v_add_u32_e32 v10, s8, v10
	v_ashrrev_i32_e32 v11, 31, v10
	v_lshl_add_u64 v[10:11], v[10:11], 2, s[12:13]
	v_lshl_add_u64 v[10:11], v[10:11], 0, v[8:9]
	v_cmp_gt_i32_e64 s[8:9], s38, v16
	v_cmp_gt_i32_e64 s[12:13], s38, v36
	s_waitcnt vmcnt(0) lgkmcnt(0)
	ds_write_b128 v22, v[0:3] offset:4352
	flat_load_dwordx4 v[0:3], v[12:13]
	v_cndmask_b32_e64 v11, v18, v11, s[8:9]
	v_cndmask_b32_e64 v10, v19, v10, s[8:9]
	scratch_store_dword off, v9, off
	scratch_store_dwordx3 off, v[38:40], off offset:4
	v_add_u32_e32 v12, s40, v33
	s_waitcnt vmcnt(0) lgkmcnt(0)
	ds_write_b128 v22, v[0:3] offset:8704
	flat_load_dwordx4 v[18:21], v[10:11]
	v_mul_u32_u24_e32 v10, 0x110, v36
	v_mov_b32_e32 v0, v9
	v_mov_b32_e32 v1, v9
	;; [unrolled: 1-line block ×4, first 2 shown]
	v_cndmask_b32_e64 v11, 0, 1, s[10:11]
	v_cmp_ne_u32_e64 s[10:11], 1, v11
	s_waitcnt vmcnt(0) lgkmcnt(0)
	ds_write_b128 v22, v[18:21] offset:13056
	s_waitcnt lgkmcnt(0)
	s_barrier
	ds_read_b128 v[18:21], v10
	ds_read_b128 v[38:41], v31 offset:17408
	ds_read_b128 v[48:51], v10 offset:8704
	;; [unrolled: 1-line block ×3, first 2 shown]
	s_waitcnt lgkmcnt(2)
	;;#ASMSTART
	v_dot2_f32_f16 v0, v18, v38, v0
	;;#ASMEND
	s_nop 0
	;;#ASMSTART
	v_dot2_f32_f16 v0, v19, v39, v0
	;;#ASMEND
	s_nop 0
	;; [unrolled: 4-line block ×3, first 2 shown]
	;;#ASMSTART
	v_dot2_f32_f16 v0, v21, v41, v0
	;;#ASMEND
	s_waitcnt lgkmcnt(0)
	;;#ASMSTART
	v_dot2_f32_f16 v1, v18, v52, v1
	;;#ASMEND
	s_nop 0
	;;#ASMSTART
	v_dot2_f32_f16 v1, v19, v53, v1
	;;#ASMEND
	s_nop 0
	;;#ASMSTART
	v_dot2_f32_f16 v1, v20, v54, v1
	;;#ASMEND
	s_nop 0
	;;#ASMSTART
	v_dot2_f32_f16 v1, v21, v55, v1
	;;#ASMEND
	;;#ASMSTART
	v_dot2_f32_f16 v2, v48, v38, v2
	;;#ASMEND
	s_nop 0
	;;#ASMSTART
	v_dot2_f32_f16 v2, v49, v39, v2
	;;#ASMEND
	s_nop 0
	;;#ASMSTART
	v_dot2_f32_f16 v2, v50, v40, v2
	;;#ASMEND
	s_nop 0
	;;#ASMSTART
	v_dot2_f32_f16 v2, v51, v41, v2
	;;#ASMEND
	;; [unrolled: 15-line block ×3, first 2 shown]
	ds_read_b128 v[18:21], v31 offset:17424
	ds_read_b128 v[38:41], v10 offset:16
	;; [unrolled: 1-line block ×4, first 2 shown]
	s_waitcnt lgkmcnt(2)
	;;#ASMSTART
	v_dot2_f32_f16 v0, v38, v18, v0
	;;#ASMEND
	s_nop 0
	;;#ASMSTART
	v_dot2_f32_f16 v0, v39, v19, v0
	;;#ASMEND
	s_nop 0
	;; [unrolled: 4-line block ×3, first 2 shown]
	;;#ASMSTART
	v_dot2_f32_f16 v0, v41, v21, v0
	;;#ASMEND
	s_waitcnt lgkmcnt(0)
	;;#ASMSTART
	v_dot2_f32_f16 v1, v38, v52, v1
	;;#ASMEND
	s_nop 0
	;;#ASMSTART
	v_dot2_f32_f16 v1, v39, v53, v1
	;;#ASMEND
	s_nop 0
	;;#ASMSTART
	v_dot2_f32_f16 v1, v40, v54, v1
	;;#ASMEND
	s_nop 0
	;;#ASMSTART
	v_dot2_f32_f16 v1, v41, v55, v1
	;;#ASMEND
	;;#ASMSTART
	v_dot2_f32_f16 v2, v48, v18, v2
	;;#ASMEND
	s_nop 0
	;;#ASMSTART
	v_dot2_f32_f16 v2, v49, v19, v2
	;;#ASMEND
	s_nop 0
	;;#ASMSTART
	v_dot2_f32_f16 v2, v50, v20, v2
	;;#ASMEND
	s_nop 0
	;;#ASMSTART
	v_dot2_f32_f16 v2, v51, v21, v2
	;;#ASMEND
	;;#ASMSTART
	v_dot2_f32_f16 v3, v48, v52, v3
	;;#ASMEND
	s_nop 0
	;;#ASMSTART
	v_dot2_f32_f16 v3, v49, v53, v3
	;;#ASMEND
	s_nop 0
	;;#ASMSTART
	v_dot2_f32_f16 v3, v50, v54, v3
	;;#ASMEND
	s_nop 0
	;;#ASMSTART
	v_dot2_f32_f16 v3, v51, v55, v3
	;;#ASMEND
	ds_read_b128 v[18:21], v31 offset:17440
	ds_read_b128 v[38:41], v10 offset:32
	;; [unrolled: 1-line block ×4, first 2 shown]
	s_waitcnt lgkmcnt(2)
	;;#ASMSTART
	v_dot2_f32_f16 v0, v38, v18, v0
	;;#ASMEND
	s_nop 0
	;;#ASMSTART
	v_dot2_f32_f16 v0, v39, v19, v0
	;;#ASMEND
	s_nop 0
	;; [unrolled: 4-line block ×3, first 2 shown]
	;;#ASMSTART
	v_dot2_f32_f16 v0, v41, v21, v0
	;;#ASMEND
	s_waitcnt lgkmcnt(0)
	;;#ASMSTART
	v_dot2_f32_f16 v1, v38, v52, v1
	;;#ASMEND
	s_nop 0
	;;#ASMSTART
	v_dot2_f32_f16 v1, v39, v53, v1
	;;#ASMEND
	s_nop 0
	;;#ASMSTART
	v_dot2_f32_f16 v1, v40, v54, v1
	;;#ASMEND
	s_nop 0
	;;#ASMSTART
	v_dot2_f32_f16 v1, v41, v55, v1
	;;#ASMEND
	;;#ASMSTART
	v_dot2_f32_f16 v2, v48, v18, v2
	;;#ASMEND
	s_nop 0
	;;#ASMSTART
	v_dot2_f32_f16 v2, v49, v19, v2
	;;#ASMEND
	s_nop 0
	;;#ASMSTART
	v_dot2_f32_f16 v2, v50, v20, v2
	;;#ASMEND
	s_nop 0
	;;#ASMSTART
	v_dot2_f32_f16 v2, v51, v21, v2
	;;#ASMEND
	;;#ASMSTART
	v_dot2_f32_f16 v3, v48, v52, v3
	;;#ASMEND
	s_nop 0
	;;#ASMSTART
	v_dot2_f32_f16 v3, v49, v53, v3
	;;#ASMEND
	s_nop 0
	;;#ASMSTART
	v_dot2_f32_f16 v3, v50, v54, v3
	;;#ASMEND
	s_nop 0
	;;#ASMSTART
	v_dot2_f32_f16 v3, v51, v55, v3
	;;#ASMEND
	ds_read_b128 v[18:21], v31 offset:17456
	ds_read_b128 v[38:41], v10 offset:48
	;; [unrolled: 1-line block ×4, first 2 shown]
	s_waitcnt lgkmcnt(2)
	;;#ASMSTART
	v_dot2_f32_f16 v0, v38, v18, v0
	;;#ASMEND
	s_nop 0
	;;#ASMSTART
	v_dot2_f32_f16 v0, v39, v19, v0
	;;#ASMEND
	s_nop 0
	;; [unrolled: 4-line block ×3, first 2 shown]
	;;#ASMSTART
	v_dot2_f32_f16 v0, v41, v21, v0
	;;#ASMEND
	s_waitcnt lgkmcnt(0)
	;;#ASMSTART
	v_dot2_f32_f16 v1, v38, v52, v1
	;;#ASMEND
	s_nop 0
	;;#ASMSTART
	v_dot2_f32_f16 v1, v39, v53, v1
	;;#ASMEND
	s_nop 0
	;;#ASMSTART
	v_dot2_f32_f16 v1, v40, v54, v1
	;;#ASMEND
	s_nop 0
	;;#ASMSTART
	v_dot2_f32_f16 v1, v41, v55, v1
	;;#ASMEND
	;;#ASMSTART
	v_dot2_f32_f16 v2, v48, v18, v2
	;;#ASMEND
	s_nop 0
	;;#ASMSTART
	v_dot2_f32_f16 v2, v49, v19, v2
	;;#ASMEND
	s_nop 0
	;;#ASMSTART
	v_dot2_f32_f16 v2, v50, v20, v2
	;;#ASMEND
	s_nop 0
	;;#ASMSTART
	v_dot2_f32_f16 v2, v51, v21, v2
	;;#ASMEND
	;; [unrolled: 15-line block ×3, first 2 shown]
	ds_read_b128 v[18:21], v31 offset:17472
	ds_read_b128 v[38:41], v10 offset:64
	;; [unrolled: 1-line block ×4, first 2 shown]
	s_waitcnt lgkmcnt(2)
	;;#ASMSTART
	v_dot2_f32_f16 v0, v38, v18, v0
	;;#ASMEND
	s_nop 0
	;;#ASMSTART
	v_dot2_f32_f16 v0, v39, v19, v0
	;;#ASMEND
	s_nop 0
	;; [unrolled: 4-line block ×3, first 2 shown]
	;;#ASMSTART
	v_dot2_f32_f16 v0, v41, v21, v0
	;;#ASMEND
	s_waitcnt lgkmcnt(0)
	;;#ASMSTART
	v_dot2_f32_f16 v1, v38, v52, v1
	;;#ASMEND
	s_nop 0
	;;#ASMSTART
	v_dot2_f32_f16 v1, v39, v53, v1
	;;#ASMEND
	s_nop 0
	;;#ASMSTART
	v_dot2_f32_f16 v1, v40, v54, v1
	;;#ASMEND
	s_nop 0
	;;#ASMSTART
	v_dot2_f32_f16 v1, v41, v55, v1
	;;#ASMEND
	;;#ASMSTART
	v_dot2_f32_f16 v2, v48, v18, v2
	;;#ASMEND
	s_nop 0
	;;#ASMSTART
	v_dot2_f32_f16 v2, v49, v19, v2
	;;#ASMEND
	s_nop 0
	;;#ASMSTART
	v_dot2_f32_f16 v2, v50, v20, v2
	;;#ASMEND
	s_nop 0
	;;#ASMSTART
	v_dot2_f32_f16 v2, v51, v21, v2
	;;#ASMEND
	;; [unrolled: 15-line block ×3, first 2 shown]
	ds_read_b128 v[18:21], v31 offset:17488
	ds_read_b128 v[38:41], v10 offset:80
	;; [unrolled: 1-line block ×4, first 2 shown]
	s_waitcnt lgkmcnt(2)
	;;#ASMSTART
	v_dot2_f32_f16 v0, v38, v18, v0
	;;#ASMEND
	s_nop 0
	;;#ASMSTART
	v_dot2_f32_f16 v0, v39, v19, v0
	;;#ASMEND
	s_nop 0
	;; [unrolled: 4-line block ×3, first 2 shown]
	;;#ASMSTART
	v_dot2_f32_f16 v0, v41, v21, v0
	;;#ASMEND
	s_waitcnt lgkmcnt(0)
	;;#ASMSTART
	v_dot2_f32_f16 v1, v38, v52, v1
	;;#ASMEND
	s_nop 0
	;;#ASMSTART
	v_dot2_f32_f16 v1, v39, v53, v1
	;;#ASMEND
	s_nop 0
	;;#ASMSTART
	v_dot2_f32_f16 v1, v40, v54, v1
	;;#ASMEND
	s_nop 0
	;;#ASMSTART
	v_dot2_f32_f16 v1, v41, v55, v1
	;;#ASMEND
	;;#ASMSTART
	v_dot2_f32_f16 v2, v48, v18, v2
	;;#ASMEND
	s_nop 0
	;;#ASMSTART
	v_dot2_f32_f16 v2, v49, v19, v2
	;;#ASMEND
	s_nop 0
	;;#ASMSTART
	v_dot2_f32_f16 v2, v50, v20, v2
	;;#ASMEND
	s_nop 0
	;;#ASMSTART
	v_dot2_f32_f16 v2, v51, v21, v2
	;;#ASMEND
	;; [unrolled: 15-line block ×3, first 2 shown]
	ds_read_b128 v[18:21], v31 offset:17504
	ds_read_b128 v[38:41], v10 offset:96
	;; [unrolled: 1-line block ×4, first 2 shown]
	s_waitcnt lgkmcnt(2)
	;;#ASMSTART
	v_dot2_f32_f16 v0, v38, v18, v0
	;;#ASMEND
	s_nop 0
	;;#ASMSTART
	v_dot2_f32_f16 v0, v39, v19, v0
	;;#ASMEND
	s_nop 0
	;; [unrolled: 4-line block ×3, first 2 shown]
	;;#ASMSTART
	v_dot2_f32_f16 v0, v41, v21, v0
	;;#ASMEND
	s_waitcnt lgkmcnt(0)
	;;#ASMSTART
	v_dot2_f32_f16 v1, v38, v52, v1
	;;#ASMEND
	s_nop 0
	;;#ASMSTART
	v_dot2_f32_f16 v1, v39, v53, v1
	;;#ASMEND
	s_nop 0
	;;#ASMSTART
	v_dot2_f32_f16 v1, v40, v54, v1
	;;#ASMEND
	s_nop 0
	;;#ASMSTART
	v_dot2_f32_f16 v1, v41, v55, v1
	;;#ASMEND
	;;#ASMSTART
	v_dot2_f32_f16 v2, v48, v18, v2
	;;#ASMEND
	s_nop 0
	;;#ASMSTART
	v_dot2_f32_f16 v2, v49, v19, v2
	;;#ASMEND
	s_nop 0
	;;#ASMSTART
	v_dot2_f32_f16 v2, v50, v20, v2
	;;#ASMEND
	s_nop 0
	;;#ASMSTART
	v_dot2_f32_f16 v2, v51, v21, v2
	;;#ASMEND
	;; [unrolled: 15-line block ×3, first 2 shown]
	ds_read_b128 v[18:21], v31 offset:17520
	ds_read_b128 v[38:41], v10 offset:112
	;; [unrolled: 1-line block ×4, first 2 shown]
	s_waitcnt lgkmcnt(2)
	;;#ASMSTART
	v_dot2_f32_f16 v0, v38, v18, v0
	;;#ASMEND
	s_nop 0
	;;#ASMSTART
	v_dot2_f32_f16 v0, v39, v19, v0
	;;#ASMEND
	s_nop 0
	;; [unrolled: 4-line block ×3, first 2 shown]
	;;#ASMSTART
	v_dot2_f32_f16 v0, v41, v21, v0
	;;#ASMEND
	s_waitcnt lgkmcnt(0)
	;;#ASMSTART
	v_dot2_f32_f16 v1, v38, v52, v1
	;;#ASMEND
	s_nop 0
	;;#ASMSTART
	v_dot2_f32_f16 v1, v39, v53, v1
	;;#ASMEND
	s_nop 0
	;;#ASMSTART
	v_dot2_f32_f16 v1, v40, v54, v1
	;;#ASMEND
	s_nop 0
	;;#ASMSTART
	v_dot2_f32_f16 v1, v41, v55, v1
	;;#ASMEND
	;;#ASMSTART
	v_dot2_f32_f16 v2, v48, v18, v2
	;;#ASMEND
	s_nop 0
	;;#ASMSTART
	v_dot2_f32_f16 v2, v49, v19, v2
	;;#ASMEND
	s_nop 0
	;;#ASMSTART
	v_dot2_f32_f16 v2, v50, v20, v2
	;;#ASMEND
	s_nop 0
	;;#ASMSTART
	v_dot2_f32_f16 v2, v51, v21, v2
	;;#ASMEND
	;; [unrolled: 15-line block ×3, first 2 shown]
	ds_read_b128 v[18:21], v31 offset:17536
	ds_read_b128 v[38:41], v10 offset:128
	ds_read_b128 v[48:51], v10 offset:8832
	ds_read_b128 v[52:55], v31 offset:17792
	s_waitcnt lgkmcnt(2)
	;;#ASMSTART
	v_dot2_f32_f16 v0, v38, v18, v0
	;;#ASMEND
	s_nop 0
	;;#ASMSTART
	v_dot2_f32_f16 v0, v39, v19, v0
	;;#ASMEND
	s_nop 0
	;; [unrolled: 4-line block ×3, first 2 shown]
	;;#ASMSTART
	v_dot2_f32_f16 v0, v41, v21, v0
	;;#ASMEND
	s_waitcnt lgkmcnt(0)
	;;#ASMSTART
	v_dot2_f32_f16 v1, v38, v52, v1
	;;#ASMEND
	s_nop 0
	;;#ASMSTART
	v_dot2_f32_f16 v1, v39, v53, v1
	;;#ASMEND
	s_nop 0
	;;#ASMSTART
	v_dot2_f32_f16 v1, v40, v54, v1
	;;#ASMEND
	s_nop 0
	;;#ASMSTART
	v_dot2_f32_f16 v1, v41, v55, v1
	;;#ASMEND
	;;#ASMSTART
	v_dot2_f32_f16 v2, v48, v18, v2
	;;#ASMEND
	s_nop 0
	;;#ASMSTART
	v_dot2_f32_f16 v2, v49, v19, v2
	;;#ASMEND
	s_nop 0
	;;#ASMSTART
	v_dot2_f32_f16 v2, v50, v20, v2
	;;#ASMEND
	s_nop 0
	;;#ASMSTART
	v_dot2_f32_f16 v2, v51, v21, v2
	;;#ASMEND
	;; [unrolled: 15-line block ×3, first 2 shown]
	ds_read_b128 v[18:21], v31 offset:17552
	ds_read_b128 v[38:41], v10 offset:144
	;; [unrolled: 1-line block ×4, first 2 shown]
	s_waitcnt lgkmcnt(2)
	;;#ASMSTART
	v_dot2_f32_f16 v0, v38, v18, v0
	;;#ASMEND
	s_nop 0
	;;#ASMSTART
	v_dot2_f32_f16 v0, v39, v19, v0
	;;#ASMEND
	s_nop 0
	;; [unrolled: 4-line block ×3, first 2 shown]
	;;#ASMSTART
	v_dot2_f32_f16 v0, v41, v21, v0
	;;#ASMEND
	s_waitcnt lgkmcnt(0)
	;;#ASMSTART
	v_dot2_f32_f16 v1, v38, v52, v1
	;;#ASMEND
	s_nop 0
	;;#ASMSTART
	v_dot2_f32_f16 v1, v39, v53, v1
	;;#ASMEND
	s_nop 0
	;;#ASMSTART
	v_dot2_f32_f16 v1, v40, v54, v1
	;;#ASMEND
	s_nop 0
	;;#ASMSTART
	v_dot2_f32_f16 v1, v41, v55, v1
	;;#ASMEND
	;;#ASMSTART
	v_dot2_f32_f16 v2, v48, v18, v2
	;;#ASMEND
	s_nop 0
	;;#ASMSTART
	v_dot2_f32_f16 v2, v49, v19, v2
	;;#ASMEND
	s_nop 0
	;;#ASMSTART
	v_dot2_f32_f16 v2, v50, v20, v2
	;;#ASMEND
	s_nop 0
	;;#ASMSTART
	v_dot2_f32_f16 v2, v51, v21, v2
	;;#ASMEND
	;;#ASMSTART
	v_dot2_f32_f16 v3, v48, v52, v3
	;;#ASMEND
	s_nop 0
	;;#ASMSTART
	v_dot2_f32_f16 v3, v49, v53, v3
	;;#ASMEND
	s_nop 0
	;;#ASMSTART
	v_dot2_f32_f16 v3, v50, v54, v3
	;;#ASMEND
	s_nop 0
	;;#ASMSTART
	v_dot2_f32_f16 v3, v51, v55, v3
	;;#ASMEND
	ds_read_b128 v[18:21], v31 offset:17568
	ds_read_b128 v[38:41], v10 offset:160
	;; [unrolled: 1-line block ×4, first 2 shown]
	s_waitcnt lgkmcnt(2)
	;;#ASMSTART
	v_dot2_f32_f16 v0, v38, v18, v0
	;;#ASMEND
	s_nop 0
	;;#ASMSTART
	v_dot2_f32_f16 v0, v39, v19, v0
	;;#ASMEND
	s_nop 0
	;; [unrolled: 4-line block ×3, first 2 shown]
	;;#ASMSTART
	v_dot2_f32_f16 v0, v41, v21, v0
	;;#ASMEND
	s_waitcnt lgkmcnt(0)
	;;#ASMSTART
	v_dot2_f32_f16 v1, v38, v52, v1
	;;#ASMEND
	s_nop 0
	;;#ASMSTART
	v_dot2_f32_f16 v1, v39, v53, v1
	;;#ASMEND
	s_nop 0
	;;#ASMSTART
	v_dot2_f32_f16 v1, v40, v54, v1
	;;#ASMEND
	s_nop 0
	;;#ASMSTART
	v_dot2_f32_f16 v1, v41, v55, v1
	;;#ASMEND
	;;#ASMSTART
	v_dot2_f32_f16 v2, v48, v18, v2
	;;#ASMEND
	s_nop 0
	;;#ASMSTART
	v_dot2_f32_f16 v2, v49, v19, v2
	;;#ASMEND
	s_nop 0
	;;#ASMSTART
	v_dot2_f32_f16 v2, v50, v20, v2
	;;#ASMEND
	s_nop 0
	;;#ASMSTART
	v_dot2_f32_f16 v2, v51, v21, v2
	;;#ASMEND
	;; [unrolled: 15-line block ×3, first 2 shown]
	ds_read_b128 v[18:21], v31 offset:17584
	ds_read_b128 v[38:41], v10 offset:176
	ds_read_b128 v[48:51], v10 offset:8880
	ds_read_b128 v[52:55], v31 offset:17840
	s_waitcnt lgkmcnt(2)
	;;#ASMSTART
	v_dot2_f32_f16 v0, v38, v18, v0
	;;#ASMEND
	s_nop 0
	;;#ASMSTART
	v_dot2_f32_f16 v0, v39, v19, v0
	;;#ASMEND
	s_nop 0
	;; [unrolled: 4-line block ×3, first 2 shown]
	;;#ASMSTART
	v_dot2_f32_f16 v0, v41, v21, v0
	;;#ASMEND
	s_waitcnt lgkmcnt(0)
	;;#ASMSTART
	v_dot2_f32_f16 v1, v38, v52, v1
	;;#ASMEND
	s_nop 0
	;;#ASMSTART
	v_dot2_f32_f16 v1, v39, v53, v1
	;;#ASMEND
	s_nop 0
	;;#ASMSTART
	v_dot2_f32_f16 v1, v40, v54, v1
	;;#ASMEND
	s_nop 0
	;;#ASMSTART
	v_dot2_f32_f16 v1, v41, v55, v1
	;;#ASMEND
	;;#ASMSTART
	v_dot2_f32_f16 v2, v48, v18, v2
	;;#ASMEND
	s_nop 0
	;;#ASMSTART
	v_dot2_f32_f16 v2, v49, v19, v2
	;;#ASMEND
	s_nop 0
	;;#ASMSTART
	v_dot2_f32_f16 v2, v50, v20, v2
	;;#ASMEND
	s_nop 0
	;;#ASMSTART
	v_dot2_f32_f16 v2, v51, v21, v2
	;;#ASMEND
	;; [unrolled: 15-line block ×3, first 2 shown]
	ds_read_b128 v[18:21], v31 offset:17600
	ds_read_b128 v[38:41], v10 offset:192
	;; [unrolled: 1-line block ×4, first 2 shown]
	s_waitcnt lgkmcnt(2)
	;;#ASMSTART
	v_dot2_f32_f16 v0, v38, v18, v0
	;;#ASMEND
	s_nop 0
	;;#ASMSTART
	v_dot2_f32_f16 v0, v39, v19, v0
	;;#ASMEND
	s_nop 0
	;; [unrolled: 4-line block ×3, first 2 shown]
	;;#ASMSTART
	v_dot2_f32_f16 v0, v41, v21, v0
	;;#ASMEND
	s_waitcnt lgkmcnt(0)
	;;#ASMSTART
	v_dot2_f32_f16 v1, v38, v52, v1
	;;#ASMEND
	s_nop 0
	;;#ASMSTART
	v_dot2_f32_f16 v1, v39, v53, v1
	;;#ASMEND
	s_nop 0
	;;#ASMSTART
	v_dot2_f32_f16 v1, v40, v54, v1
	;;#ASMEND
	s_nop 0
	;;#ASMSTART
	v_dot2_f32_f16 v1, v41, v55, v1
	;;#ASMEND
	;;#ASMSTART
	v_dot2_f32_f16 v2, v48, v18, v2
	;;#ASMEND
	s_nop 0
	;;#ASMSTART
	v_dot2_f32_f16 v2, v49, v19, v2
	;;#ASMEND
	s_nop 0
	;;#ASMSTART
	v_dot2_f32_f16 v2, v50, v20, v2
	;;#ASMEND
	s_nop 0
	;;#ASMSTART
	v_dot2_f32_f16 v2, v51, v21, v2
	;;#ASMEND
	;; [unrolled: 15-line block ×3, first 2 shown]
	ds_read_b128 v[18:21], v10 offset:208
	ds_read_b128 v[38:41], v31 offset:17616
	;; [unrolled: 1-line block ×4, first 2 shown]
	s_waitcnt lgkmcnt(2)
	;;#ASMSTART
	v_dot2_f32_f16 v0, v18, v38, v0
	;;#ASMEND
	s_nop 0
	;;#ASMSTART
	v_dot2_f32_f16 v0, v19, v39, v0
	;;#ASMEND
	s_nop 0
	;; [unrolled: 4-line block ×3, first 2 shown]
	;;#ASMSTART
	v_dot2_f32_f16 v0, v21, v41, v0
	;;#ASMEND
	s_waitcnt lgkmcnt(0)
	;;#ASMSTART
	v_dot2_f32_f16 v1, v18, v52, v1
	;;#ASMEND
	s_nop 0
	;;#ASMSTART
	v_dot2_f32_f16 v1, v19, v53, v1
	;;#ASMEND
	s_nop 0
	;;#ASMSTART
	v_dot2_f32_f16 v1, v20, v54, v1
	;;#ASMEND
	s_nop 0
	;;#ASMSTART
	v_dot2_f32_f16 v1, v21, v55, v1
	;;#ASMEND
	;;#ASMSTART
	v_dot2_f32_f16 v2, v48, v38, v2
	;;#ASMEND
	s_nop 0
	;;#ASMSTART
	v_dot2_f32_f16 v2, v49, v39, v2
	;;#ASMEND
	s_nop 0
	;;#ASMSTART
	v_dot2_f32_f16 v2, v50, v40, v2
	;;#ASMEND
	s_nop 0
	;;#ASMSTART
	v_dot2_f32_f16 v2, v51, v41, v2
	;;#ASMEND
	;; [unrolled: 15-line block ×3, first 2 shown]
	ds_read_b128 v[18:21], v10 offset:224
	ds_read_b128 v[38:41], v31 offset:17632
	;; [unrolled: 1-line block ×4, first 2 shown]
	s_waitcnt lgkmcnt(2)
	;;#ASMSTART
	v_dot2_f32_f16 v0, v18, v38, v0
	;;#ASMEND
	s_nop 0
	;;#ASMSTART
	v_dot2_f32_f16 v0, v19, v39, v0
	;;#ASMEND
	s_nop 0
	;; [unrolled: 4-line block ×3, first 2 shown]
	;;#ASMSTART
	v_dot2_f32_f16 v0, v21, v41, v0
	;;#ASMEND
	s_waitcnt lgkmcnt(0)
	;;#ASMSTART
	v_dot2_f32_f16 v1, v18, v52, v1
	;;#ASMEND
	s_nop 0
	;;#ASMSTART
	v_dot2_f32_f16 v1, v19, v53, v1
	;;#ASMEND
	s_nop 0
	;;#ASMSTART
	v_dot2_f32_f16 v1, v20, v54, v1
	;;#ASMEND
	s_nop 0
	;;#ASMSTART
	v_dot2_f32_f16 v1, v21, v55, v1
	;;#ASMEND
	;;#ASMSTART
	v_dot2_f32_f16 v2, v48, v38, v2
	;;#ASMEND
	s_nop 0
	;;#ASMSTART
	v_dot2_f32_f16 v2, v49, v39, v2
	;;#ASMEND
	s_nop 0
	;;#ASMSTART
	v_dot2_f32_f16 v2, v50, v40, v2
	;;#ASMEND
	s_nop 0
	;;#ASMSTART
	v_dot2_f32_f16 v2, v51, v41, v2
	;;#ASMEND
	;;#ASMSTART
	v_dot2_f32_f16 v3, v48, v52, v3
	;;#ASMEND
	s_nop 0
	;;#ASMSTART
	v_dot2_f32_f16 v3, v49, v53, v3
	;;#ASMEND
	s_nop 0
	;;#ASMSTART
	v_dot2_f32_f16 v3, v50, v54, v3
	;;#ASMEND
	s_nop 0
	;;#ASMSTART
	v_dot2_f32_f16 v3, v51, v55, v3
	;;#ASMEND
	ds_read_b128 v[18:21], v10 offset:240
	ds_read_b128 v[38:41], v31 offset:17648
	;; [unrolled: 1-line block ×4, first 2 shown]
	s_waitcnt lgkmcnt(2)
	;;#ASMSTART
	v_dot2_f32_f16 v0, v18, v38, v0
	;;#ASMEND
	s_nop 0
	;;#ASMSTART
	v_dot2_f32_f16 v0, v19, v39, v0
	;;#ASMEND
	v_mov_b64_e32 v[10:11], v[6:7]
	;;#ASMSTART
	v_dot2_f32_f16 v0, v20, v40, v0
	;;#ASMEND
	s_nop 0
	;;#ASMSTART
	v_dot2_f32_f16 v0, v21, v41, v0
	;;#ASMEND
	s_waitcnt lgkmcnt(0)
	;;#ASMSTART
	v_dot2_f32_f16 v1, v18, v52, v1
	;;#ASMEND
	s_nop 0
	;;#ASMSTART
	v_dot2_f32_f16 v1, v19, v53, v1
	;;#ASMEND
	s_nop 0
	;;#ASMSTART
	v_dot2_f32_f16 v1, v20, v54, v1
	;;#ASMEND
	s_nop 0
	;;#ASMSTART
	v_dot2_f32_f16 v1, v21, v55, v1
	;;#ASMEND
	;;#ASMSTART
	v_dot2_f32_f16 v2, v48, v38, v2
	;;#ASMEND
	s_nop 0
	;;#ASMSTART
	v_dot2_f32_f16 v2, v49, v39, v2
	;;#ASMEND
	s_nop 0
	;;#ASMSTART
	v_dot2_f32_f16 v2, v50, v40, v2
	;;#ASMEND
	s_nop 0
	;;#ASMSTART
	v_dot2_f32_f16 v2, v51, v41, v2
	;;#ASMEND
	;; [unrolled: 15-line block ×3, first 2 shown]
	s_and_saveexec_b64 s[14:15], s[12:13]
	s_cbranch_execz .LBB59_27
; %bb.24:
	s_and_b64 vcc, exec, s[10:11]
	s_cbranch_vccnz .LBB59_26
; %bb.25:
	v_add_u32_e32 v10, v12, v36
	v_ashrrev_i32_e32 v11, 31, v10
	v_lshl_add_u64 v[10:11], v[10:11], 1, s[36:37]
	global_load_ushort v9, v[10:11], off
	s_waitcnt vmcnt(0)
	v_cvt_f32_f16_e32 v9, v9
	v_mul_f32_e32 v9, v25, v9
.LBB59_26:
	v_add_f32_e32 v0, v0, v9
	v_add_f32_e32 v9, 0x40051340, v0
	v_max_f32_e32 v10, v6, v6
	v_max_f32_e32 v10, v10, v9
	v_mov_b32_e32 v11, v7
.LBB59_27:
	s_or_b64 exec, exec, s[14:15]
	v_add_u32_e32 v9, 32, v36
	v_cmp_gt_i32_e64 s[14:15], s38, v9
	s_and_saveexec_b64 s[18:19], s[14:15]
	s_cbranch_execz .LBB59_32
; %bb.28:
	s_and_b64 vcc, exec, s[10:11]
	s_cbranch_vccnz .LBB59_30
; %bb.29:
	v_ashrrev_i32_e32 v13, 31, v12
	v_mov_b32_e32 v37, 0
	v_lshl_add_u64 v[12:13], v[12:13], 0, v[36:37]
	v_lshl_add_u64 v[12:13], v[12:13], 1, s[36:37]
	global_load_ushort v12, v[12:13], off offset:64
	s_waitcnt vmcnt(0)
	v_cvt_f32_f16_e32 v12, v12
	v_mul_f32_e32 v12, v25, v12
	s_branch .LBB59_31
.LBB59_30:
	v_mov_b32_e32 v12, 0
.LBB59_31:
	v_add_f32_e32 v2, v2, v12
	v_add_f32_e32 v12, 0x40051340, v2
	v_max_f32_e32 v10, v10, v10
	v_max_f32_e32 v10, v10, v12
.LBB59_32:
	s_or_b64 exec, exec, s[18:19]
	v_mbcnt_hi_u32_b32 v48, -1, v32
	v_and_b32_e32 v12, 0x60, v48
	v_add_u32_e32 v49, 32, v12
	v_xor_b32_e32 v50, 16, v48
	v_cmp_lt_i32_e32 vcc, v50, v49
	v_xor_b32_e32 v51, 8, v48
	v_xor_b32_e32 v52, 4, v48
	v_cndmask_b32_e32 v12, v48, v50, vcc
	v_lshlrev_b32_e32 v19, 2, v12
	ds_bpermute_b32 v12, v19, v10
	v_cmp_lt_i32_e32 vcc, v51, v49
	v_max_f32_e32 v10, v10, v10
	v_xor_b32_e32 v53, 2, v48
	v_cndmask_b32_e32 v13, v48, v51, vcc
	s_waitcnt lgkmcnt(0)
	v_max_f32_e32 v12, v12, v12
	v_lshlrev_b32_e32 v21, 2, v13
	v_max_f32_e32 v10, v10, v12
	ds_bpermute_b32 v12, v21, v10
	v_cmp_lt_i32_e32 vcc, v52, v49
	v_xor_b32_e32 v54, 1, v48
	v_mul_hi_u32 v22, s28, v30
	v_cndmask_b32_e32 v13, v48, v52, vcc
	s_waitcnt lgkmcnt(0)
	v_max_f32_e32 v12, v12, v12
	v_lshlrev_b32_e32 v20, 2, v13
	v_max_f32_e32 v10, v10, v12
	ds_bpermute_b32 v12, v20, v10
	v_cmp_lt_i32_e32 vcc, v53, v49
	s_waitcnt lgkmcnt(0)
	v_max_f32_e32 v12, v12, v12
	v_cndmask_b32_e32 v13, v48, v53, vcc
	v_lshlrev_b32_e32 v18, 2, v13
	v_max_f32_e32 v12, v10, v12
	ds_bpermute_b32 v13, v18, v12
	v_cmp_lt_i32_e32 vcc, v54, v49
	s_waitcnt lgkmcnt(0)
	v_max_f32_e32 v13, v13, v13
	v_cndmask_b32_e32 v10, v48, v54, vcc
	v_lshlrev_b32_e32 v10, 2, v10
	v_max_f32_e32 v12, v12, v13
	ds_bpermute_b32 v13, v10, v12
	s_waitcnt lgkmcnt(0)
	v_max_f32_e32 v13, v13, v13
	v_max_f32_e32 v38, v12, v13
	v_add_u32_e32 v12, v30, v22
	v_lshrrev_b32_e32 v12, s29, v12
	v_mul_lo_u32 v12, v12, s30
	v_sub_u32_e32 v12, v30, v12
	v_mul_lo_u32 v12, v12, s41
	v_add_u32_e32 v12, s40, v12
	s_and_saveexec_b64 s[18:19], s[12:13]
	s_cbranch_execz .LBB59_37
; %bb.33:
	s_and_b64 vcc, exec, s[10:11]
	s_cbranch_vccnz .LBB59_35
; %bb.34:
	v_add_u32_e32 v22, v12, v36
	v_ashrrev_i32_e32 v23, 31, v22
	v_lshl_add_u64 v[22:23], v[22:23], 1, s[36:37]
	global_load_ushort v13, v[22:23], off
	s_waitcnt vmcnt(0)
	v_cvt_f32_f16_e32 v13, v13
	v_mul_f32_e32 v13, v25, v13
	s_branch .LBB59_36
.LBB59_35:
	v_mov_b32_e32 v13, 0
.LBB59_36:
	v_add_f32_e32 v1, v1, v13
	v_add_f32_e32 v13, 0x40051340, v1
	v_max_f32_e32 v11, v11, v11
	v_max_f32_e32 v11, v11, v13
.LBB59_37:
	s_or_b64 exec, exec, s[18:19]
	s_and_saveexec_b64 s[12:13], s[14:15]
	s_cbranch_execz .LBB59_42
; %bb.38:
	s_and_b64 vcc, exec, s[10:11]
	s_cbranch_vccnz .LBB59_40
; %bb.39:
	v_ashrrev_i32_e32 v13, 31, v12
	v_mov_b32_e32 v37, 0
	v_lshl_add_u64 v[12:13], v[12:13], 0, v[36:37]
	v_lshl_add_u64 v[12:13], v[12:13], 1, s[36:37]
	global_load_ushort v12, v[12:13], off offset:64
	s_waitcnt vmcnt(0)
	v_cvt_f32_f16_e32 v12, v12
	v_mul_f32_e32 v12, v25, v12
	s_branch .LBB59_41
.LBB59_40:
	v_mov_b32_e32 v12, 0
.LBB59_41:
	v_add_f32_e32 v3, v3, v12
	v_add_f32_e32 v12, 0x40051340, v3
	v_max_f32_e32 v11, v11, v11
	v_max_f32_e32 v11, v11, v12
.LBB59_42:
	s_or_b64 exec, exec, s[12:13]
	ds_bpermute_b32 v12, v19, v11
	v_max_f32_e32 v11, v11, v11
	s_mov_b64 s[14:15], src_private_base
	v_sub_f32_e32 v0, v0, v38
	s_mov_b32 s14, 0x3fb8aa3b
	s_waitcnt lgkmcnt(0)
	v_max_f32_e32 v12, v12, v12
	v_max_f32_e32 v11, v11, v12
	ds_bpermute_b32 v12, v21, v11
	v_mul_f32_e32 v13, 0x3fb8aa3b, v0
	v_fma_f32 v19, v0, s14, -v13
	v_fmac_f32_e32 v19, 0x32a5705f, v0
	v_sub_f32_e32 v2, v2, v38
	s_waitcnt lgkmcnt(0)
	v_max_f32_e32 v12, v12, v12
	v_max_f32_e32 v11, v11, v12
	ds_bpermute_b32 v12, v20, v11
	v_rndne_f32_e32 v20, v13
	v_sub_f32_e32 v13, v13, v20
	v_add_f32_e32 v13, v13, v19
	v_exp_f32_e32 v13, v13
	s_waitcnt lgkmcnt(0)
	v_max_f32_e32 v12, v12, v12
	v_max_f32_e32 v11, v11, v12
	ds_bpermute_b32 v12, v18, v11
	v_cvt_i32_f32_e32 v18, v20
	s_mov_b32 s18, 0xc2ce8ed0
	v_cmp_ngt_f32_e32 vcc, s18, v0
	s_mov_b32 s19, 0x42b17218
	s_waitcnt lgkmcnt(0)
	v_max_f32_e32 v12, v12, v12
	v_max_f32_e32 v11, v11, v12
	ds_bpermute_b32 v10, v10, v11
	v_ldexp_f32 v12, v13, v18
	v_cndmask_b32_e32 v12, 0, v12, vcc
	v_mov_b32_e32 v18, 0x7f800000
	v_cmp_nlt_f32_e32 vcc, s19, v0
	s_waitcnt lgkmcnt(0)
	v_max_f32_e32 v10, v10, v10
	v_max_f32_e32 v39, v11, v10
	v_mul_f32_e32 v10, 0x3fb8aa3b, v2
	v_fma_f32 v11, v2, s14, -v10
	v_rndne_f32_e32 v13, v10
	v_fmac_f32_e32 v11, 0x32a5705f, v2
	v_sub_f32_e32 v10, v10, v13
	v_add_f32_e32 v10, v10, v11
	v_exp_f32_e32 v10, v10
	v_cvt_i32_f32_e32 v11, v13
	v_cndmask_b32_e32 v0, v18, v12, vcc
	v_cmp_gt_u32_e32 vcc, s38, v36
	v_sub_f32_e32 v1, v1, v39
	v_cmp_ngt_f32_e64 s[10:11], s18, v2
	v_cndmask_b32_e32 v19, 0, v0, vcc
	v_ldexp_f32 v0, v10, v11
	v_mul_f32_e32 v10, 0x3fb8aa3b, v1
	v_fma_f32 v11, v1, s14, -v10
	v_rndne_f32_e32 v12, v10
	v_fmac_f32_e32 v11, 0x32a5705f, v1
	v_sub_f32_e32 v10, v10, v12
	v_add_f32_e32 v10, v10, v11
	v_exp_f32_e32 v10, v10
	v_cvt_i32_f32_e32 v11, v12
	v_cndmask_b32_e64 v0, 0, v0, s[10:11]
	v_cmp_nlt_f32_e64 s[10:11], s19, v2
	v_sub_f32_e32 v2, v3, v39
	v_mul_f32_e32 v3, 0x3fb8aa3b, v2
	v_cndmask_b32_e64 v0, v18, v0, s[10:11]
	v_cmp_gt_u32_e64 s[10:11], s38, v9
	v_cmp_ngt_f32_e64 s[12:13], s18, v1
	v_lshlrev_b32_e32 v37, 8, v24
	v_cndmask_b32_e64 v20, 0, v0, s[10:11]
	v_ldexp_f32 v0, v10, v11
	v_fma_f32 v10, v2, s14, -v3
	v_rndne_f32_e32 v11, v3
	v_fmac_f32_e32 v10, 0x32a5705f, v2
	v_sub_f32_e32 v3, v3, v11
	v_add_f32_e32 v3, v3, v10
	v_exp_f32_e32 v3, v3
	v_cvt_i32_f32_e32 v10, v11
	v_cndmask_b32_e64 v0, 0, v0, s[12:13]
	v_cmp_nlt_f32_e64 s[12:13], s19, v1
	s_barrier
	s_nop 0
	v_cndmask_b32_e64 v0, v18, v0, s[12:13]
	v_cndmask_b32_e32 v21, 0, v0, vcc
	v_ldexp_f32 v0, v3, v10
	v_cmp_ngt_f32_e32 vcc, s18, v2
	v_mul_lo_u32 v10, s2, v14
	s_nop 0
	v_cndmask_b32_e32 v0, 0, v0, vcc
	v_cmp_nlt_f32_e32 vcc, s19, v2
	v_cvt_pk_f16_f32 v2, v19, v21
	v_ashrrev_i32_e32 v11, 31, v10
	v_cndmask_b32_e32 v0, v18, v0, vcc
	v_cndmask_b32_e64 v22, 0, v0, s[10:11]
	s_mul_hi_i32 s11, s40, s2
	s_mul_i32 s10, s40, s2
	v_add_u32_e32 v0, 0x5400, v37
	s_lshl_b64 s[10:11], s[10:11], 2
	v_add_u32_e32 v1, v0, v45
	s_add_u32 s10, s22, s10
	ds_write_b32 v1, v2
	v_lshl_add_u32 v0, v9, 2, v0
	v_cvt_pk_f16_f32 v1, v20, v22
	s_addc_u32 s11, s23, s11
	s_mov_b32 s36, 0
	ds_write_b32 v0, v1
	v_lshl_add_u64 v[0:1], v[10:11], 2, s[10:11]
	v_mov_b32_e32 v9, 0
	s_mov_b32 s37, s36
	s_mov_b32 s38, s36
	v_mov_b32_e32 v30, s36
	v_lshl_add_u64 v[0:1], v[0:1], 0, v[8:9]
	v_mov_b32_e32 v31, s37
	v_mov_b32_e32 v32, s38
	v_mov_b32_e32 v23, s15
	v_mov_b32_e32 v24, 0
	scratch_store_dword off, v9, off
	scratch_store_dwordx3 off, v[30:32], off offset:4
	v_cndmask_b32_e64 v1, v23, v1, s[16:17]
	v_cndmask_b32_e64 v0, v24, v0, s[16:17]
	flat_load_dwordx4 v[0:3], v[0:1]
	s_lshl_b32 s2, s2, 4
	v_add_u32_e32 v10, s2, v10
	v_ashrrev_i32_e32 v11, 31, v10
	v_lshl_add_u64 v[12:13], v[10:11], 2, s[10:11]
	v_lshl_or_b32 v14, v14, 8, v8
	v_lshl_add_u64 v[12:13], v[12:13], 0, v[8:9]
	v_cndmask_b32_e64 v13, v23, v13, s[6:7]
	v_cndmask_b32_e64 v12, v24, v12, s[6:7]
	scratch_store_dword off, v9, off
	scratch_store_dwordx3 off, v[30:32], off offset:4
	v_add_u32_e32 v10, s2, v10
	v_ashrrev_i32_e32 v11, 31, v10
	v_sub_f32_e32 v6, v6, v38
	v_cmp_ngt_f32_e32 vcc, s18, v6
	v_add_f32_e32 v40, v19, v20
	v_add_f32_e32 v41, v21, v22
	v_add_u32_e32 v34, 0x800, v47
	v_add_u32_e32 v55, 0x1000, v47
	;; [unrolled: 1-line block ×3, first 2 shown]
	s_waitcnt vmcnt(0) lgkmcnt(0)
	ds_write_b128 v14, v[0:3]
	flat_load_dwordx4 v[0:3], v[12:13]
	v_lshl_add_u64 v[12:13], v[10:11], 2, s[10:11]
	v_lshl_or_b32 v14, v15, 8, v8
	v_lshl_add_u64 v[12:13], v[12:13], 0, v[8:9]
	v_cndmask_b32_e64 v13, v23, v13, s[4:5]
	v_cndmask_b32_e64 v12, v24, v12, s[4:5]
	scratch_store_dword off, v9, off
	scratch_store_dwordx3 off, v[30:32], off offset:4
	v_add_u32_e32 v10, s2, v10
	v_ashrrev_i32_e32 v11, 31, v10
	v_lshl_add_u64 v[10:11], v[10:11], 2, s[10:11]
	v_lshl_add_u64 v[10:11], v[10:11], 0, v[8:9]
	v_cndmask_b32_e64 v11, v23, v11, s[8:9]
	v_cndmask_b32_e64 v10, v24, v10, s[8:9]
	v_cmp_nlt_f32_e64 s[4:5], s19, v6
	s_mov_b32 s2, 0x10001
	s_waitcnt vmcnt(0) lgkmcnt(0)
	ds_write_b128 v14, v[0:3]
	flat_load_dwordx4 v[0:3], v[12:13]
	v_lshl_or_b32 v12, v17, 8, v8
	scratch_store_dword off, v9, off
	scratch_store_dwordx3 off, v[30:32], off offset:4
	v_mul_f32_e32 v9, 0x3fb8aa3b, v6
	v_lshl_or_b32 v8, v16, 8, v8
	s_waitcnt vmcnt(0) lgkmcnt(0)
	ds_write_b128 v12, v[0:3]
	flat_load_dwordx4 v[0:3], v[10:11]
	v_fma_f32 v10, v6, s14, -v9
	v_rndne_f32_e32 v11, v9
	v_fmac_f32_e32 v10, 0x32a5705f, v6
	v_sub_f32_e32 v9, v9, v11
	v_add_f32_e32 v9, v9, v10
	v_cvt_i32_f32_e32 v11, v11
	v_exp_f32_e32 v9, v9
	s_waitcnt vmcnt(0) lgkmcnt(0)
	ds_write_b128 v8, v[0:3]
	v_ldexp_f32 v6, v9, v11
	v_cndmask_b32_e32 v6, 0, v6, vcc
	v_cndmask_b32_e64 v6, v18, v6, s[4:5]
	v_fmac_f32_e32 v40, v4, v6
	v_sub_f32_e32 v4, v7, v39
	v_cvt_f16_f32_e32 v9, v6
	v_mul_f32_e32 v6, 0x3fb8aa3b, v4
	v_fma_f32 v7, v4, s14, -v6
	v_rndne_f32_e32 v10, v6
	v_fmac_f32_e32 v7, 0x32a5705f, v4
	v_sub_f32_e32 v6, v6, v10
	v_add_f32_e32 v6, v6, v7
	v_cvt_i32_f32_e32 v10, v10
	v_exp_f32_e32 v6, v6
	v_cmp_ngt_f32_e32 vcc, s18, v4
	v_cmp_nlt_f32_e64 s[4:5], s19, v4
	v_mul_u32_u24_e32 v35, 0x10001, v9
	v_ldexp_f32 v4, v6, v10
	v_cndmask_b32_e32 v4, 0, v4, vcc
	v_cndmask_b32_e64 v4, v18, v4, s[4:5]
	v_cvt_f16_f32_e32 v6, v4
	v_pk_mul_f16 v73, v27, v35
	v_fmac_f32_e32 v41, v5, v4
	s_waitcnt lgkmcnt(0)
	v_mul_u32_u24_e32 v74, 0x10001, v6
	v_pk_mul_f16 v75, v26, v74
	s_barrier
	ds_read2_b64 v[30:33], v47 offset1:32
	ds_read_b128 v[20:23], v37 offset:21504
	ds_read_b128 v[56:59], v37 offset:21520
	;; [unrolled: 1-line block ×4, first 2 shown]
	ds_read2_b64 v[68:71], v47 offset0:64 offset1:96
	ds_read2_b64 v[24:27], v47 offset0:128 offset1:160
	ds_read2_b64 v[16:19], v47 offset0:192 offset1:224
	ds_read2_b64 v[4:7], v34 offset1:32
	ds_read_b128 v[12:15], v37 offset:21568
	ds_read_b128 v[0:3], v37 offset:21584
	;; [unrolled: 1-line block ×3, first 2 shown]
	s_waitcnt lgkmcnt(10)
	v_mul_u32_u24_sdwa v76, v20, s2 dst_sel:DWORD dst_unused:UNUSED_PAD src0_sel:WORD_0 src1_sel:DWORD
	v_mul_u32_u24_sdwa v77, v20, s2 dst_sel:DWORD dst_unused:UNUSED_PAD src0_sel:WORD_1 src1_sel:DWORD
	v_pk_mul_f16 v20, v30, v76
	v_pk_mul_f16 v30, v30, v77
	v_mul_u32_u24_sdwa v78, v21, s2 dst_sel:DWORD dst_unused:UNUSED_PAD src0_sel:WORD_0 src1_sel:DWORD
	v_mul_u32_u24_sdwa v79, v21, s2 dst_sel:DWORD dst_unused:UNUSED_PAD src0_sel:WORD_1 src1_sel:DWORD
	v_pk_fma_f16 v29, v29, v35, v20
	v_pk_fma_f16 v35, v31, v76, v73
	;; [unrolled: 1-line block ×4, first 2 shown]
	v_mul_u32_u24_sdwa v80, v22, s2 dst_sel:DWORD dst_unused:UNUSED_PAD src0_sel:WORD_0 src1_sel:DWORD
	v_mul_u32_u24_sdwa v81, v22, s2 dst_sel:DWORD dst_unused:UNUSED_PAD src0_sel:WORD_1 src1_sel:DWORD
	v_pk_fma_f16 v30, v33, v78, v35
	v_pk_fma_f16 v29, v32, v78, v29
	;; [unrolled: 1-line block ×4, first 2 shown]
	v_mul_u32_u24_sdwa v82, v23, s2 dst_sel:DWORD dst_unused:UNUSED_PAD src0_sel:WORD_0 src1_sel:DWORD
	v_mul_u32_u24_sdwa v83, v23, s2 dst_sel:DWORD dst_unused:UNUSED_PAD src0_sel:WORD_1 src1_sel:DWORD
	s_waitcnt lgkmcnt(7)
	v_mul_u32_u24_sdwa v100, v64, s2 dst_sel:DWORD dst_unused:UNUSED_PAD src0_sel:WORD_0 src1_sel:DWORD
	v_mul_u32_u24_sdwa v101, v64, s2 dst_sel:DWORD dst_unused:UNUSED_PAD src0_sel:WORD_1 src1_sel:DWORD
	s_waitcnt lgkmcnt(6)
	v_pk_fma_f16 v32, v69, v80, v30
	v_pk_fma_f16 v33, v69, v81, v31
	;; [unrolled: 1-line block ×4, first 2 shown]
	v_mul_u32_u24_sdwa v84, v56, s2 dst_sel:DWORD dst_unused:UNUSED_PAD src0_sel:WORD_0 src1_sel:DWORD
	v_mul_u32_u24_sdwa v85, v56, s2 dst_sel:DWORD dst_unused:UNUSED_PAD src0_sel:WORD_1 src1_sel:DWORD
	v_mul_u32_u24_sdwa v102, v65, s2 dst_sel:DWORD dst_unused:UNUSED_PAD src0_sel:WORD_0 src1_sel:DWORD
	v_mul_u32_u24_sdwa v103, v65, s2 dst_sel:DWORD dst_unused:UNUSED_PAD src0_sel:WORD_1 src1_sel:DWORD
	;; [unrolled: 2-line block ×4, first 2 shown]
	v_pk_fma_f16 v65, v71, v82, v32
	v_pk_fma_f16 v66, v71, v83, v33
	;; [unrolled: 1-line block ×4, first 2 shown]
	v_mul_u32_u24_sdwa v86, v57, s2 dst_sel:DWORD dst_unused:UNUSED_PAD src0_sel:WORD_0 src1_sel:DWORD
	v_mul_u32_u24_sdwa v87, v57, s2 dst_sel:DWORD dst_unused:UNUSED_PAD src0_sel:WORD_1 src1_sel:DWORD
	s_waitcnt lgkmcnt(5)
	v_pk_fma_f16 v68, v25, v84, v65
	v_pk_fma_f16 v25, v25, v85, v66
	;; [unrolled: 1-line block ×4, first 2 shown]
	v_mul_u32_u24_sdwa v88, v58, s2 dst_sel:DWORD dst_unused:UNUSED_PAD src0_sel:WORD_0 src1_sel:DWORD
	v_mul_u32_u24_sdwa v89, v58, s2 dst_sel:DWORD dst_unused:UNUSED_PAD src0_sel:WORD_1 src1_sel:DWORD
	v_mul_u32_u24_sdwa v90, v59, s2 dst_sel:DWORD dst_unused:UNUSED_PAD src0_sel:WORD_0 src1_sel:DWORD
	v_mul_u32_u24_sdwa v91, v59, s2 dst_sel:DWORD dst_unused:UNUSED_PAD src0_sel:WORD_1 src1_sel:DWORD
	ds_read2_b64 v[56:59], v34 offset0:64 offset1:96
	v_pk_fma_f16 v73, v27, v86, v68
	v_pk_fma_f16 v74, v27, v87, v25
	;; [unrolled: 1-line block ×4, first 2 shown]
	s_waitcnt lgkmcnt(5)
	v_pk_fma_f16 v73, v17, v88, v73
	v_pk_fma_f16 v76, v16, v88, v25
	;; [unrolled: 1-line block ×4, first 2 shown]
	v_mul_u32_u24_sdwa v92, v60, s2 dst_sel:DWORD dst_unused:UNUSED_PAD src0_sel:WORD_0 src1_sel:DWORD
	v_mul_u32_u24_sdwa v93, v60, s2 dst_sel:DWORD dst_unused:UNUSED_PAD src0_sel:WORD_1 src1_sel:DWORD
	v_mul_u32_u24_sdwa v94, v61, s2 dst_sel:DWORD dst_unused:UNUSED_PAD src0_sel:WORD_0 src1_sel:DWORD
	v_mul_u32_u24_sdwa v95, v61, s2 dst_sel:DWORD dst_unused:UNUSED_PAD src0_sel:WORD_1 src1_sel:DWORD
	;; [unrolled: 2-line block ×4, first 2 shown]
	ds_read2_b64 v[60:63], v34 offset0:128 offset1:160
	v_pk_fma_f16 v73, v19, v90, v73
	v_pk_fma_f16 v74, v18, v90, v76
	;; [unrolled: 1-line block ×4, first 2 shown]
	s_waitcnt lgkmcnt(5)
	v_pk_fma_f16 v73, v5, v92, v73
	v_pk_fma_f16 v74, v4, v92, v74
	;; [unrolled: 1-line block ×4, first 2 shown]
	ds_read2_b64 v[28:31], v34 offset0:192 offset1:224
	v_pk_fma_f16 v17, v7, v94, v73
	v_pk_fma_f16 v73, v6, v94, v74
	v_pk_fma_f16 v5, v7, v95, v5
	v_pk_fma_f16 v4, v6, v95, v4
	s_waitcnt lgkmcnt(2)
	v_pk_fma_f16 v6, v57, v96, v17
	v_pk_fma_f16 v7, v56, v96, v73
	;; [unrolled: 1-line block ×4, first 2 shown]
	ds_read2_b64 v[32:35], v55 offset1:32
	v_mul_u32_u24_sdwa v17, v8, s2 dst_sel:DWORD dst_unused:UNUSED_PAD src0_sel:WORD_0 src1_sel:DWORD
	v_pk_fma_f16 v6, v59, v98, v6
	v_pk_fma_f16 v7, v58, v98, v7
	v_mul_u32_u24_sdwa v56, v8, s2 dst_sel:DWORD dst_unused:UNUSED_PAD src0_sel:WORD_1 src1_sel:DWORD
	v_pk_fma_f16 v8, v59, v99, v5
	v_pk_fma_f16 v57, v58, v99, v4
	v_mul_u32_u24_sdwa v58, v9, s2 dst_sel:DWORD dst_unused:UNUSED_PAD src0_sel:WORD_0 src1_sel:DWORD
	v_mul_u32_u24_sdwa v59, v9, s2 dst_sel:DWORD dst_unused:UNUSED_PAD src0_sel:WORD_1 src1_sel:DWORD
	v_mul_u32_u24_sdwa v73, v10, s2 dst_sel:DWORD dst_unused:UNUSED_PAD src0_sel:WORD_0 src1_sel:DWORD
	v_mul_u32_u24_sdwa v86, v10, s2 dst_sel:DWORD dst_unused:UNUSED_PAD src0_sel:WORD_1 src1_sel:DWORD
	;; [unrolled: 2-line block ×3, first 2 shown]
	s_waitcnt lgkmcnt(2)
	v_pk_fma_f16 v9, v61, v100, v6
	v_pk_fma_f16 v10, v60, v100, v7
	;; [unrolled: 1-line block ×4, first 2 shown]
	ds_read2_b64 v[64:67], v55 offset0:64 offset1:96
	v_pk_fma_f16 v60, v63, v102, v9
	v_pk_fma_f16 v61, v62, v102, v10
	;; [unrolled: 1-line block ×4, first 2 shown]
	s_waitcnt lgkmcnt(2)
	v_pk_fma_f16 v60, v29, v104, v60
	v_pk_fma_f16 v29, v29, v105, v63
	;; [unrolled: 1-line block ×4, first 2 shown]
	ds_read2_b64 v[68:71], v55 offset0:128 offset1:160
	ds_read2_b64 v[24:27], v55 offset0:192 offset1:224
	v_mul_u32_u24_sdwa v55, v12, s2 dst_sel:DWORD dst_unused:UNUSED_PAD src0_sel:WORD_0 src1_sel:DWORD
	v_mul_u32_u24_sdwa v75, v12, s2 dst_sel:DWORD dst_unused:UNUSED_PAD src0_sel:WORD_1 src1_sel:DWORD
	v_pk_fma_f16 v60, v31, v106, v60
	v_pk_fma_f16 v29, v31, v107, v29
	v_pk_fma_f16 v31, v30, v106, v61
	v_pk_fma_f16 v28, v30, v107, v28
	v_mul_u32_u24_sdwa v18, v13, s2 dst_sel:DWORD dst_unused:UNUSED_PAD src0_sel:WORD_0 src1_sel:DWORD
	v_mul_u32_u24_sdwa v19, v13, s2 dst_sel:DWORD dst_unused:UNUSED_PAD src0_sel:WORD_1 src1_sel:DWORD
	s_waitcnt lgkmcnt(3)
	v_pk_fma_f16 v30, v33, v55, v60
	v_pk_fma_f16 v29, v33, v75, v29
	;; [unrolled: 1-line block ×4, first 2 shown]
	v_mul_u32_u24_sdwa v76, v14, s2 dst_sel:DWORD dst_unused:UNUSED_PAD src0_sel:WORD_0 src1_sel:DWORD
	v_mul_u32_u24_sdwa v77, v14, s2 dst_sel:DWORD dst_unused:UNUSED_PAD src0_sel:WORD_1 src1_sel:DWORD
	v_pk_fma_f16 v30, v35, v18, v30
	v_pk_fma_f16 v29, v35, v19, v29
	;; [unrolled: 1-line block ×4, first 2 shown]
	v_mul_u32_u24_sdwa v78, v15, s2 dst_sel:DWORD dst_unused:UNUSED_PAD src0_sel:WORD_0 src1_sel:DWORD
	v_mul_u32_u24_sdwa v79, v15, s2 dst_sel:DWORD dst_unused:UNUSED_PAD src0_sel:WORD_1 src1_sel:DWORD
	s_waitcnt lgkmcnt(2)
	v_pk_fma_f16 v28, v65, v76, v30
	v_pk_fma_f16 v29, v65, v77, v29
	;; [unrolled: 1-line block ×4, first 2 shown]
	ds_read2_b64 v[12:15], v72 offset1:32
	v_mul_u32_u24_sdwa v16, v0, s2 dst_sel:DWORD dst_unused:UNUSED_PAD src0_sel:WORD_0 src1_sel:DWORD
	v_mul_u32_u24_sdwa v74, v0, s2 dst_sel:DWORD dst_unused:UNUSED_PAD src0_sel:WORD_1 src1_sel:DWORD
	v_pk_fma_f16 v28, v67, v78, v28
	v_pk_fma_f16 v29, v67, v79, v29
	;; [unrolled: 1-line block ×4, first 2 shown]
	v_mul_u32_u24_sdwa v80, v1, s2 dst_sel:DWORD dst_unused:UNUSED_PAD src0_sel:WORD_0 src1_sel:DWORD
	v_mul_u32_u24_sdwa v81, v1, s2 dst_sel:DWORD dst_unused:UNUSED_PAD src0_sel:WORD_1 src1_sel:DWORD
	s_waitcnt lgkmcnt(2)
	v_pk_fma_f16 v28, v69, v16, v28
	v_pk_fma_f16 v29, v69, v74, v29
	;; [unrolled: 1-line block ×4, first 2 shown]
	v_mul_u32_u24_sdwa v82, v2, s2 dst_sel:DWORD dst_unused:UNUSED_PAD src0_sel:WORD_0 src1_sel:DWORD
	v_mul_u32_u24_sdwa v83, v2, s2 dst_sel:DWORD dst_unused:UNUSED_PAD src0_sel:WORD_1 src1_sel:DWORD
	v_mul_u32_u24_sdwa v84, v3, s2 dst_sel:DWORD dst_unused:UNUSED_PAD src0_sel:WORD_0 src1_sel:DWORD
	v_mul_u32_u24_sdwa v85, v3, s2 dst_sel:DWORD dst_unused:UNUSED_PAD src0_sel:WORD_1 src1_sel:DWORD
	ds_read2_b64 v[0:3], v72 offset0:64 offset1:96
	v_pk_fma_f16 v19, v71, v80, v28
	v_pk_fma_f16 v28, v71, v81, v29
	v_pk_fma_f16 v16, v70, v80, v16
	v_pk_fma_f16 v18, v70, v81, v18
	ds_read_b128 v[20:23], v37 offset:21616
	s_waitcnt lgkmcnt(3)
	v_pk_fma_f16 v19, v25, v82, v19
	v_pk_fma_f16 v25, v25, v83, v28
	;; [unrolled: 1-line block ×4, first 2 shown]
	ds_read2_b64 v[4:7], v72 offset0:128 offset1:160
	v_pk_fma_f16 v19, v27, v84, v19
	v_pk_fma_f16 v24, v27, v85, v25
	;; [unrolled: 1-line block ×4, first 2 shown]
	s_waitcnt lgkmcnt(3)
	v_pk_fma_f16 v19, v13, v17, v19
	v_pk_fma_f16 v13, v13, v56, v24
	;; [unrolled: 1-line block ×4, first 2 shown]
	ds_read2_b64 v[8:11], v72 offset0:192 offset1:224
	v_pk_fma_f16 v17, v15, v58, v19
	v_pk_fma_f16 v13, v15, v59, v13
	;; [unrolled: 1-line block ×4, first 2 shown]
	s_waitcnt lgkmcnt(3)
	v_pk_fma_f16 v14, v1, v73, v17
	v_pk_fma_f16 v1, v1, v86, v13
	;; [unrolled: 1-line block ×4, first 2 shown]
	s_waitcnt lgkmcnt(2)
	v_mul_u32_u24_sdwa v57, v20, s2 dst_sel:DWORD dst_unused:UNUSED_PAD src0_sel:WORD_0 src1_sel:DWORD
	v_mul_u32_u24_sdwa v20, v20, s2 dst_sel:DWORD dst_unused:UNUSED_PAD src0_sel:WORD_1 src1_sel:DWORD
	v_pk_fma_f16 v12, v3, v87, v14
	v_pk_fma_f16 v1, v3, v88, v1
	v_pk_fma_f16 v3, v2, v87, v13
	v_pk_fma_f16 v0, v2, v88, v0
	v_mul_u32_u24_sdwa v89, v21, s2 dst_sel:DWORD dst_unused:UNUSED_PAD src0_sel:WORD_0 src1_sel:DWORD
	v_mul_u32_u24_sdwa v21, v21, s2 dst_sel:DWORD dst_unused:UNUSED_PAD src0_sel:WORD_1 src1_sel:DWORD
	s_waitcnt lgkmcnt(1)
	v_pk_fma_f16 v2, v5, v57, v12
	v_pk_fma_f16 v1, v5, v20, v1
	;; [unrolled: 1-line block ×4, first 2 shown]
	v_mul_u32_u24_sdwa v90, v22, s2 dst_sel:DWORD dst_unused:UNUSED_PAD src0_sel:WORD_0 src1_sel:DWORD
	v_mul_u32_u24_sdwa v22, v22, s2 dst_sel:DWORD dst_unused:UNUSED_PAD src0_sel:WORD_1 src1_sel:DWORD
	v_pk_fma_f16 v2, v7, v89, v2
	v_pk_fma_f16 v1, v7, v21, v1
	;; [unrolled: 1-line block ×4, first 2 shown]
	v_mul_u32_u24_sdwa v91, v23, s2 dst_sel:DWORD dst_unused:UNUSED_PAD src0_sel:WORD_0 src1_sel:DWORD
	v_mul_u32_u24_sdwa v23, v23, s2 dst_sel:DWORD dst_unused:UNUSED_PAD src0_sel:WORD_1 src1_sel:DWORD
	s_waitcnt lgkmcnt(0)
	v_pk_fma_f16 v2, v9, v90, v2
	v_pk_fma_f16 v9, v9, v22, v1
	;; [unrolled: 1-line block ×7, first 2 shown]
	ds_read_b128 v[0:3], v37 offset:21632
	v_add_u32_e32 v16, 0x2000, v47
	ds_read2_b64 v[4:7], v16 offset1:32
	v_pk_fma_f16 v15, v11, v23, v9
	ds_read_b128 v[8:11], v37 offset:21648
	s_waitcnt lgkmcnt(2)
	v_mul_u32_u24_sdwa v17, v0, s2 dst_sel:DWORD dst_unused:UNUSED_PAD src0_sel:WORD_0 src1_sel:DWORD
	v_mul_u32_u24_sdwa v0, v0, s2 dst_sel:DWORD dst_unused:UNUSED_PAD src0_sel:WORD_1 src1_sel:DWORD
	s_waitcnt lgkmcnt(1)
	v_pk_fma_f16 v12, v4, v17, v12
	v_pk_fma_f16 v4, v4, v0, v13
	v_pk_fma_f16 v17, v5, v17, v14
	v_pk_fma_f16 v0, v5, v0, v15
	v_mul_u32_u24_sdwa v5, v1, s2 dst_sel:DWORD dst_unused:UNUSED_PAD src0_sel:WORD_0 src1_sel:DWORD
	v_pk_fma_f16 v18, v6, v5, v12
	ds_read2_b64 v[12:15], v16 offset0:64 offset1:96
	v_mul_u32_u24_sdwa v1, v1, s2 dst_sel:DWORD dst_unused:UNUSED_PAD src0_sel:WORD_1 src1_sel:DWORD
	v_pk_fma_f16 v4, v6, v1, v4
	v_pk_fma_f16 v5, v7, v5, v17
	v_pk_fma_f16 v0, v7, v1, v0
	v_mul_u32_u24_sdwa v1, v2, s2 dst_sel:DWORD dst_unused:UNUSED_PAD src0_sel:WORD_0 src1_sel:DWORD
	v_mul_u32_u24_sdwa v2, v2, s2 dst_sel:DWORD dst_unused:UNUSED_PAD src0_sel:WORD_1 src1_sel:DWORD
	s_waitcnt lgkmcnt(0)
	v_pk_fma_f16 v6, v12, v1, v18
	v_pk_fma_f16 v4, v12, v2, v4
	v_pk_fma_f16 v5, v13, v1, v5
	v_pk_fma_f16 v7, v13, v2, v0
	v_mul_u32_u24_sdwa v12, v3, s2 dst_sel:DWORD dst_unused:UNUSED_PAD src0_sel:WORD_0 src1_sel:DWORD
	v_mul_u32_u24_sdwa v13, v3, s2 dst_sel:DWORD dst_unused:UNUSED_PAD src0_sel:WORD_1 src1_sel:DWORD
	ds_read2_b64 v[0:3], v16 offset0:128 offset1:160
	v_pk_fma_f16 v6, v14, v12, v6
	v_pk_fma_f16 v4, v14, v13, v4
	v_pk_fma_f16 v5, v15, v12, v5
	v_pk_fma_f16 v7, v15, v13, v7
	v_mul_u32_u24_sdwa v12, v8, s2 dst_sel:DWORD dst_unused:UNUSED_PAD src0_sel:WORD_0 src1_sel:DWORD
	v_mul_u32_u24_sdwa v8, v8, s2 dst_sel:DWORD dst_unused:UNUSED_PAD src0_sel:WORD_1 src1_sel:DWORD
	s_waitcnt lgkmcnt(0)
	v_pk_fma_f16 v6, v0, v12, v6
	v_pk_fma_f16 v0, v0, v8, v4
	v_pk_fma_f16 v12, v1, v12, v5
	v_pk_fma_f16 v1, v1, v8, v7
	v_mul_u32_u24_sdwa v8, v9, s2 dst_sel:DWORD dst_unused:UNUSED_PAD src0_sel:WORD_0 src1_sel:DWORD
	v_pk_fma_f16 v13, v2, v8, v6
	ds_read2_b64 v[4:7], v16 offset0:192 offset1:224
	v_mul_u32_u24_sdwa v9, v9, s2 dst_sel:DWORD dst_unused:UNUSED_PAD src0_sel:WORD_1 src1_sel:DWORD
	v_pk_fma_f16 v0, v2, v9, v0
	v_pk_fma_f16 v2, v3, v8, v12
	v_pk_fma_f16 v1, v3, v9, v1
	v_mul_u32_u24_sdwa v3, v10, s2 dst_sel:DWORD dst_unused:UNUSED_PAD src0_sel:WORD_0 src1_sel:DWORD
	v_mul_u32_u24_sdwa v8, v10, s2 dst_sel:DWORD dst_unused:UNUSED_PAD src0_sel:WORD_1 src1_sel:DWORD
	s_waitcnt lgkmcnt(0)
	v_pk_fma_f16 v9, v4, v3, v13
	v_pk_fma_f16 v0, v4, v8, v0
	v_pk_fma_f16 v2, v5, v3, v2
	v_pk_fma_f16 v4, v5, v8, v1
	v_mul_u32_u24_sdwa v1, v11, s2 dst_sel:DWORD dst_unused:UNUSED_PAD src0_sel:WORD_0 src1_sel:DWORD
	v_mul_u32_u24_sdwa v5, v11, s2 dst_sel:DWORD dst_unused:UNUSED_PAD src0_sel:WORD_1 src1_sel:DWORD
	v_pk_fma_f16 v12, v6, v1, v9
	v_pk_fma_f16 v13, v6, v5, v0
	v_pk_fma_f16 v14, v7, v1, v2
	ds_read_b128 v[0:3], v37 offset:21664
	v_add_u32_e32 v16, 0x2800, v47
	ds_read2_b64 v[8:11], v16 offset1:32
	v_pk_fma_f16 v15, v7, v5, v4
	ds_read_b128 v[4:7], v37 offset:21680
	s_waitcnt lgkmcnt(2)
	v_mul_u32_u24_sdwa v17, v0, s2 dst_sel:DWORD dst_unused:UNUSED_PAD src0_sel:WORD_0 src1_sel:DWORD
	v_mul_u32_u24_sdwa v0, v0, s2 dst_sel:DWORD dst_unused:UNUSED_PAD src0_sel:WORD_1 src1_sel:DWORD
	s_waitcnt lgkmcnt(1)
	v_pk_fma_f16 v12, v8, v17, v12
	v_pk_fma_f16 v8, v8, v0, v13
	v_pk_fma_f16 v17, v9, v17, v14
	v_pk_fma_f16 v0, v9, v0, v15
	v_mul_u32_u24_sdwa v9, v1, s2 dst_sel:DWORD dst_unused:UNUSED_PAD src0_sel:WORD_0 src1_sel:DWORD
	v_pk_fma_f16 v18, v10, v9, v12
	ds_read2_b64 v[12:15], v16 offset0:64 offset1:96
	v_mul_u32_u24_sdwa v1, v1, s2 dst_sel:DWORD dst_unused:UNUSED_PAD src0_sel:WORD_1 src1_sel:DWORD
	v_pk_fma_f16 v8, v10, v1, v8
	v_pk_fma_f16 v9, v11, v9, v17
	v_pk_fma_f16 v0, v11, v1, v0
	v_mul_u32_u24_sdwa v1, v2, s2 dst_sel:DWORD dst_unused:UNUSED_PAD src0_sel:WORD_0 src1_sel:DWORD
	v_mul_u32_u24_sdwa v2, v2, s2 dst_sel:DWORD dst_unused:UNUSED_PAD src0_sel:WORD_1 src1_sel:DWORD
	s_waitcnt lgkmcnt(0)
	v_pk_fma_f16 v10, v12, v1, v18
	v_pk_fma_f16 v8, v12, v2, v8
	v_pk_fma_f16 v9, v13, v1, v9
	v_pk_fma_f16 v11, v13, v2, v0
	v_mul_u32_u24_sdwa v12, v3, s2 dst_sel:DWORD dst_unused:UNUSED_PAD src0_sel:WORD_0 src1_sel:DWORD
	v_mul_u32_u24_sdwa v13, v3, s2 dst_sel:DWORD dst_unused:UNUSED_PAD src0_sel:WORD_1 src1_sel:DWORD
	ds_read2_b64 v[0:3], v16 offset0:128 offset1:160
	v_pk_fma_f16 v10, v14, v12, v10
	v_pk_fma_f16 v8, v14, v13, v8
	v_pk_fma_f16 v9, v15, v12, v9
	v_pk_fma_f16 v11, v15, v13, v11
	v_mul_u32_u24_sdwa v12, v4, s2 dst_sel:DWORD dst_unused:UNUSED_PAD src0_sel:WORD_0 src1_sel:DWORD
	v_mul_u32_u24_sdwa v4, v4, s2 dst_sel:DWORD dst_unused:UNUSED_PAD src0_sel:WORD_1 src1_sel:DWORD
	s_waitcnt lgkmcnt(0)
	v_pk_fma_f16 v10, v0, v12, v10
	v_pk_fma_f16 v0, v0, v4, v8
	v_pk_fma_f16 v12, v1, v12, v9
	v_pk_fma_f16 v1, v1, v4, v11
	v_mul_u32_u24_sdwa v4, v5, s2 dst_sel:DWORD dst_unused:UNUSED_PAD src0_sel:WORD_0 src1_sel:DWORD
	v_pk_fma_f16 v13, v2, v4, v10
	ds_read2_b64 v[8:11], v16 offset0:192 offset1:224
	v_mul_u32_u24_sdwa v5, v5, s2 dst_sel:DWORD dst_unused:UNUSED_PAD src0_sel:WORD_1 src1_sel:DWORD
	v_pk_fma_f16 v0, v2, v5, v0
	v_pk_fma_f16 v2, v3, v4, v12
	v_pk_fma_f16 v1, v3, v5, v1
	v_mul_u32_u24_sdwa v3, v6, s2 dst_sel:DWORD dst_unused:UNUSED_PAD src0_sel:WORD_0 src1_sel:DWORD
	v_mul_u32_u24_sdwa v4, v6, s2 dst_sel:DWORD dst_unused:UNUSED_PAD src0_sel:WORD_1 src1_sel:DWORD
	s_waitcnt lgkmcnt(0)
	v_pk_fma_f16 v5, v8, v3, v13
	v_pk_fma_f16 v0, v8, v4, v0
	v_pk_fma_f16 v2, v9, v3, v2
	v_pk_fma_f16 v8, v9, v4, v1
	v_mul_u32_u24_sdwa v1, v7, s2 dst_sel:DWORD dst_unused:UNUSED_PAD src0_sel:WORD_0 src1_sel:DWORD
	v_mul_u32_u24_sdwa v9, v7, s2 dst_sel:DWORD dst_unused:UNUSED_PAD src0_sel:WORD_1 src1_sel:DWORD
	v_pk_fma_f16 v12, v10, v1, v5
	v_pk_fma_f16 v13, v10, v9, v0
	v_pk_fma_f16 v14, v11, v1, v2
	;; [unrolled: 60-line block ×4, first 2 shown]
	v_pk_fma_f16 v26, v11, v4, v1
	v_mov_b64_e32 v[6:7], v[38:39]
	v_mov_b64_e32 v[4:5], v[40:41]
	s_barrier
.LBB59_43:
	v_cmp_lt_i32_e32 vcc, v50, v49
	s_cmp_eq_u64 s[20:21], 0
	s_cselect_b64 s[4:5], -1, 0
	v_cndmask_b32_e32 v0, v48, v50, vcc
	v_lshlrev_b32_e32 v1, 2, v0
	ds_bpermute_b32 v0, v1, v4
	ds_bpermute_b32 v1, v1, v5
	v_cmp_lt_i32_e32 vcc, v51, v49
	s_cmp_lg_u32 s3, 0
	s_cselect_b64 s[6:7], -1, 0
	v_cndmask_b32_e32 v2, v48, v51, vcc
	v_lshlrev_b32_e32 v3, 2, v2
	s_waitcnt lgkmcnt(0)
	v_pk_add_f32 v[0:1], v[4:5], v[0:1]
	ds_bpermute_b32 v2, v3, v0
	ds_bpermute_b32 v3, v3, v1
	v_cmp_lt_i32_e32 vcc, v52, v49
	s_or_b64 s[4:5], s[6:7], s[4:5]
	s_waitcnt lgkmcnt(0)
	v_pk_add_f32 v[0:1], v[0:1], v[2:3]
	v_cndmask_b32_e32 v4, v48, v52, vcc
	v_lshlrev_b32_e32 v4, 2, v4
	ds_bpermute_b32 v2, v4, v0
	ds_bpermute_b32 v3, v4, v1
	v_cmp_lt_i32_e32 vcc, v53, v49
	s_waitcnt lgkmcnt(0)
	v_pk_add_f32 v[0:1], v[0:1], v[2:3]
	v_cndmask_b32_e32 v4, v48, v53, vcc
	v_lshlrev_b32_e32 v4, 2, v4
	ds_bpermute_b32 v2, v4, v0
	ds_bpermute_b32 v3, v4, v1
	v_cmp_lt_i32_e32 vcc, v54, v49
	s_waitcnt lgkmcnt(0)
	v_pk_add_f32 v[0:1], v[0:1], v[2:3]
	v_cndmask_b32_e32 v4, v48, v54, vcc
	v_lshlrev_b32_e32 v4, 2, v4
	ds_bpermute_b32 v2, v4, v0
	ds_bpermute_b32 v3, v4, v1
	s_and_b64 vcc, exec, s[4:5]
	s_waitcnt lgkmcnt(0)
	v_pk_add_f32 v[0:1], v[0:1], v[2:3]
	s_cbranch_vccnz .LBB59_45
; %bb.44:
	s_lshl_b64 s[4:5], s[34:35], 2
	s_add_u32 s4, s20, s4
	s_addc_u32 s5, s21, s5
	v_mov_b32_e32 v2, 0
	global_load_dword v4, v2, s[4:5]
	v_max_f32_e32 v2, v6, v6
	v_max_f32_e32 v3, v7, v7
	s_mov_b32 s2, 0x3fb8aa3b
	s_mov_b32 s4, 0xc2ce8ed0
	s_mov_b32 s5, 0x42b17218
	v_mov_b32_e32 v8, 0x7f800000
	s_waitcnt vmcnt(0)
	v_max_f32_e32 v5, v4, v4
	v_max_f32_e32 v2, v2, v5
	;; [unrolled: 1-line block ×3, first 2 shown]
	v_sub_f32_e32 v5, v6, v2
	v_sub_f32_e32 v6, v4, v2
	;; [unrolled: 1-line block ×3, first 2 shown]
	v_mul_f32_e32 v4, 0x3fb8aa3b, v5
	v_sub_f32_e32 v7, v7, v3
	v_mul_f32_e32 v10, 0x3fb8aa3b, v6
	v_fma_f32 v13, v5, s2, -v4
	v_rndne_f32_e32 v14, v4
	v_mul_f32_e32 v11, 0x3fb8aa3b, v7
	v_fma_f32 v15, v6, s2, -v10
	v_rndne_f32_e32 v16, v10
	v_fmac_f32_e32 v13, 0x32a5705f, v5
	v_sub_f32_e32 v4, v4, v14
	v_mul_f32_e32 v12, 0x3fb8aa3b, v9
	v_fma_f32 v17, v7, s2, -v11
	v_rndne_f32_e32 v18, v11
	v_fmac_f32_e32 v15, 0x32a5705f, v6
	v_sub_f32_e32 v10, v10, v16
	v_add_f32_e32 v4, v4, v13
	v_fma_f32 v19, v9, s2, -v12
	v_rndne_f32_e32 v20, v12
	v_cvt_i32_f32_e32 v14, v14
	v_fmac_f32_e32 v17, 0x32a5705f, v7
	v_sub_f32_e32 v11, v11, v18
	v_add_f32_e32 v10, v10, v15
	v_exp_f32_e32 v4, v4
	v_cvt_i32_f32_e32 v16, v16
	v_fmac_f32_e32 v19, 0x32a5705f, v9
	v_sub_f32_e32 v12, v12, v20
	v_add_f32_e32 v11, v11, v17
	v_exp_f32_e32 v10, v10
	v_cvt_i32_f32_e32 v18, v18
	v_add_f32_e32 v12, v12, v19
	v_exp_f32_e32 v11, v11
	v_cvt_i32_f32_e32 v20, v20
	v_exp_f32_e32 v12, v12
	v_ldexp_f32 v4, v4, v14
	v_cmp_ngt_f32_e32 vcc, s4, v5
	v_ldexp_f32 v10, v10, v16
	v_ldexp_f32 v11, v11, v18
	v_cndmask_b32_e32 v4, 0, v4, vcc
	v_cmp_ngt_f32_e32 vcc, s4, v6
	v_ldexp_f32 v12, v12, v20
	s_nop 0
	v_cndmask_b32_e32 v10, 0, v10, vcc
	v_cmp_ngt_f32_e32 vcc, s4, v7
	s_nop 1
	v_cndmask_b32_e32 v11, 0, v11, vcc
	v_cmp_ngt_f32_e32 vcc, s4, v9
	s_nop 1
	v_cndmask_b32_e32 v12, 0, v12, vcc
	v_cmp_nlt_f32_e32 vcc, s5, v5
	s_nop 1
	v_cndmask_b32_e32 v4, v8, v4, vcc
	v_cmp_nlt_f32_e32 vcc, s5, v6
	;; [unrolled: 3-line block ×3, first 2 shown]
	v_cvt_f16_f32_e32 v10, v4
	s_nop 0
	v_cndmask_b32_e32 v5, v8, v11, vcc
	v_cvt_f16_f32_e32 v11, v5
	v_cmp_nlt_f32_e32 vcc, s5, v9
	s_nop 1
	v_cndmask_b32_e32 v7, v8, v12, vcc
	v_pk_fma_f32 v[0:1], v[0:1], v[4:5], v[6:7]
	v_mul_u32_u24_e32 v4, 0x10001, v10
	v_mul_u32_u24_e32 v5, 0x10001, v11
	v_pk_mul_f16 v29, v29, v4
	v_pk_mul_f16 v27, v27, v4
	;; [unrolled: 1-line block ×4, first 2 shown]
	v_mov_b64_e32 v[6:7], v[2:3]
.LBB59_45:
	v_cmp_gt_i32_e32 vcc, s30, v46
	s_and_saveexec_b64 s[4:5], vcc
	s_cbranch_execz .LBB59_55
; %bb.46:
	s_load_dword s2, s[0:1], 0xd4
	v_mov_b32_e32 v2, 1.0
	s_waitcnt lgkmcnt(0)
	s_cmp_lg_u32 s2, 1
	s_cselect_b64 s[4:5], -1, 0
	s_cmp_eq_u32 s2, 1
	s_cselect_b64 s[0:1], -1, 0
	s_and_b64 vcc, exec, s[4:5]
	s_cbranch_vccnz .LBB59_48
; %bb.47:
	v_div_scale_f32 v2, s[6:7], v0, v0, 1.0
	v_rcp_f32_e32 v3, v2
	v_div_scale_f32 v4, vcc, 1.0, v0, 1.0
	v_fma_f32 v5, -v2, v3, 1.0
	v_fmac_f32_e32 v3, v5, v3
	v_mul_f32_e32 v5, v4, v3
	v_fma_f32 v8, -v2, v5, v4
	v_fmac_f32_e32 v5, v8, v3
	v_fma_f32 v2, -v2, v5, v4
	v_div_fmas_f32 v2, v2, v3, v5
	v_div_fixup_f32 v2, v2, v0, 1.0
.LBB59_48:
	s_mul_i32 s8, s33, s30
	s_add_i32 s8, s8, s39
	v_add_u32_e32 v3, s8, v44
	v_mul_lo_u32 v3, v3, s31
	v_add_u32_e32 v3, s34, v3
	v_cvt_f32_f16_sdwa v11, v29 dst_sel:DWORD dst_unused:UNUSED_PAD src0_sel:WORD_1
	v_cvt_f32_f16_e32 v10, v29
	v_cvt_f32_f16_sdwa v13, v27 dst_sel:DWORD dst_unused:UNUSED_PAD src0_sel:WORD_1
	v_cvt_f32_f16_e32 v12, v27
	v_mul_lo_u32 v3, s2, v3
	v_add_u32_e32 v4, s3, v3
	v_cmp_eq_u32_e32 vcc, 0, v36
	v_lshl_add_u32 v8, v4, 7, v45
	v_mov_b32_e32 v9, 0
	v_lshl_add_u64 v[14:15], v[8:9], 2, s[24:25]
	v_pk_mul_f32 v[8:9], v[2:3], v[10:11] op_sel_hi:[0,1]
	v_pk_mul_f32 v[10:11], v[2:3], v[12:13] op_sel_hi:[0,1]
	s_and_b64 s[4:5], vcc, s[4:5]
	global_store_dwordx4 v[14:15], v[8:11], off
	s_and_saveexec_b64 s[6:7], s[4:5]
	s_cbranch_execz .LBB59_50
; %bb.49:
	v_ashrrev_i32_e32 v5, 31, v4
	v_lshl_add_u64 v[2:3], v[4:5], 3, s[26:27]
	v_mov_b32_e32 v4, v6
	v_mov_b32_e32 v5, v0
	global_store_dwordx2 v[2:3], v[4:5], off
.LBB59_50:
	s_or_b64 exec, exec, s[6:7]
	v_cmp_gt_i32_e32 vcc, s30, v43
	s_and_b64 exec, exec, vcc
	s_cbranch_execz .LBB59_55
; %bb.51:
	s_andn2_b64 vcc, exec, s[0:1]
	v_mov_b32_e32 v0, 1.0
	s_cbranch_vccnz .LBB59_53
; %bb.52:
	v_div_scale_f32 v0, s[0:1], v1, v1, 1.0
	v_rcp_f32_e32 v2, v0
	v_div_scale_f32 v3, vcc, 1.0, v1, 1.0
	v_fma_f32 v4, -v0, v2, 1.0
	v_fmac_f32_e32 v2, v4, v2
	v_mul_f32_e32 v4, v3, v2
	v_fma_f32 v5, -v0, v4, v3
	v_fmac_f32_e32 v4, v5, v2
	v_fma_f32 v0, -v0, v4, v3
	v_div_fmas_f32 v0, v0, v2, v4
	v_div_fixup_f32 v0, v0, v1, 1.0
.LBB59_53:
	v_add_u32_e32 v2, s8, v42
	v_mul_lo_u32 v2, v2, s31
	v_add_u32_e32 v2, s34, v2
	v_cvt_f32_f16_sdwa v9, v28 dst_sel:DWORD dst_unused:UNUSED_PAD src0_sel:WORD_1
	v_cvt_f32_f16_e32 v8, v28
	v_cvt_f32_f16_sdwa v11, v26 dst_sel:DWORD dst_unused:UNUSED_PAD src0_sel:WORD_1
	v_cvt_f32_f16_e32 v10, v26
	v_mul_lo_u32 v2, s2, v2
	v_add_u32_e32 v2, s3, v2
	v_lshl_add_u32 v4, v2, 7, v45
	v_mov_b32_e32 v5, 0
	v_lshl_add_u64 v[4:5], v[4:5], 2, s[24:25]
	v_pk_mul_f32 v[8:9], v[0:1], v[8:9] op_sel_hi:[0,1]
	v_pk_mul_f32 v[10:11], v[0:1], v[10:11] op_sel_hi:[0,1]
	global_store_dwordx4 v[4:5], v[8:11], off
	s_and_b64 exec, exec, s[4:5]
	s_cbranch_execz .LBB59_55
; %bb.54:
	v_ashrrev_i32_e32 v3, 31, v2
	v_lshl_add_u64 v[2:3], v[2:3], 3, s[26:27]
	v_mov_b32_e32 v0, v7
	global_store_dwordx2 v[2:3], v[0:1], off
.LBB59_55:
	s_endpgm
	.section	.rodata,"a",@progbits
	.p2align	6, 0x0
	.amdhsa_kernel _ZL15flash_attn_tileILi128ELi128ELi16ELi1ELb0EEvPKcS1_S1_S1_S1_PKiPfP15HIP_vector_typeIfLj2EEffffjfiS5_IjLj3EEiiiiiiiiiiiliiliiiiil
		.amdhsa_group_segment_fixed_size 23552
		.amdhsa_private_segment_fixed_size 32
		.amdhsa_kernarg_size 464
		.amdhsa_user_sgpr_count 2
		.amdhsa_user_sgpr_dispatch_ptr 0
		.amdhsa_user_sgpr_queue_ptr 0
		.amdhsa_user_sgpr_kernarg_segment_ptr 1
		.amdhsa_user_sgpr_dispatch_id 0
		.amdhsa_user_sgpr_kernarg_preload_length 0
		.amdhsa_user_sgpr_kernarg_preload_offset 0
		.amdhsa_user_sgpr_private_segment_size 0
		.amdhsa_uses_dynamic_stack 0
		.amdhsa_enable_private_segment 1
		.amdhsa_system_sgpr_workgroup_id_x 1
		.amdhsa_system_sgpr_workgroup_id_y 1
		.amdhsa_system_sgpr_workgroup_id_z 1
		.amdhsa_system_sgpr_workgroup_info 0
		.amdhsa_system_vgpr_workitem_id 1
		.amdhsa_next_free_vgpr 108
		.amdhsa_next_free_sgpr 91
		.amdhsa_accum_offset 108
		.amdhsa_reserve_vcc 1
		.amdhsa_float_round_mode_32 0
		.amdhsa_float_round_mode_16_64 0
		.amdhsa_float_denorm_mode_32 3
		.amdhsa_float_denorm_mode_16_64 3
		.amdhsa_dx10_clamp 1
		.amdhsa_ieee_mode 1
		.amdhsa_fp16_overflow 0
		.amdhsa_tg_split 0
		.amdhsa_exception_fp_ieee_invalid_op 0
		.amdhsa_exception_fp_denorm_src 0
		.amdhsa_exception_fp_ieee_div_zero 0
		.amdhsa_exception_fp_ieee_overflow 0
		.amdhsa_exception_fp_ieee_underflow 0
		.amdhsa_exception_fp_ieee_inexact 0
		.amdhsa_exception_int_div_zero 0
	.end_amdhsa_kernel
	.section	.text._ZL15flash_attn_tileILi128ELi128ELi16ELi1ELb0EEvPKcS1_S1_S1_S1_PKiPfP15HIP_vector_typeIfLj2EEffffjfiS5_IjLj3EEiiiiiiiiiiiliiliiiiil,"axG",@progbits,_ZL15flash_attn_tileILi128ELi128ELi16ELi1ELb0EEvPKcS1_S1_S1_S1_PKiPfP15HIP_vector_typeIfLj2EEffffjfiS5_IjLj3EEiiiiiiiiiiiliiliiiiil,comdat
.Lfunc_end59:
	.size	_ZL15flash_attn_tileILi128ELi128ELi16ELi1ELb0EEvPKcS1_S1_S1_S1_PKiPfP15HIP_vector_typeIfLj2EEffffjfiS5_IjLj3EEiiiiiiiiiiiliiliiiiil, .Lfunc_end59-_ZL15flash_attn_tileILi128ELi128ELi16ELi1ELb0EEvPKcS1_S1_S1_S1_PKiPfP15HIP_vector_typeIfLj2EEffffjfiS5_IjLj3EEiiiiiiiiiiiliiliiiiil
                                        ; -- End function
	.set _ZL15flash_attn_tileILi128ELi128ELi16ELi1ELb0EEvPKcS1_S1_S1_S1_PKiPfP15HIP_vector_typeIfLj2EEffffjfiS5_IjLj3EEiiiiiiiiiiiliiliiiiil.num_vgpr, 108
	.set _ZL15flash_attn_tileILi128ELi128ELi16ELi1ELb0EEvPKcS1_S1_S1_S1_PKiPfP15HIP_vector_typeIfLj2EEffffjfiS5_IjLj3EEiiiiiiiiiiiliiliiiiil.num_agpr, 0
	.set _ZL15flash_attn_tileILi128ELi128ELi16ELi1ELb0EEvPKcS1_S1_S1_S1_PKiPfP15HIP_vector_typeIfLj2EEffffjfiS5_IjLj3EEiiiiiiiiiiiliiliiiiil.numbered_sgpr, 48
	.set _ZL15flash_attn_tileILi128ELi128ELi16ELi1ELb0EEvPKcS1_S1_S1_S1_PKiPfP15HIP_vector_typeIfLj2EEffffjfiS5_IjLj3EEiiiiiiiiiiiliiliiiiil.num_named_barrier, 0
	.set _ZL15flash_attn_tileILi128ELi128ELi16ELi1ELb0EEvPKcS1_S1_S1_S1_PKiPfP15HIP_vector_typeIfLj2EEffffjfiS5_IjLj3EEiiiiiiiiiiiliiliiiiil.private_seg_size, 32
	.set _ZL15flash_attn_tileILi128ELi128ELi16ELi1ELb0EEvPKcS1_S1_S1_S1_PKiPfP15HIP_vector_typeIfLj2EEffffjfiS5_IjLj3EEiiiiiiiiiiiliiliiiiil.uses_vcc, 1
	.set _ZL15flash_attn_tileILi128ELi128ELi16ELi1ELb0EEvPKcS1_S1_S1_S1_PKiPfP15HIP_vector_typeIfLj2EEffffjfiS5_IjLj3EEiiiiiiiiiiiliiliiiiil.uses_flat_scratch, 0
	.set _ZL15flash_attn_tileILi128ELi128ELi16ELi1ELb0EEvPKcS1_S1_S1_S1_PKiPfP15HIP_vector_typeIfLj2EEffffjfiS5_IjLj3EEiiiiiiiiiiiliiliiiiil.has_dyn_sized_stack, 0
	.set _ZL15flash_attn_tileILi128ELi128ELi16ELi1ELb0EEvPKcS1_S1_S1_S1_PKiPfP15HIP_vector_typeIfLj2EEffffjfiS5_IjLj3EEiiiiiiiiiiiliiliiiiil.has_recursion, 0
	.set _ZL15flash_attn_tileILi128ELi128ELi16ELi1ELb0EEvPKcS1_S1_S1_S1_PKiPfP15HIP_vector_typeIfLj2EEffffjfiS5_IjLj3EEiiiiiiiiiiiliiliiiiil.has_indirect_call, 0
	.section	.AMDGPU.csdata,"",@progbits
; Kernel info:
; codeLenInByte = 26128
; TotalNumSgprs: 54
; NumVgprs: 108
; NumAgprs: 0
; TotalNumVgprs: 108
; ScratchSize: 32
; MemoryBound: 0
; FloatMode: 240
; IeeeMode: 1
; LDSByteSize: 23552 bytes/workgroup (compile time only)
; SGPRBlocks: 12
; VGPRBlocks: 13
; NumSGPRsForWavesPerEU: 97
; NumVGPRsForWavesPerEU: 108
; AccumOffset: 108
; Occupancy: 4
; WaveLimiterHint : 1
; COMPUTE_PGM_RSRC2:SCRATCH_EN: 1
; COMPUTE_PGM_RSRC2:USER_SGPR: 2
; COMPUTE_PGM_RSRC2:TRAP_HANDLER: 0
; COMPUTE_PGM_RSRC2:TGID_X_EN: 1
; COMPUTE_PGM_RSRC2:TGID_Y_EN: 1
; COMPUTE_PGM_RSRC2:TGID_Z_EN: 1
; COMPUTE_PGM_RSRC2:TIDIG_COMP_CNT: 1
; COMPUTE_PGM_RSRC3_GFX90A:ACCUM_OFFSET: 26
; COMPUTE_PGM_RSRC3_GFX90A:TG_SPLIT: 0
	.section	.text._ZL33flash_attn_stream_k_fixup_uniformILi128ELi16ELi1EEvPfPK15HIP_vector_typeIfLj2EEiiiiiiS1_IjLj3EES5_S5_,"axG",@progbits,_ZL33flash_attn_stream_k_fixup_uniformILi128ELi16ELi1EEvPfPK15HIP_vector_typeIfLj2EEiiiiiiS1_IjLj3EES5_S5_,comdat
	.globl	_ZL33flash_attn_stream_k_fixup_uniformILi128ELi16ELi1EEvPfPK15HIP_vector_typeIfLj2EEiiiiiiS1_IjLj3EES5_S5_ ; -- Begin function _ZL33flash_attn_stream_k_fixup_uniformILi128ELi16ELi1EEvPfPK15HIP_vector_typeIfLj2EEiiiiiiS1_IjLj3EES5_S5_
	.p2align	8
	.type	_ZL33flash_attn_stream_k_fixup_uniformILi128ELi16ELi1EEvPfPK15HIP_vector_typeIfLj2EEiiiiiiS1_IjLj3EES5_S5_,@function
_ZL33flash_attn_stream_k_fixup_uniformILi128ELi16ELi1EEvPfPK15HIP_vector_typeIfLj2EEiiiiiiS1_IjLj3EES5_S5_: ; @_ZL33flash_attn_stream_k_fixup_uniformILi128ELi16ELi1EEvPfPK15HIP_vector_typeIfLj2EEiiiiiiS1_IjLj3EES5_S5_
; %bb.0:
	s_load_dwordx8 s[8:15], s[0:1], 0x1c
	s_load_dwordx2 s[6:7], s[0:1], 0x10
	s_load_dwordx4 s[20:23], s[0:1], 0x3c
	s_waitcnt lgkmcnt(0)
	s_mul_hi_u32 s5, s11, s2
	s_add_i32 s5, s2, s5
	s_lshr_b32 s5, s5, s12
	s_mul_i32 s11, s5, s13
	s_sub_i32 s11, s2, s11
	s_mul_hi_u32 s12, s11, s14
	s_add_i32 s12, s11, s12
	s_lshr_b32 s16, s12, s15
	s_mul_i32 s12, s16, s20
	s_sub_i32 s12, s11, s12
	;; [unrolled: 5-line block ×3, first 2 shown]
	s_lshl_b32 s12, s17, 4
	s_add_i32 s12, s12, s3
	s_cmp_lt_i32 s12, s6
	s_cselect_b64 s[12:13], -1, 0
	s_add_i32 s14, s11, s4
	s_cmp_lt_i32 s14, s9
	s_cselect_b64 s[14:15], -1, 0
	s_and_b64 s[12:13], s[12:13], s[14:15]
	s_andn2_b64 vcc, exec, s[12:13]
	s_cbranch_vccnz .LBB60_6
; %bb.1:
	s_load_dwordx4 s[12:15], s[0:1], 0x0
	s_mul_i32 s0, s5, s6
	s_add_i32 s0, s0, s3
	s_mul_i32 s0, s0, s7
	s_mul_i32 s16, s16, s9
	s_add_i32 s0, s0, s4
	s_add_i32 s0, s0, s16
	s_mul_i32 s1, s7, s17
	s_add_i32 s0, s0, s11
	s_lshl_b32 s1, s1, 11
	s_lshl_b32 s0, s0, 7
	s_add_i32 s1, s1, s0
	v_or_b32_e32 v4, s1, v0
	s_waitcnt lgkmcnt(0)
	v_mov_b32_e32 v2, s12
	v_mov_b32_e32 v3, s13
	v_ashrrev_i32_e32 v5, 31, v4
	v_lshl_add_u64 v[2:3], v[4:5], 2, v[2:3]
	global_load_dword v5, v[2:3], off
	s_mul_i32 s6, s10, s2
	s_add_i32 s7, s6, s10
	s_add_i32 s3, s3, s4
	s_lshl_b32 s0, s7, 4
	s_add_i32 s0, s3, s0
	s_add_i32 s0, s0, -16
	s_ashr_i32 s1, s0, 31
	s_lshl_b64 s[0:1], s[0:1], 3
	s_add_u32 s0, s14, s0
	s_addc_u32 s1, s15, s1
	s_load_dword s9, s[0:1], 0x4
	s_add_i32 s4, s7, -2
	s_cmp_lt_i32 s4, s6
	s_cbranch_scc1 .LBB60_4
; %bb.2:
	s_lshl_b32 s4, s8, 6
	s_ashr_i32 s5, s4, 31
	s_lshl_b64 s[4:5], s[4:5], 2
	s_add_u32 s4, s14, s4
	s_addc_u32 s5, s15, s5
	s_add_i32 s2, s2, 1
	s_mul_i32 s2, s10, s2
	s_load_dword s0, s[0:1], 0x0
	s_lshl_b32 s1, s3, 7
	s_lshl_b32 s10, s2, 11
	s_add_i32 s1, s1, s10
	v_or_b32_e32 v0, s1, v0
	s_lshl_b32 s1, s2, 4
	s_add_i32 s1, s3, s1
	s_lshl_b32 s2, s8, 4
	s_add_i32 s1, s1, s2
	s_add_i32 s7, s7, -1
	v_add_u32_e32 v0, 0xfffff000, v0
	s_sub_i32 s2, s1, 32
	s_waitcnt lgkmcnt(0)
	v_mov_b32_e32 v7, s0
	v_mov_b32_e32 v4, s9
	s_mov_b32 s8, 0x3fb8aa3b
	s_mov_b32 s9, 0xc2ce8ed0
	;; [unrolled: 1-line block ×3, first 2 shown]
	v_mov_b32_e32 v6, 0x7f800000
	s_mov_b32 s11, 0xc1a00000
.LBB60_3:                               ; =>This Inner Loop Header: Depth=1
	v_ashrrev_i32_e32 v1, 31, v0
	v_lshl_add_u64 v[8:9], v[0:1], 2, s[4:5]
	global_load_dword v9, v[8:9], off
	s_ashr_i32 s3, s2, 31
	s_lshl_b64 s[0:1], s[2:3], 3
	s_add_u32 s0, s14, s0
	s_addc_u32 s1, s15, s1
	s_load_dwordx2 s[0:1], s[0:1], 0x0
	v_max_f32_e32 v1, v7, v7
	s_add_i32 s7, s7, -1
	s_add_i32 s2, s2, -16
	v_add_u32_e32 v0, 0xfffff800, v0
	s_waitcnt lgkmcnt(0)
	v_max_f32_e64 v10, s0, s0
	v_max_f32_e32 v1, v1, v10
	v_sub_f32_e32 v11, s0, v1
	v_sub_f32_e32 v10, v7, v1
	v_mul_f32_e32 v12, 0x3fb8aa3b, v11
	v_mov_b32_e32 v7, v1
	v_mul_f32_e32 v1, 0x3fb8aa3b, v10
	v_fma_f32 v15, v11, s8, -v12
	v_rndne_f32_e32 v16, v12
	v_fma_f32 v13, v10, s8, -v1
	v_rndne_f32_e32 v14, v1
	v_fmac_f32_e32 v15, 0x32a5705f, v11
	v_sub_f32_e32 v12, v12, v16
	v_fmac_f32_e32 v13, 0x32a5705f, v10
	v_sub_f32_e32 v1, v1, v14
	v_add_f32_e32 v12, v12, v15
	v_cvt_i32_f32_e32 v16, v16
	v_add_f32_e32 v1, v1, v13
	v_exp_f32_e32 v12, v12
	v_cvt_i32_f32_e32 v14, v14
	v_exp_f32_e32 v1, v1
	v_cmp_ngt_f32_e32 vcc, s9, v11
	v_ldexp_f32 v12, v12, v16
	v_mov_b32_e32 v8, s1
	v_ldexp_f32 v1, v1, v14
	v_cmp_ngt_f32_e64 s[0:1], s9, v10
	v_cndmask_b32_e32 v12, 0, v12, vcc
	v_cmp_nlt_f32_e32 vcc, s10, v11
	v_cndmask_b32_e64 v1, 0, v1, s[0:1]
	v_cmp_nlt_f32_e64 s[0:1], s10, v10
	v_cndmask_b32_e32 v12, v6, v12, vcc
	v_cmp_le_f32_e32 vcc, s11, v11
	v_cndmask_b32_e64 v1, v6, v1, s[0:1]
	v_cmp_le_f32_e64 s[0:1], s11, v10
	v_cndmask_b32_e32 v12, 0, v12, vcc
	s_cmp_le_i32 s7, s6
	v_cndmask_b32_e64 v10, 0, v1, s[0:1]
	s_waitcnt vmcnt(0)
	v_pk_mul_f32 v[8:9], v[8:9], v[12:13] op_sel_hi:[1,0]
	s_nop 0
	v_pk_fma_f32 v[4:5], v[4:5], v[10:11], v[8:9] op_sel_hi:[1,0,1]
	s_cbranch_scc0 .LBB60_3
	s_branch .LBB60_5
.LBB60_4:
	s_waitcnt lgkmcnt(0)
	v_mov_b32_e32 v4, s9
.LBB60_5:
	s_waitcnt vmcnt(0)
	v_div_scale_f32 v0, s[0:1], v4, v4, v5
	v_rcp_f32_e32 v1, v0
	v_div_scale_f32 v6, vcc, v5, v4, v5
	v_fma_f32 v7, -v0, v1, 1.0
	v_fmac_f32_e32 v1, v7, v1
	v_mul_f32_e32 v7, v6, v1
	v_fma_f32 v8, -v0, v7, v6
	v_fmac_f32_e32 v7, v8, v1
	v_fma_f32 v0, -v0, v7, v6
	v_div_fmas_f32 v0, v0, v1, v7
	v_div_fixup_f32 v0, v0, v4, v5
	global_store_dword v[2:3], v0, off
.LBB60_6:
	s_endpgm
	.section	.rodata,"a",@progbits
	.p2align	6, 0x0
	.amdhsa_kernel _ZL33flash_attn_stream_k_fixup_uniformILi128ELi16ELi1EEvPfPK15HIP_vector_typeIfLj2EEiiiiiiS1_IjLj3EES5_S5_
		.amdhsa_group_segment_fixed_size 0
		.amdhsa_private_segment_fixed_size 0
		.amdhsa_kernarg_size 76
		.amdhsa_user_sgpr_count 2
		.amdhsa_user_sgpr_dispatch_ptr 0
		.amdhsa_user_sgpr_queue_ptr 0
		.amdhsa_user_sgpr_kernarg_segment_ptr 1
		.amdhsa_user_sgpr_dispatch_id 0
		.amdhsa_user_sgpr_kernarg_preload_length 0
		.amdhsa_user_sgpr_kernarg_preload_offset 0
		.amdhsa_user_sgpr_private_segment_size 0
		.amdhsa_uses_dynamic_stack 0
		.amdhsa_enable_private_segment 0
		.amdhsa_system_sgpr_workgroup_id_x 1
		.amdhsa_system_sgpr_workgroup_id_y 1
		.amdhsa_system_sgpr_workgroup_id_z 1
		.amdhsa_system_sgpr_workgroup_info 0
		.amdhsa_system_vgpr_workitem_id 0
		.amdhsa_next_free_vgpr 17
		.amdhsa_next_free_sgpr 24
		.amdhsa_accum_offset 20
		.amdhsa_reserve_vcc 1
		.amdhsa_float_round_mode_32 0
		.amdhsa_float_round_mode_16_64 0
		.amdhsa_float_denorm_mode_32 3
		.amdhsa_float_denorm_mode_16_64 3
		.amdhsa_dx10_clamp 1
		.amdhsa_ieee_mode 1
		.amdhsa_fp16_overflow 0
		.amdhsa_tg_split 0
		.amdhsa_exception_fp_ieee_invalid_op 0
		.amdhsa_exception_fp_denorm_src 0
		.amdhsa_exception_fp_ieee_div_zero 0
		.amdhsa_exception_fp_ieee_overflow 0
		.amdhsa_exception_fp_ieee_underflow 0
		.amdhsa_exception_fp_ieee_inexact 0
		.amdhsa_exception_int_div_zero 0
	.end_amdhsa_kernel
	.section	.text._ZL33flash_attn_stream_k_fixup_uniformILi128ELi16ELi1EEvPfPK15HIP_vector_typeIfLj2EEiiiiiiS1_IjLj3EES5_S5_,"axG",@progbits,_ZL33flash_attn_stream_k_fixup_uniformILi128ELi16ELi1EEvPfPK15HIP_vector_typeIfLj2EEiiiiiiS1_IjLj3EES5_S5_,comdat
.Lfunc_end60:
	.size	_ZL33flash_attn_stream_k_fixup_uniformILi128ELi16ELi1EEvPfPK15HIP_vector_typeIfLj2EEiiiiiiS1_IjLj3EES5_S5_, .Lfunc_end60-_ZL33flash_attn_stream_k_fixup_uniformILi128ELi16ELi1EEvPfPK15HIP_vector_typeIfLj2EEiiiiiiS1_IjLj3EES5_S5_
                                        ; -- End function
	.set _ZL33flash_attn_stream_k_fixup_uniformILi128ELi16ELi1EEvPfPK15HIP_vector_typeIfLj2EEiiiiiiS1_IjLj3EES5_S5_.num_vgpr, 17
	.set _ZL33flash_attn_stream_k_fixup_uniformILi128ELi16ELi1EEvPfPK15HIP_vector_typeIfLj2EEiiiiiiS1_IjLj3EES5_S5_.num_agpr, 0
	.set _ZL33flash_attn_stream_k_fixup_uniformILi128ELi16ELi1EEvPfPK15HIP_vector_typeIfLj2EEiiiiiiS1_IjLj3EES5_S5_.numbered_sgpr, 24
	.set _ZL33flash_attn_stream_k_fixup_uniformILi128ELi16ELi1EEvPfPK15HIP_vector_typeIfLj2EEiiiiiiS1_IjLj3EES5_S5_.num_named_barrier, 0
	.set _ZL33flash_attn_stream_k_fixup_uniformILi128ELi16ELi1EEvPfPK15HIP_vector_typeIfLj2EEiiiiiiS1_IjLj3EES5_S5_.private_seg_size, 0
	.set _ZL33flash_attn_stream_k_fixup_uniformILi128ELi16ELi1EEvPfPK15HIP_vector_typeIfLj2EEiiiiiiS1_IjLj3EES5_S5_.uses_vcc, 1
	.set _ZL33flash_attn_stream_k_fixup_uniformILi128ELi16ELi1EEvPfPK15HIP_vector_typeIfLj2EEiiiiiiS1_IjLj3EES5_S5_.uses_flat_scratch, 0
	.set _ZL33flash_attn_stream_k_fixup_uniformILi128ELi16ELi1EEvPfPK15HIP_vector_typeIfLj2EEiiiiiiS1_IjLj3EES5_S5_.has_dyn_sized_stack, 0
	.set _ZL33flash_attn_stream_k_fixup_uniformILi128ELi16ELi1EEvPfPK15HIP_vector_typeIfLj2EEiiiiiiS1_IjLj3EES5_S5_.has_recursion, 0
	.set _ZL33flash_attn_stream_k_fixup_uniformILi128ELi16ELi1EEvPfPK15HIP_vector_typeIfLj2EEiiiiiiS1_IjLj3EES5_S5_.has_indirect_call, 0
	.section	.AMDGPU.csdata,"",@progbits
; Kernel info:
; codeLenInByte = 816
; TotalNumSgprs: 30
; NumVgprs: 17
; NumAgprs: 0
; TotalNumVgprs: 17
; ScratchSize: 0
; MemoryBound: 0
; FloatMode: 240
; IeeeMode: 1
; LDSByteSize: 0 bytes/workgroup (compile time only)
; SGPRBlocks: 3
; VGPRBlocks: 2
; NumSGPRsForWavesPerEU: 30
; NumVGPRsForWavesPerEU: 17
; AccumOffset: 20
; Occupancy: 8
; WaveLimiterHint : 0
; COMPUTE_PGM_RSRC2:SCRATCH_EN: 0
; COMPUTE_PGM_RSRC2:USER_SGPR: 2
; COMPUTE_PGM_RSRC2:TRAP_HANDLER: 0
; COMPUTE_PGM_RSRC2:TGID_X_EN: 1
; COMPUTE_PGM_RSRC2:TGID_Y_EN: 1
; COMPUTE_PGM_RSRC2:TGID_Z_EN: 1
; COMPUTE_PGM_RSRC2:TIDIG_COMP_CNT: 0
; COMPUTE_PGM_RSRC3_GFX90A:ACCUM_OFFSET: 4
; COMPUTE_PGM_RSRC3_GFX90A:TG_SPLIT: 0
	.section	.text._ZL33flash_attn_stream_k_fixup_generalILi128ELi16ELi1EEvPfPK15HIP_vector_typeIfLj2EEiiiiS1_IjLj3EES5_S5_S5_,"axG",@progbits,_ZL33flash_attn_stream_k_fixup_generalILi128ELi16ELi1EEvPfPK15HIP_vector_typeIfLj2EEiiiiS1_IjLj3EES5_S5_S5_,comdat
	.globl	_ZL33flash_attn_stream_k_fixup_generalILi128ELi16ELi1EEvPfPK15HIP_vector_typeIfLj2EEiiiiS1_IjLj3EES5_S5_S5_ ; -- Begin function _ZL33flash_attn_stream_k_fixup_generalILi128ELi16ELi1EEvPfPK15HIP_vector_typeIfLj2EEiiiiS1_IjLj3EES5_S5_S5_
	.p2align	8
	.type	_ZL33flash_attn_stream_k_fixup_generalILi128ELi16ELi1EEvPfPK15HIP_vector_typeIfLj2EEiiiiS1_IjLj3EES5_S5_S5_,@function
_ZL33flash_attn_stream_k_fixup_generalILi128ELi16ELi1EEvPfPK15HIP_vector_typeIfLj2EEiiiiS1_IjLj3EES5_S5_S5_: ; @_ZL33flash_attn_stream_k_fixup_generalILi128ELi16ELi1EEvPfPK15HIP_vector_typeIfLj2EEiiiiS1_IjLj3EES5_S5_S5_
; %bb.0:
	s_load_dwordx4 s[8:11], s[0:1], 0x10
	s_load_dword s22, s[0:1], 0x50
	s_mov_b32 s12, 0
	s_waitcnt lgkmcnt(0)
	s_mul_hi_i32 s13, s11, s2
	s_cmp_lg_u64 s[12:13], 0
	s_mul_i32 s5, s11, s2
	s_cbranch_scc0 .LBB61_20
; %bb.1:
	s_add_u32 s6, s22, 0
	s_addc_u32 s7, 0, 0
	s_xor_b64 s[6:7], s[6:7], 0
	v_cvt_f32_u32_e32 v1, s6
	v_cvt_f32_u32_e32 v2, s7
	s_sub_u32 s12, 0, s6
	s_subb_u32 s18, 0, s7
	v_fmamk_f32 v1, v2, 0x4f800000, v1
	v_rcp_f32_e32 v1, v1
	s_nop 0
	v_mul_f32_e32 v1, 0x5f7ffffc, v1
	v_mul_f32_e32 v2, 0x2f800000, v1
	v_trunc_f32_e32 v2, v2
	v_fmamk_f32 v1, v2, 0xcf800000, v1
	v_cvt_u32_f32_e32 v2, v2
	v_cvt_u32_f32_e32 v1, v1
	v_readfirstlane_b32 s19, v2
	v_readfirstlane_b32 s14, v1
	s_mul_i32 s15, s12, s19
	s_mul_hi_u32 s21, s12, s14
	s_mul_i32 s20, s18, s14
	s_add_i32 s15, s21, s15
	s_add_i32 s15, s15, s20
	s_mul_i32 s23, s12, s14
	s_mul_i32 s21, s14, s15
	s_mul_hi_u32 s24, s14, s23
	s_mul_hi_u32 s20, s14, s15
	s_add_u32 s21, s24, s21
	s_addc_u32 s20, 0, s20
	s_mul_hi_u32 s25, s19, s23
	s_mul_i32 s23, s19, s23
	s_add_u32 s21, s21, s23
	s_mul_hi_u32 s24, s19, s15
	s_addc_u32 s20, s20, s25
	s_addc_u32 s21, s24, 0
	s_mul_i32 s15, s19, s15
	s_add_u32 s15, s20, s15
	s_addc_u32 s20, 0, s21
	s_add_u32 s21, s14, s15
	s_cselect_b64 s[14:15], -1, 0
	s_cmp_lg_u64 s[14:15], 0
	s_addc_u32 s19, s19, s20
	s_mul_i32 s14, s12, s19
	s_mul_hi_u32 s15, s12, s21
	s_add_i32 s14, s15, s14
	s_mul_i32 s18, s18, s21
	s_add_i32 s14, s14, s18
	s_mul_i32 s12, s12, s21
	s_mul_hi_u32 s18, s19, s12
	s_mul_i32 s20, s19, s12
	s_mul_i32 s24, s21, s14
	s_mul_hi_u32 s12, s21, s12
	s_mul_hi_u32 s23, s21, s14
	s_add_u32 s12, s12, s24
	s_addc_u32 s23, 0, s23
	s_add_u32 s12, s12, s20
	s_mul_hi_u32 s15, s19, s14
	s_addc_u32 s12, s23, s18
	s_addc_u32 s15, s15, 0
	s_mul_i32 s14, s19, s14
	s_add_u32 s12, s12, s14
	s_addc_u32 s18, 0, s15
	s_add_u32 s20, s21, s12
	s_cselect_b64 s[14:15], -1, 0
	s_cmp_lg_u64 s[14:15], 0
	s_addc_u32 s18, s19, s18
	s_ashr_i32 s14, s13, 31
	s_add_u32 s12, s5, s14
	s_mov_b32 s15, s14
	s_addc_u32 s13, s13, s14
	s_xor_b64 s[12:13], s[12:13], s[14:15]
	s_mul_i32 s21, s12, s18
	s_mul_hi_u32 s23, s12, s20
	s_mul_hi_u32 s19, s12, s18
	s_add_u32 s21, s23, s21
	s_addc_u32 s19, 0, s19
	s_mul_hi_u32 s24, s13, s20
	s_mul_i32 s20, s13, s20
	s_add_u32 s20, s21, s20
	s_mul_hi_u32 s23, s13, s18
	s_addc_u32 s19, s19, s24
	s_addc_u32 s20, s23, 0
	s_mul_i32 s18, s13, s18
	s_add_u32 s23, s19, s18
	s_addc_u32 s24, 0, s20
	s_mul_i32 s18, s6, s24
	s_mul_hi_u32 s19, s6, s23
	s_add_i32 s18, s19, s18
	s_mul_i32 s19, s7, s23
	s_add_i32 s25, s18, s19
	s_sub_i32 s20, s13, s25
	s_mul_i32 s18, s6, s23
	s_sub_u32 s12, s12, s18
	s_cselect_b64 s[18:19], -1, 0
	s_cmp_lg_u64 s[18:19], 0
	s_subb_u32 s26, s20, s7
	s_sub_u32 s27, s12, s6
	s_cselect_b64 s[20:21], -1, 0
	s_cmp_lg_u64 s[20:21], 0
	s_subb_u32 s20, s26, 0
	s_cmp_ge_u32 s20, s7
	s_cselect_b32 s21, -1, 0
	s_cmp_ge_u32 s27, s6
	s_cselect_b32 s26, -1, 0
	s_cmp_eq_u32 s20, s7
	s_cselect_b32 s20, s26, s21
	s_add_u32 s21, s23, 1
	s_addc_u32 s26, s24, 0
	s_add_u32 s27, s23, 2
	s_addc_u32 s28, s24, 0
	s_cmp_lg_u32 s20, 0
	s_cselect_b32 s20, s27, s21
	s_cselect_b32 s21, s28, s26
	s_cmp_lg_u64 s[18:19], 0
	s_subb_u32 s13, s13, s25
	s_cmp_ge_u32 s13, s7
	s_cselect_b32 s18, -1, 0
	s_cmp_ge_u32 s12, s6
	s_cselect_b32 s6, -1, 0
	s_cmp_eq_u32 s13, s7
	s_cselect_b32 s6, s6, s18
	s_cmp_lg_u32 s6, 0
	s_cselect_b32 s7, s21, s24
	s_cselect_b32 s6, s20, s23
	s_xor_b64 s[12:13], s[14:15], 0
	s_xor_b64 s[6:7], s[6:7], s[12:13]
	s_sub_u32 s6, s6, s12
	s_load_dwordx4 s[12:15], s[0:1], 0x44
	s_cbranch_execnz .LBB61_3
.LBB61_2:
	v_cvt_f32_u32_e32 v1, s22
	s_sub_i32 s6, 0, s22
	v_rcp_iflag_f32_e32 v1, v1
	s_nop 0
	v_mul_f32_e32 v1, 0x4f7ffffe, v1
	v_cvt_u32_f32_e32 v1, v1
	s_nop 0
	v_readfirstlane_b32 s7, v1
	s_mul_i32 s6, s6, s7
	s_mul_hi_u32 s6, s7, s6
	s_add_i32 s7, s7, s6
	s_mul_hi_u32 s6, s5, s7
	s_waitcnt lgkmcnt(0)
	s_mul_i32 s15, s6, s22
	s_sub_i32 s5, s5, s15
	s_add_i32 s7, s6, 1
	s_sub_i32 s15, s5, s22
	s_cmp_ge_u32 s5, s22
	s_cselect_b32 s6, s7, s6
	s_cselect_b32 s5, s15, s5
	s_add_i32 s7, s6, 1
	s_cmp_ge_u32 s5, s22
	s_cselect_b32 s6, s7, s6
.LBB61_3:
	s_add_i32 s5, s2, 1
	s_mul_hi_i32 s21, s11, s5
	s_mov_b32 s20, 0
	s_cmp_lg_u64 s[20:21], 0
	s_mul_i32 s5, s11, s5
	s_cbranch_scc0 .LBB61_21
; %bb.4:
	s_add_u32 s16, s22, 0
	s_addc_u32 s17, 0, 0
	s_xor_b64 s[18:19], s[16:17], 0
	v_cvt_f32_u32_e32 v1, s18
	v_cvt_f32_u32_e32 v2, s19
	s_sub_u32 s7, 0, s18
	s_waitcnt lgkmcnt(0)
	s_subb_u32 s15, 0, s19
	v_fmamk_f32 v1, v2, 0x4f800000, v1
	v_rcp_f32_e32 v1, v1
	s_nop 0
	v_mul_f32_e32 v1, 0x5f7ffffc, v1
	v_mul_f32_e32 v2, 0x2f800000, v1
	v_trunc_f32_e32 v2, v2
	v_fmamk_f32 v1, v2, 0xcf800000, v1
	v_cvt_u32_f32_e32 v2, v2
	v_cvt_u32_f32_e32 v1, v1
	v_readfirstlane_b32 s20, v2
	v_readfirstlane_b32 s23, v1
	s_mul_i32 s24, s7, s20
	s_mul_hi_u32 s26, s7, s23
	s_mul_i32 s25, s15, s23
	s_add_i32 s24, s26, s24
	s_add_i32 s24, s24, s25
	s_mul_i32 s27, s7, s23
	s_mul_i32 s26, s23, s24
	s_mul_hi_u32 s28, s23, s27
	s_mul_hi_u32 s25, s23, s24
	s_add_u32 s26, s28, s26
	s_addc_u32 s25, 0, s25
	s_mul_hi_u32 s29, s20, s27
	s_mul_i32 s27, s20, s27
	s_add_u32 s26, s26, s27
	s_mul_hi_u32 s28, s20, s24
	s_addc_u32 s25, s25, s29
	s_addc_u32 s26, s28, 0
	s_mul_i32 s24, s20, s24
	s_add_u32 s24, s25, s24
	s_addc_u32 s26, 0, s26
	s_add_u32 s23, s23, s24
	s_cselect_b64 s[24:25], -1, 0
	s_cmp_lg_u64 s[24:25], 0
	s_addc_u32 s20, s20, s26
	s_mul_i32 s24, s7, s20
	s_mul_hi_u32 s25, s7, s23
	s_add_i32 s24, s25, s24
	s_mul_i32 s15, s15, s23
	s_add_i32 s24, s24, s15
	s_mul_i32 s7, s7, s23
	s_mul_hi_u32 s25, s20, s7
	s_mul_i32 s26, s20, s7
	s_mul_i32 s28, s23, s24
	s_mul_hi_u32 s7, s23, s7
	s_mul_hi_u32 s27, s23, s24
	s_add_u32 s7, s7, s28
	s_addc_u32 s27, 0, s27
	s_add_u32 s7, s7, s26
	s_mul_hi_u32 s15, s20, s24
	s_addc_u32 s7, s27, s25
	s_addc_u32 s15, s15, 0
	s_mul_i32 s24, s20, s24
	s_add_u32 s7, s7, s24
	s_addc_u32 s15, 0, s15
	s_add_u32 s7, s23, s7
	s_cselect_b64 s[24:25], -1, 0
	s_cmp_lg_u64 s[24:25], 0
	s_addc_u32 s15, s20, s15
	s_ashr_i32 s24, s21, 31
	s_add_u32 s20, s5, s24
	s_mov_b32 s25, s24
	s_addc_u32 s21, s21, s24
	s_xor_b64 s[20:21], s[20:21], s[24:25]
	s_mul_i32 s26, s20, s15
	s_mul_hi_u32 s27, s20, s7
	s_mul_hi_u32 s23, s20, s15
	s_add_u32 s26, s27, s26
	s_addc_u32 s23, 0, s23
	s_mul_hi_u32 s28, s21, s7
	s_mul_i32 s7, s21, s7
	s_add_u32 s7, s26, s7
	s_mul_hi_u32 s27, s21, s15
	s_addc_u32 s7, s23, s28
	s_addc_u32 s23, s27, 0
	s_mul_i32 s15, s21, s15
	s_add_u32 s7, s7, s15
	s_addc_u32 s15, 0, s23
	s_mul_i32 s23, s18, s15
	s_mul_hi_u32 s26, s18, s7
	s_add_i32 s23, s26, s23
	s_mul_i32 s26, s19, s7
	s_add_i32 s23, s23, s26
	s_sub_i32 s28, s21, s23
	s_mul_i32 s26, s18, s7
	s_sub_u32 s20, s20, s26
	s_cselect_b64 s[26:27], -1, 0
	s_cmp_lg_u64 s[26:27], 0
	s_subb_u32 s30, s28, s19
	s_sub_u32 s31, s20, s18
	s_cselect_b64 s[28:29], -1, 0
	s_cmp_lg_u64 s[28:29], 0
	s_subb_u32 s28, s30, 0
	s_cmp_ge_u32 s28, s19
	s_cselect_b32 s29, -1, 0
	s_cmp_ge_u32 s31, s18
	s_cselect_b32 s30, -1, 0
	s_cmp_eq_u32 s28, s19
	s_cselect_b32 s28, s30, s29
	s_add_u32 s29, s7, 1
	s_addc_u32 s30, s15, 0
	s_add_u32 s31, s7, 2
	s_addc_u32 s33, s15, 0
	s_cmp_lg_u32 s28, 0
	s_cselect_b32 s28, s31, s29
	s_cselect_b32 s29, s33, s30
	s_cmp_lg_u64 s[26:27], 0
	s_subb_u32 s21, s21, s23
	s_cmp_ge_u32 s21, s19
	s_cselect_b32 s23, -1, 0
	s_cmp_ge_u32 s20, s18
	s_cselect_b32 s18, -1, 0
	s_cmp_eq_u32 s21, s19
	s_cselect_b32 s18, s18, s23
	s_cmp_lg_u32 s18, 0
	s_cselect_b32 s19, s29, s15
	s_cselect_b32 s18, s28, s7
	s_xor_b64 s[20:21], s[24:25], 0
	s_xor_b64 s[18:19], s[18:19], s[20:21]
	s_sub_u32 s18, s18, s20
	s_cbranch_execnz .LBB61_6
.LBB61_5:
	v_cvt_f32_u32_e32 v1, s22
	s_sub_i32 s7, 0, s22
	v_rcp_iflag_f32_e32 v1, v1
	s_nop 0
	v_mul_f32_e32 v1, 0x4f7ffffe, v1
	v_cvt_u32_f32_e32 v1, v1
	s_waitcnt lgkmcnt(0)
	v_readfirstlane_b32 s15, v1
	s_mul_i32 s7, s7, s15
	s_mul_hi_u32 s7, s15, s7
	s_add_i32 s15, s15, s7
	s_mul_hi_u32 s7, s5, s15
	s_mul_i32 s16, s7, s22
	s_sub_i32 s5, s5, s16
	s_add_i32 s15, s7, 1
	s_sub_i32 s16, s5, s22
	s_cmp_ge_u32 s5, s22
	s_cselect_b32 s7, s15, s7
	s_cselect_b32 s5, s16, s5
	s_add_i32 s15, s7, 1
	s_cmp_ge_u32 s5, s22
	s_cselect_b32 s18, s15, s7
.LBB61_6:
	s_cmp_eq_u32 s6, s18
	s_waitcnt lgkmcnt(0)
	s_mul_hi_u32 s5, s6, s12
	s_cselect_b64 s[16:17], -1, 0
	s_add_i32 s5, s5, s6
	s_lshr_b32 s7, s5, s13
	s_mul_i32 s5, s7, s14
	s_cmp_eq_u32 s5, s6
	s_mul_hi_u32 s5, s18, s12
	s_cselect_b64 s[20:21], -1, 0
	s_add_i32 s5, s5, s18
	s_lshr_b32 s5, s5, s13
	s_cmp_eq_u32 s7, s5
	s_mul_i32 s5, s5, s14
	s_cselect_b64 s[24:25], -1, 0
	s_cmp_lg_u32 s5, s18
	s_cselect_b64 s[18:19], -1, 0
	s_and_b64 s[18:19], s[24:25], s[18:19]
	s_or_b64 s[16:17], s[16:17], s[20:21]
	s_or_b64 s[16:17], s[16:17], s[18:19]
	s_and_b64 vcc, exec, s[16:17]
	s_cbranch_vccnz .LBB61_23
; %bb.7:
	s_load_dwordx8 s[24:31], s[0:1], 0x20
	s_load_dword s15, s[0:1], 0x40
	s_waitcnt lgkmcnt(0)
	s_mul_hi_u32 s5, s6, s24
	s_add_i32 s5, s5, s6
	s_lshr_b32 s5, s5, s25
	s_mul_i32 s16, s5, s26
	s_sub_i32 s16, s6, s16
	s_mul_hi_u32 s17, s16, s27
	s_add_i32 s17, s16, s17
	s_lshr_b32 s21, s17, s28
	s_mul_i32 s17, s21, s29
	s_sub_i32 s16, s16, s17
	;; [unrolled: 5-line block ×3, first 2 shown]
	s_mul_hi_u32 s16, s15, s12
	s_add_i32 s15, s15, s16
	s_lshr_b32 s23, s15, s13
	s_lshl_b32 s15, s23, 4
	s_add_i32 s15, s15, s3
	s_cmp_lt_i32 s15, s8
	s_cselect_b64 s[16:17], -1, 0
	s_add_i32 s15, s20, s4
	s_cmp_lt_i32 s15, s10
	s_cselect_b64 s[18:19], -1, 0
	s_and_b64 s[16:17], s[16:17], s[18:19]
	s_andn2_b64 vcc, exec, s[16:17]
	s_cbranch_vccnz .LBB61_23
; %bb.8:
	s_load_dwordx4 s[16:19], s[0:1], 0x0
	s_mov_b32 s0, 0
	s_lshl_b32 s24, s22, 6
	s_mov_b32 s25, s0
	s_add_i32 s15, s3, s4
	s_waitcnt lgkmcnt(0)
	v_mov_b32_e32 v2, s16
	v_mov_b32_e32 v3, s17
	s_lshl_b64 s[16:17], s[24:25], 2
	s_add_u32 s16, s18, s16
	s_mul_i32 s1, s5, s8
	s_addc_u32 s17, s19, s17
	s_add_i32 s1, s1, s3
	s_mul_i32 s1, s1, s9
	s_mul_i32 s21, s21, s10
	s_add_i32 s1, s1, s4
	s_add_i32 s1, s1, s21
	s_mul_i32 s5, s9, s23
	s_add_i32 s1, s1, s20
	s_lshl_b32 s5, s5, 11
	s_lshl_b32 s1, s1, 7
	s_add_i32 s5, s5, s1
	v_or_b32_e32 v4, s5, v0
	v_ashrrev_i32_e32 v5, 31, v4
	v_lshl_add_u64 v[2:3], v[4:5], 2, v[2:3]
	global_load_dword v1, v[2:3], off
	v_cvt_f32_u32_e32 v4, s22
	s_lshl_b32 s1, s2, 4
	s_add_i32 s4, s1, s15
	s_ashr_i32 s5, s4, 31
	s_lshl_b64 s[4:5], s[4:5], 3
	v_rcp_iflag_f32_e32 v4, v4
	s_add_u32 s4, s18, s4
	s_addc_u32 s5, s19, s5
	s_load_dwordx2 s[4:5], s[4:5], 0x0
	v_mul_f32_e32 v4, 0x4f7ffffe, v4
	v_cvt_u32_f32_e32 v7, v4
	s_add_i32 s24, s2, -1
	v_lshl_or_b32 v6, s15, 7, v0
	s_waitcnt lgkmcnt(0)
	v_mov_b32_e32 v0, s5
	v_mov_b32_e32 v9, s4
	s_mov_b32 s10, 0x3fb8aa3b
	s_mov_b32 s20, 0xc2ce8ed0
	s_mov_b32 s21, 0x42b17218
	s_mov_b32 s23, 0xc1a00000
	v_mov_b32_e32 v8, 0x7f800000
	s_mul_hi_i32 s1, s24, s11
	s_cmp_lg_u64 s[0:1], 0
	s_mul_i32 s8, s24, s11
	s_cbranch_scc0 .LBB61_19
.LBB61_9:
	s_add_u32 s2, s22, 0
	s_addc_u32 s3, 0, 0
	s_xor_b64 s[2:3], s[2:3], 0
	v_cvt_f32_u32_e32 v4, s2
	v_cvt_f32_u32_e32 v5, s3
	s_sub_u32 s9, 0, s2
	s_subb_u32 s25, 0, s3
	v_fmac_f32_e32 v4, 0x4f800000, v5
	v_rcp_f32_e32 v4, v4
	s_nop 0
	v_mul_f32_e32 v4, 0x5f7ffffc, v4
	v_mul_f32_e32 v5, 0x2f800000, v4
	v_trunc_f32_e32 v5, v5
	v_fmac_f32_e32 v4, 0xcf800000, v5
	v_cvt_u32_f32_e32 v5, v5
	v_cvt_u32_f32_e32 v4, v4
	v_readfirstlane_b32 s26, v5
	v_readfirstlane_b32 s4, v4
	s_mul_i32 s5, s9, s26
	s_mul_hi_u32 s28, s9, s4
	s_mul_i32 s27, s25, s4
	s_add_i32 s5, s28, s5
	s_mul_i32 s29, s9, s4
	s_add_i32 s5, s5, s27
	s_mul_i32 s28, s4, s5
	s_mul_hi_u32 s30, s4, s29
	s_mul_hi_u32 s27, s4, s5
	s_add_u32 s28, s30, s28
	s_addc_u32 s27, 0, s27
	s_mul_hi_u32 s31, s26, s29
	s_mul_i32 s29, s26, s29
	s_add_u32 s28, s28, s29
	s_mul_hi_u32 s30, s26, s5
	s_addc_u32 s27, s27, s31
	s_addc_u32 s28, s30, 0
	s_mul_i32 s5, s26, s5
	s_add_u32 s5, s27, s5
	s_addc_u32 s27, 0, s28
	s_add_u32 s28, s4, s5
	s_cselect_b64 s[4:5], -1, 0
	s_cmp_lg_u64 s[4:5], 0
	s_addc_u32 s26, s26, s27
	s_mul_i32 s4, s9, s26
	s_mul_hi_u32 s5, s9, s28
	s_add_i32 s4, s5, s4
	s_mul_i32 s25, s25, s28
	s_add_i32 s4, s4, s25
	s_mul_i32 s9, s9, s28
	s_mul_hi_u32 s25, s26, s9
	s_mul_i32 s27, s26, s9
	s_mul_i32 s30, s28, s4
	s_mul_hi_u32 s9, s28, s9
	s_mul_hi_u32 s29, s28, s4
	s_add_u32 s9, s9, s30
	s_addc_u32 s29, 0, s29
	s_add_u32 s9, s9, s27
	s_mul_hi_u32 s5, s26, s4
	s_addc_u32 s9, s29, s25
	s_addc_u32 s5, s5, 0
	s_mul_i32 s4, s26, s4
	s_add_u32 s4, s9, s4
	s_addc_u32 s9, 0, s5
	s_add_u32 s25, s28, s4
	s_cselect_b64 s[4:5], -1, 0
	s_cmp_lg_u64 s[4:5], 0
	s_addc_u32 s9, s26, s9
	s_ashr_i32 s4, s1, 31
	s_add_u32 s26, s8, s4
	s_mov_b32 s5, s4
	s_addc_u32 s27, s1, s4
	s_xor_b64 s[26:27], s[26:27], s[4:5]
	s_mul_i32 s28, s26, s9
	s_mul_hi_u32 s29, s26, s25
	s_mul_hi_u32 s1, s26, s9
	s_add_u32 s28, s29, s28
	s_addc_u32 s1, 0, s1
	s_mul_hi_u32 s30, s27, s25
	s_mul_i32 s25, s27, s25
	s_add_u32 s25, s28, s25
	s_mul_hi_u32 s29, s27, s9
	s_addc_u32 s1, s1, s30
	s_addc_u32 s25, s29, 0
	s_mul_i32 s9, s27, s9
	s_add_u32 s1, s1, s9
	s_addc_u32 s9, 0, s25
	s_mul_i32 s25, s2, s9
	s_mul_hi_u32 s28, s2, s1
	s_add_i32 s25, s28, s25
	s_mul_i32 s28, s3, s1
	s_add_i32 s25, s25, s28
	s_sub_i32 s30, s27, s25
	s_mul_i32 s28, s2, s1
	s_sub_u32 s26, s26, s28
	s_cselect_b64 s[28:29], -1, 0
	s_cmp_lg_u64 s[28:29], 0
	s_subb_u32 s33, s30, s3
	s_sub_u32 s34, s26, s2
	s_cselect_b64 s[30:31], -1, 0
	s_cmp_lg_u64 s[30:31], 0
	s_subb_u32 s30, s33, 0
	s_cmp_ge_u32 s30, s3
	s_cselect_b32 s31, -1, 0
	s_cmp_ge_u32 s34, s2
	s_cselect_b32 s33, -1, 0
	s_cmp_eq_u32 s30, s3
	s_cselect_b32 s30, s33, s31
	s_add_u32 s31, s1, 1
	s_addc_u32 s33, s9, 0
	s_add_u32 s34, s1, 2
	s_addc_u32 s35, s9, 0
	s_cmp_lg_u32 s30, 0
	s_cselect_b32 s30, s34, s31
	s_cselect_b32 s31, s35, s33
	s_cmp_lg_u64 s[28:29], 0
	s_subb_u32 s25, s27, s25
	s_cmp_ge_u32 s25, s3
	s_cselect_b32 s27, -1, 0
	s_cmp_ge_u32 s26, s2
	s_cselect_b32 s2, -1, 0
	s_cmp_eq_u32 s25, s3
	s_cselect_b32 s2, s2, s27
	s_cmp_lg_u32 s2, 0
	s_cselect_b32 s3, s31, s9
	s_cselect_b32 s2, s30, s1
	s_xor_b64 s[4:5], s[4:5], 0
	s_xor_b64 s[2:3], s[2:3], s[4:5]
	s_sub_u32 s4, s2, s4
	s_cbranch_execnz .LBB61_11
.LBB61_10:
	s_sub_i32 s1, 0, s22
	v_readfirstlane_b32 s2, v7
	s_mul_i32 s1, s1, s2
	s_mul_hi_u32 s1, s2, s1
	s_add_i32 s2, s2, s1
	s_mul_hi_u32 s1, s8, s2
	s_mul_i32 s3, s1, s22
	s_sub_i32 s3, s8, s3
	s_add_i32 s2, s1, 1
	s_sub_i32 s4, s3, s22
	s_cmp_ge_u32 s3, s22
	s_cselect_b32 s1, s2, s1
	s_cselect_b32 s3, s4, s3
	s_add_i32 s2, s1, 1
	s_cmp_ge_u32 s3, s22
	s_cselect_b32 s4, s2, s1
.LBB61_11:
	s_cmp_lg_u32 s6, s4
	s_cbranch_scc0 .LBB61_15
; %bb.12:
	s_add_i32 s1, s24, s22
	s_lshl_b32 s1, s1, 4
	s_add_i32 s2, s1, s15
	s_mov_b32 s3, s0
	s_lshl_b64 s[2:3], s[2:3], 3
	s_add_u32 s8, s18, s2
	s_mul_hi_u32 s1, s4, s12
	s_addc_u32 s9, s19, s3
	s_add_i32 s1, s1, s4
	s_lshr_b32 s1, s1, s13
	s_mul_i32 s2, s1, s14
	s_cmp_eq_u32 s2, s4
	s_cselect_b64 s[2:3], -1, 0
	s_cmp_lt_u32 s1, s7
	s_cselect_b64 s[26:27], -1, 0
	s_or_b64 s[26:27], s[26:27], s[2:3]
	s_mov_b64 s[2:3], -1
	s_and_b64 vcc, exec, s[26:27]
	s_mov_b32 s1, s24
	s_mov_b32 s25, s6
	s_cbranch_vccnz .LBB61_14
; %bb.13:
	s_add_i32 s1, s24, -1
	s_mov_b64 s[2:3], 0
	s_mov_b32 s25, s4
.LBB61_14:
	v_lshl_add_u32 v4, s24, 11, v6
	v_ashrrev_i32_e32 v5, 31, v4
	v_lshl_add_u64 v[4:5], v[4:5], 2, s[16:17]
	global_load_dword v5, v[4:5], off
	s_load_dwordx2 s[4:5], s[8:9], 0x0
	v_max_f32_e32 v4, v9, v9
	s_waitcnt lgkmcnt(0)
	v_max_f32_e64 v10, s4, s4
	v_max_f32_e32 v10, v4, v10
	v_sub_f32_e32 v11, v9, v10
	v_sub_f32_e32 v13, s4, v10
	v_mul_f32_e32 v4, 0x3fb8aa3b, v11
	v_mul_f32_e32 v12, 0x3fb8aa3b, v13
	v_fma_f32 v14, v11, s10, -v4
	v_rndne_f32_e32 v15, v4
	v_fma_f32 v16, v13, s10, -v12
	v_rndne_f32_e32 v17, v12
	v_fmac_f32_e32 v14, 0x32a5705f, v11
	v_sub_f32_e32 v4, v4, v15
	v_fmac_f32_e32 v16, 0x32a5705f, v13
	v_sub_f32_e32 v12, v12, v17
	v_add_f32_e32 v4, v4, v14
	v_cvt_i32_f32_e32 v15, v15
	v_add_f32_e32 v12, v12, v16
	v_exp_f32_e32 v14, v4
	v_cvt_i32_f32_e32 v17, v17
	v_exp_f32_e32 v12, v12
	v_cmp_ngt_f32_e32 vcc, s20, v11
	v_ldexp_f32 v14, v14, v15
	v_mov_b32_e32 v4, s5
	v_ldexp_f32 v12, v12, v17
	v_cndmask_b32_e32 v14, 0, v14, vcc
	v_cmp_ngt_f32_e32 vcc, s20, v13
	s_nop 1
	v_cndmask_b32_e32 v12, 0, v12, vcc
	v_cmp_nlt_f32_e32 vcc, s21, v11
	s_nop 1
	v_cndmask_b32_e32 v14, v8, v14, vcc
	v_cmp_nlt_f32_e32 vcc, s21, v13
	s_nop 1
	v_cndmask_b32_e32 v15, v8, v12, vcc
	v_cmp_le_f32_e32 vcc, s23, v11
	s_nop 1
	v_cndmask_b32_e32 v12, 0, v14, vcc
	v_cmp_le_f32_e32 vcc, s23, v13
	s_nop 1
	v_cndmask_b32_e32 v14, 0, v15, vcc
	s_waitcnt vmcnt(0)
	v_pk_mul_f32 v[4:5], v[4:5], v[14:15] op_sel_hi:[1,0]
	s_nop 0
	v_pk_fma_f32 v[4:5], v[0:1], v[12:13], v[4:5] op_sel_hi:[1,0,1]
	s_cbranch_execz .LBB61_16
	s_branch .LBB61_17
.LBB61_15:
                                        ; implicit-def: $vgpr4_vgpr5
                                        ; implicit-def: $sgpr2_sgpr3
                                        ; implicit-def: $vgpr10
                                        ; implicit-def: $sgpr1
                                        ; implicit-def: $sgpr25
.LBB61_16:
	s_add_i32 s1, s24, -1
	s_mov_b64 s[2:3], 0
	s_mov_b32 s25, s6
	v_mov_b32_e32 v10, v9
	s_waitcnt vmcnt(0)
	v_mov_b64_e32 v[4:5], v[0:1]
.LBB61_17:
	s_andn2_b64 vcc, exec, s[2:3]
	s_cbranch_vccz .LBB61_22
; %bb.18:
	s_mov_b32 s6, s25
	s_mov_b32 s24, s1
	v_mov_b32_e32 v9, v10
	s_waitcnt vmcnt(0)
	v_mov_b64_e32 v[0:1], v[4:5]
	s_mul_hi_i32 s1, s24, s11
	s_cmp_lg_u64 s[0:1], 0
	s_mul_i32 s8, s24, s11
	s_cbranch_scc1 .LBB61_9
.LBB61_19:
                                        ; implicit-def: $sgpr4_sgpr5
	s_branch .LBB61_10
.LBB61_20:
                                        ; implicit-def: $sgpr6_sgpr7
	s_load_dwordx4 s[12:15], s[0:1], 0x44
	s_branch .LBB61_2
.LBB61_21:
                                        ; implicit-def: $sgpr18_sgpr19
	s_branch .LBB61_5
.LBB61_22:
	v_div_scale_f32 v0, s[0:1], v4, v4, v5
	s_waitcnt vmcnt(0)
	v_rcp_f32_e32 v1, v0
	v_div_scale_f32 v6, vcc, v5, v4, v5
	v_fma_f32 v7, -v0, v1, 1.0
	v_fmac_f32_e32 v1, v7, v1
	v_mul_f32_e32 v7, v6, v1
	v_fma_f32 v8, -v0, v7, v6
	v_fmac_f32_e32 v7, v8, v1
	v_fma_f32 v0, -v0, v7, v6
	v_div_fmas_f32 v0, v0, v1, v7
	v_div_fixup_f32 v0, v0, v4, v5
	global_store_dword v[2:3], v0, off
.LBB61_23:
	s_endpgm
	.section	.rodata,"a",@progbits
	.p2align	6, 0x0
	.amdhsa_kernel _ZL33flash_attn_stream_k_fixup_generalILi128ELi16ELi1EEvPfPK15HIP_vector_typeIfLj2EEiiiiS1_IjLj3EES5_S5_S5_
		.amdhsa_group_segment_fixed_size 0
		.amdhsa_private_segment_fixed_size 0
		.amdhsa_kernarg_size 336
		.amdhsa_user_sgpr_count 2
		.amdhsa_user_sgpr_dispatch_ptr 0
		.amdhsa_user_sgpr_queue_ptr 0
		.amdhsa_user_sgpr_kernarg_segment_ptr 1
		.amdhsa_user_sgpr_dispatch_id 0
		.amdhsa_user_sgpr_kernarg_preload_length 0
		.amdhsa_user_sgpr_kernarg_preload_offset 0
		.amdhsa_user_sgpr_private_segment_size 0
		.amdhsa_uses_dynamic_stack 0
		.amdhsa_enable_private_segment 0
		.amdhsa_system_sgpr_workgroup_id_x 1
		.amdhsa_system_sgpr_workgroup_id_y 1
		.amdhsa_system_sgpr_workgroup_id_z 1
		.amdhsa_system_sgpr_workgroup_info 0
		.amdhsa_system_vgpr_workitem_id 0
		.amdhsa_next_free_vgpr 18
		.amdhsa_next_free_sgpr 36
		.amdhsa_accum_offset 20
		.amdhsa_reserve_vcc 1
		.amdhsa_float_round_mode_32 0
		.amdhsa_float_round_mode_16_64 0
		.amdhsa_float_denorm_mode_32 3
		.amdhsa_float_denorm_mode_16_64 3
		.amdhsa_dx10_clamp 1
		.amdhsa_ieee_mode 1
		.amdhsa_fp16_overflow 0
		.amdhsa_tg_split 0
		.amdhsa_exception_fp_ieee_invalid_op 0
		.amdhsa_exception_fp_denorm_src 0
		.amdhsa_exception_fp_ieee_div_zero 0
		.amdhsa_exception_fp_ieee_overflow 0
		.amdhsa_exception_fp_ieee_underflow 0
		.amdhsa_exception_fp_ieee_inexact 0
		.amdhsa_exception_int_div_zero 0
	.end_amdhsa_kernel
	.section	.text._ZL33flash_attn_stream_k_fixup_generalILi128ELi16ELi1EEvPfPK15HIP_vector_typeIfLj2EEiiiiS1_IjLj3EES5_S5_S5_,"axG",@progbits,_ZL33flash_attn_stream_k_fixup_generalILi128ELi16ELi1EEvPfPK15HIP_vector_typeIfLj2EEiiiiS1_IjLj3EES5_S5_S5_,comdat
.Lfunc_end61:
	.size	_ZL33flash_attn_stream_k_fixup_generalILi128ELi16ELi1EEvPfPK15HIP_vector_typeIfLj2EEiiiiS1_IjLj3EES5_S5_S5_, .Lfunc_end61-_ZL33flash_attn_stream_k_fixup_generalILi128ELi16ELi1EEvPfPK15HIP_vector_typeIfLj2EEiiiiS1_IjLj3EES5_S5_S5_
                                        ; -- End function
	.set _ZL33flash_attn_stream_k_fixup_generalILi128ELi16ELi1EEvPfPK15HIP_vector_typeIfLj2EEiiiiS1_IjLj3EES5_S5_S5_.num_vgpr, 18
	.set _ZL33flash_attn_stream_k_fixup_generalILi128ELi16ELi1EEvPfPK15HIP_vector_typeIfLj2EEiiiiS1_IjLj3EES5_S5_S5_.num_agpr, 0
	.set _ZL33flash_attn_stream_k_fixup_generalILi128ELi16ELi1EEvPfPK15HIP_vector_typeIfLj2EEiiiiS1_IjLj3EES5_S5_S5_.numbered_sgpr, 36
	.set _ZL33flash_attn_stream_k_fixup_generalILi128ELi16ELi1EEvPfPK15HIP_vector_typeIfLj2EEiiiiS1_IjLj3EES5_S5_S5_.num_named_barrier, 0
	.set _ZL33flash_attn_stream_k_fixup_generalILi128ELi16ELi1EEvPfPK15HIP_vector_typeIfLj2EEiiiiS1_IjLj3EES5_S5_S5_.private_seg_size, 0
	.set _ZL33flash_attn_stream_k_fixup_generalILi128ELi16ELi1EEvPfPK15HIP_vector_typeIfLj2EEiiiiS1_IjLj3EES5_S5_S5_.uses_vcc, 1
	.set _ZL33flash_attn_stream_k_fixup_generalILi128ELi16ELi1EEvPfPK15HIP_vector_typeIfLj2EEiiiiS1_IjLj3EES5_S5_S5_.uses_flat_scratch, 0
	.set _ZL33flash_attn_stream_k_fixup_generalILi128ELi16ELi1EEvPfPK15HIP_vector_typeIfLj2EEiiiiS1_IjLj3EES5_S5_S5_.has_dyn_sized_stack, 0
	.set _ZL33flash_attn_stream_k_fixup_generalILi128ELi16ELi1EEvPfPK15HIP_vector_typeIfLj2EEiiiiS1_IjLj3EES5_S5_S5_.has_recursion, 0
	.set _ZL33flash_attn_stream_k_fixup_generalILi128ELi16ELi1EEvPfPK15HIP_vector_typeIfLj2EEiiiiS1_IjLj3EES5_S5_S5_.has_indirect_call, 0
	.section	.AMDGPU.csdata,"",@progbits
; Kernel info:
; codeLenInByte = 2932
; TotalNumSgprs: 42
; NumVgprs: 18
; NumAgprs: 0
; TotalNumVgprs: 18
; ScratchSize: 0
; MemoryBound: 0
; FloatMode: 240
; IeeeMode: 1
; LDSByteSize: 0 bytes/workgroup (compile time only)
; SGPRBlocks: 5
; VGPRBlocks: 2
; NumSGPRsForWavesPerEU: 42
; NumVGPRsForWavesPerEU: 18
; AccumOffset: 20
; Occupancy: 8
; WaveLimiterHint : 0
; COMPUTE_PGM_RSRC2:SCRATCH_EN: 0
; COMPUTE_PGM_RSRC2:USER_SGPR: 2
; COMPUTE_PGM_RSRC2:TRAP_HANDLER: 0
; COMPUTE_PGM_RSRC2:TGID_X_EN: 1
; COMPUTE_PGM_RSRC2:TGID_Y_EN: 1
; COMPUTE_PGM_RSRC2:TGID_Z_EN: 1
; COMPUTE_PGM_RSRC2:TIDIG_COMP_CNT: 0
; COMPUTE_PGM_RSRC3_GFX90A:ACCUM_OFFSET: 4
; COMPUTE_PGM_RSRC3_GFX90A:TG_SPLIT: 0
	.section	.text._ZL15flash_attn_tileILi128ELi128ELi8ELi1ELb0EEvPKcS1_S1_S1_S1_PKiPfP15HIP_vector_typeIfLj2EEffffjfiS5_IjLj3EEiiiiiiiiiiiliiliiiiil,"axG",@progbits,_ZL15flash_attn_tileILi128ELi128ELi8ELi1ELb0EEvPKcS1_S1_S1_S1_PKiPfP15HIP_vector_typeIfLj2EEffffjfiS5_IjLj3EEiiiiiiiiiiiliiliiiiil,comdat
	.globl	_ZL15flash_attn_tileILi128ELi128ELi8ELi1ELb0EEvPKcS1_S1_S1_S1_PKiPfP15HIP_vector_typeIfLj2EEffffjfiS5_IjLj3EEiiiiiiiiiiiliiliiiiil ; -- Begin function _ZL15flash_attn_tileILi128ELi128ELi8ELi1ELb0EEvPKcS1_S1_S1_S1_PKiPfP15HIP_vector_typeIfLj2EEffffjfiS5_IjLj3EEiiiiiiiiiiiliiliiiiil
	.p2align	8
	.type	_ZL15flash_attn_tileILi128ELi128ELi8ELi1ELb0EEvPKcS1_S1_S1_S1_PKiPfP15HIP_vector_typeIfLj2EEffffjfiS5_IjLj3EEiiiiiiiiiiiliiliiiiil,@function
_ZL15flash_attn_tileILi128ELi128ELi8ELi1ELb0EEvPKcS1_S1_S1_S1_PKiPfP15HIP_vector_typeIfLj2EEffffjfiS5_IjLj3EEiiiiiiiiiiiliiliiiiil: ; @_ZL15flash_attn_tileILi128ELi128ELi8ELi1ELb0EEvPKcS1_S1_S1_S1_PKiPfP15HIP_vector_typeIfLj2EEffffjfiS5_IjLj3EEiiiiiiiiiiiliiliiiiil
; %bb.0:
	s_load_dwordx4 s[24:27], s[0:1], 0x5c
	s_load_dwordx2 s[38:39], s[0:1], 0x80
	s_load_dwordx2 s[40:41], s[0:1], 0xb8
	s_mov_b64 s[36:37], 0
	s_waitcnt lgkmcnt(0)
	v_cvt_f32_u32_e32 v1, s27
	s_sub_i32 s5, 0, s27
	v_rcp_iflag_f32_e32 v1, v1
	s_nop 0
	v_mul_f32_e32 v1, 0x4f7ffffe, v1
	v_cvt_u32_f32_e32 v1, v1
	s_nop 0
	v_readfirstlane_b32 s6, v1
	s_mul_i32 s5, s5, s6
	s_mul_hi_u32 s5, s6, s5
	s_add_i32 s6, s6, s5
	s_mul_hi_u32 s5, s4, s6
	s_mul_i32 s6, s5, s27
	s_sub_i32 s6, s4, s6
	s_add_i32 s7, s5, 1
	s_sub_i32 s8, s6, s27
	s_cmp_ge_u32 s6, s27
	s_cselect_b32 s5, s7, s5
	s_cselect_b32 s6, s8, s6
	s_add_i32 s7, s5, 1
	s_cmp_ge_u32 s6, s27
	s_cselect_b32 s33, s7, s5
	s_abs_i32 s5, s39
	v_cvt_f32_u32_e32 v1, s5
	s_mul_i32 s8, s33, s27
	s_sub_i32 s9, 0, s5
	s_sub_i32 s34, s4, s8
	v_rcp_iflag_f32_e32 v1, v1
	s_abs_i32 s7, s27
	s_xor_b32 s6, s27, s39
	s_ashr_i32 s6, s6, 31
	v_mul_f32_e32 v1, 0x4f7ffffe, v1
	v_cvt_u32_f32_e32 v1, v1
	s_nop 0
	v_readfirstlane_b32 s4, v1
	s_mul_i32 s9, s9, s4
	s_mul_hi_u32 s8, s4, s9
	s_add_i32 s4, s4, s8
	s_mul_hi_u32 s4, s7, s4
	s_mul_i32 s8, s4, s5
	s_sub_i32 s7, s7, s8
	s_add_i32 s9, s4, 1
	s_sub_i32 s8, s7, s5
	s_cmp_ge_u32 s7, s5
	s_cselect_b32 s4, s9, s4
	s_cselect_b32 s7, s8, s7
	s_add_i32 s8, s4, 1
	s_cmp_ge_u32 s7, s5
	s_cselect_b32 s4, s8, s4
	s_xor_b32 s4, s4, s6
	s_sub_i32 s43, s4, s6
	s_abs_i32 s39, s43
	v_cvt_f32_u32_e32 v1, s39
	s_load_dwordx16 s[8:23], s[0:1], 0x0
	s_sub_i32 s4, 0, s39
	s_abs_i32 s42, s34
	v_rcp_iflag_f32_e32 v1, v1
	s_nop 0
	v_mul_f32_e32 v1, 0x4f7ffffe, v1
	v_cvt_u32_f32_e32 v1, v1
	s_nop 0
	v_readfirstlane_b32 s5, v1
	s_mul_i32 s4, s4, s5
	s_mul_hi_u32 s4, s5, s4
	s_add_i32 s4, s5, s4
	s_waitcnt lgkmcnt(0)
	s_cmp_eq_u64 s[14:15], 0
	s_cbranch_scc1 .LBB62_2
; %bb.1:
	s_abs_i32 s5, s40
	v_cvt_f32_u32_e32 v1, s5
	s_sub_i32 s30, 0, s5
	s_abs_i32 s29, s33
	s_ashr_i32 s28, s33, 31
	v_rcp_iflag_f32_e32 v1, v1
	s_load_dwordx2 s[6:7], s[0:1], 0xc8
	v_mul_f32_e32 v1, 0x4f7ffffe, v1
	v_cvt_u32_f32_e32 v1, v1
	s_nop 0
	v_readfirstlane_b32 s31, v1
	s_mul_i32 s30, s30, s31
	s_mul_hi_u32 s30, s31, s30
	s_add_i32 s31, s31, s30
	s_mul_hi_u32 s30, s29, s31
	s_mul_i32 s30, s30, s5
	s_sub_i32 s29, s29, s30
	s_sub_i32 s30, s29, s5
	s_cmp_ge_u32 s29, s5
	s_cselect_b32 s29, s30, s29
	s_sub_i32 s30, s29, s5
	s_cmp_ge_u32 s29, s5
	s_cselect_b32 s5, s30, s29
	s_xor_b32 s5, s5, s28
	s_sub_i32 s5, s5, s28
	s_ashr_i32 s28, s5, 31
	s_waitcnt lgkmcnt(0)
	s_mul_hi_u32 s29, s6, s5
	s_mul_i32 s28, s6, s28
	s_mul_i32 s7, s7, s5
	s_add_i32 s28, s29, s28
	s_add_i32 s28, s28, s7
	s_mul_i32 s5, s6, s5
	s_add_u32 s36, s14, s5
	s_addc_u32 s37, s15, s28
.LBB62_2:
	s_load_dwordx4 s[28:31], s[0:1], 0x40
	s_mul_hi_u32 s15, s42, s4
	s_load_dword s4, s[0:1], 0x50
	v_mov_b32_e32 v31, 1.0
	s_waitcnt lgkmcnt(0)
	v_cmp_le_f32_e64 s[6:7], s29, 0
	s_and_b64 vcc, exec, s[6:7]
	s_cbranch_vccnz .LBB62_4
; %bb.3:
	v_mov_b32_e32 v1, s4
	v_sub_co_u32_e32 v1, vcc, s34, v1
	v_mov_b32_e32 v2, s31
	v_mov_b32_e32 v3, s30
	s_add_i32 s4, s34, 1
	v_lshlrev_b32_e32 v1, 1, v1
	v_cndmask_b32_e32 v2, v2, v3, vcc
	v_or_b32_e32 v1, 1, v1
	v_mov_b32_e32 v3, s4
	v_cndmask_b32_e32 v1, v1, v3, vcc
	v_cvt_f32_i32_e32 v1, v1
	v_cmp_neq_f32_e32 vcc, 1.0, v2
	s_mov_b32 s4, 0x3f2aaaab
	s_movk_i32 s6, 0x204
	v_cndmask_b32_e32 v1, 1.0, v1, vcc
	v_cmp_neq_f32_e32 vcc, 0, v1
	s_mov_b32 s5, 0x42b17218
	s_mov_b32 s7, 0x3fb8aa3b
	v_cndmask_b32_e32 v18, 1.0, v2, vcc
	v_frexp_mant_f32_e64 v2, |v18|
	v_cmp_gt_f32_e32 vcc, s4, v2
	s_mov_b32 s4, 0x3f317218
	s_brev_b32 s14, -2
	v_cndmask_b32_e64 v3, 1.0, 2.0, vcc
	v_mul_f32_e32 v2, v2, v3
	v_add_f32_e32 v5, 1.0, v2
	v_rcp_f32_e32 v10, v5
	v_add_f32_e32 v3, -1.0, v5
	v_sub_f32_e32 v7, v2, v3
	v_add_f32_e32 v3, -1.0, v2
	v_mul_f32_e32 v11, v3, v10
	v_mul_f32_e32 v4, v5, v11
	v_fma_f32 v6, v11, v5, -v4
	v_fmac_f32_e32 v6, v11, v7
	v_add_f32_e32 v2, v4, v6
	v_sub_f32_e32 v5, v3, v2
	v_pk_add_f32 v[8:9], v[2:3], v[4:5] neg_lo:[0,1] neg_hi:[0,1]
	v_mov_b32_e32 v7, v2
	v_pk_add_f32 v[2:3], v[8:9], v[6:7] neg_lo:[0,1] neg_hi:[0,1]
	v_mov_b32_e32 v6, 0x3e91f4c4
	v_add_f32_e32 v2, v2, v3
	v_add_f32_e32 v2, v5, v2
	v_mul_f32_e32 v3, v10, v2
	v_add_f32_e32 v2, v11, v3
	v_sub_f32_e32 v4, v2, v11
	v_sub_f32_e32 v12, v3, v4
	v_mul_f32_e32 v3, v2, v2
	v_fma_f32 v5, v2, v2, -v3
	v_add_f32_e32 v4, v12, v12
	v_fmac_f32_e32 v5, v2, v4
	v_add_f32_e32 v4, v3, v5
	v_fmac_f32_e32 v6, 0x3e76c4e1, v4
	v_fmaak_f32 v6, v4, v6, 0x3ecccdef
	v_sub_f32_e32 v3, v4, v3
	v_sub_f32_e32 v13, v5, v3
	v_mul_f32_e32 v3, v4, v6
	v_fma_f32 v5, v4, v6, -v3
	v_fmac_f32_e32 v5, v13, v6
	v_add_f32_e32 v6, v3, v5
	v_add_f32_e32 v7, 0x3f2aaaaa, v6
	v_sub_f32_e32 v3, v6, v3
	v_sub_f32_e32 v3, v5, v3
	v_add_f32_e32 v5, 0xbf2aaaaa, v7
	v_add_f32_e32 v3, 0x31739010, v3
	v_sub_f32_e32 v5, v6, v5
	v_pk_mul_f32 v[8:9], v[2:3], v[4:5]
	v_pk_add_f32 v[10:11], v[2:3], v[4:5]
	v_fma_f32 v6, v4, v2, -v8
	v_fmac_f32_e32 v6, v4, v12
	v_mov_b32_e32 v9, v11
	v_fmac_f32_e32 v6, v13, v2
	v_pk_add_f32 v[4:5], v[8:9], v[6:7]
	v_ldexp_f32 v14, v12, 1
	v_sub_f32_e32 v3, v4, v8
	v_sub_f32_e32 v3, v6, v3
	;; [unrolled: 1-line block ×3, first 2 shown]
	v_add_f32_e32 v9, v11, v6
	v_pk_mul_f32 v[6:7], v[4:5], v[4:5] op_sel:[0,1] op_sel_hi:[1,0]
	v_cvt_f64_f32_e64 v[10:11], |v18|
	v_frexp_exp_i32_f64_e32 v7, v[10:11]
	v_subbrev_co_u32_e32 v7, vcc, 0, v7, vcc
	v_cvt_f32_i32_e32 v7, v7
	v_fma_f32 v8, v4, v5, -v6
	v_fmac_f32_e32 v8, v4, v9
	v_fmac_f32_e32 v8, v3, v5
	v_mul_f32_e32 v4, 0x3f317218, v7
	v_fma_f32 v3, v7, s4, -v4
	v_fmamk_f32 v10, v7, 0xb102e308, v3
	v_ldexp_f32 v11, v2, 1
	v_add_f32_e32 v5, v6, v8
	v_pk_add_f32 v[2:3], v[4:5], v[10:11]
	v_mov_b32_e32 v12, v5
	v_mov_b32_e32 v13, v3
	;; [unrolled: 1-line block ×3, first 2 shown]
	v_pk_add_f32 v[6:7], v[12:13], v[6:7] neg_lo:[0,1] neg_hi:[0,1]
	v_mov_b32_e32 v9, v5
	v_pk_add_f32 v[6:7], v[8:9], v[6:7] neg_lo:[0,1] neg_hi:[0,1]
	v_mov_b32_e32 v11, v2
	v_add_f32_e32 v5, v14, v6
	v_add_f32_e32 v5, v5, v7
	v_pk_add_f32 v[6:7], v[2:3], v[4:5] neg_lo:[0,1] neg_hi:[0,1]
	v_pk_add_f32 v[8:9], v[2:3], v[4:5]
	v_mov_b32_e32 v16, v3
	v_mov_b32_e32 v7, v9
	v_pk_add_f32 v[12:13], v[10:11], v[6:7] neg_lo:[0,1] neg_hi:[0,1]
	v_pk_add_f32 v[6:7], v[10:11], v[6:7]
	v_mov_b32_e32 v4, v5
	v_pk_add_f32 v[10:11], v[6:7], v[2:3] op_sel:[1,0] op_sel_hi:[0,1] neg_lo:[0,1] neg_hi:[0,1]
	v_pk_add_f32 v[14:15], v[8:9], v[10:11] op_sel_hi:[1,0] neg_lo:[0,1] neg_hi:[0,1]
	v_mov_b32_e32 v8, v9
	v_mov_b32_e32 v9, v7
	;; [unrolled: 1-line block ×3, first 2 shown]
	v_pk_add_f32 v[8:9], v[8:9], v[16:17] neg_lo:[0,1] neg_hi:[0,1]
	v_mov_b32_e32 v5, v2
	v_pk_add_f32 v[2:3], v[4:5], v[8:9] neg_lo:[0,1] neg_hi:[0,1]
	v_mov_b32_e32 v14, v12
	v_pk_add_f32 v[4:5], v[14:15], v[2:3]
	v_mov_b32_e32 v13, v7
	v_pk_add_f32 v[8:9], v[4:5], v[4:5] op_sel:[0,1] op_sel_hi:[1,0]
	s_mov_b32 s4, 0x7f800000
	v_pk_add_f32 v[6:7], v[6:7], v[8:9] op_sel:[1,0] op_sel_hi:[0,1]
	v_mov_b32_e32 v5, v6
	v_pk_add_f32 v[10:11], v[4:5], v[12:13] neg_lo:[0,1] neg_hi:[0,1]
	v_mov_b32_e32 v3, v8
	v_sub_f32_e32 v4, v4, v10
	v_pk_add_f32 v[2:3], v[2:3], v[10:11] neg_lo:[0,1] neg_hi:[0,1]
	v_sub_f32_e32 v4, v12, v4
	v_add_f32_e32 v2, v2, v4
	v_add_f32_e32 v2, v2, v3
	;; [unrolled: 1-line block ×3, first 2 shown]
	v_sub_f32_e32 v4, v3, v6
	v_sub_f32_e32 v2, v2, v4
	v_mul_f32_e32 v4, v1, v3
	v_fma_f32 v3, v1, v3, -v4
	v_fmac_f32_e32 v3, v1, v2
	v_add_f32_e32 v2, v4, v3
	v_cmp_class_f32_e64 vcc, v4, s6
	v_sub_f32_e32 v5, v2, v4
	v_sub_f32_e32 v3, v3, v5
	v_cndmask_b32_e32 v2, v2, v4, vcc
	v_mov_b32_e32 v4, 0x37000000
	v_cmp_eq_f32_e32 vcc, s5, v2
	v_cmp_class_f32_e64 s[30:31], v18, s6
	s_nop 0
	v_cndmask_b32_e32 v4, 0, v4, vcc
	v_sub_f32_e32 v5, v2, v4
	v_mul_f32_e32 v6, 0x3fb8aa3b, v5
	v_fma_f32 v7, v5, s7, -v6
	v_rndne_f32_e32 v8, v6
	v_fmamk_f32 v7, v5, 0x32a5705f, v7
	v_sub_f32_e32 v6, v6, v8
	v_add_f32_e32 v6, v6, v7
	v_exp_f32_e32 v6, v6
	v_cvt_i32_f32_e32 v7, v8
	v_cmp_neq_f32_e64 vcc, |v2|, s4
	s_mov_b32 s4, 0xc2ce8ed0
	s_nop 0
	v_cndmask_b32_e32 v2, 0, v3, vcc
	v_ldexp_f32 v3, v6, v7
	v_cmp_ngt_f32_e32 vcc, s4, v5
	v_add_f32_e32 v2, v4, v2
	v_mov_b32_e32 v4, 0x7f800000
	v_cndmask_b32_e32 v3, 0, v3, vcc
	v_cmp_nlt_f32_e32 vcc, s5, v5
	v_mov_b32_e32 v5, 0x7fc00000
	s_nop 0
	v_cndmask_b32_e32 v3, v4, v3, vcc
	v_fma_f32 v2, v3, v2, v3
	v_cmp_class_f32_e64 vcc, v3, s6
	v_cmp_gt_f32_e64 s[6:7], 0, v1
	s_nop 0
	v_cndmask_b32_e32 v2, v2, v3, vcc
	v_trunc_f32_e32 v3, v1
	v_cmp_eq_f32_e32 vcc, v3, v1
	v_mul_f32_e32 v3, 0.5, v1
	v_trunc_f32_e32 v6, v3
	v_cmp_neq_f32_e64 s[4:5], v6, v3
	s_and_b64 s[4:5], vcc, s[4:5]
	s_nop 0
	v_cndmask_b32_e64 v3, 1.0, v18, s[4:5]
	v_bfi_b32 v2, s14, v2, v3
	v_cndmask_b32_e32 v3, v5, v2, vcc
	v_cmp_gt_f32_e32 vcc, 0, v18
	s_nop 1
	v_cndmask_b32_e32 v2, v2, v3, vcc
	v_cmp_eq_f32_e32 vcc, 0, v18
	s_xor_b64 s[6:7], s[6:7], vcc
	v_cndmask_b32_e64 v1, v4, 0, s[6:7]
	v_cndmask_b32_e64 v3, 0, v18, s[4:5]
	v_bfi_b32 v1, s14, v1, v3
	s_or_b64 vcc, vcc, s[30:31]
	v_cndmask_b32_e32 v1, v2, v1, vcc
	v_cmp_o_f32_e32 vcc, v18, v18
	s_nop 1
	v_cndmask_b32_e32 v31, v5, v1, vcc
.LBB62_4:
	s_load_dwordx4 s[44:47], s[0:1], 0x70
	v_bfe_u32 v30, v0, 10, 10
	s_ashr_i32 s35, s34, 31
	s_ashr_i32 s4, s43, 31
	v_lshl_add_u32 v26, s2, 3, v30
	s_waitcnt lgkmcnt(0)
	s_mul_i32 s5, s33, s46
	s_ashr_i32 s7, s5, 31
	s_mul_i32 s6, s34, s45
	s_add_u32 s5, s8, s5
	v_mul_hi_u32 v1, s24, v26
	s_addc_u32 s7, s9, s7
	s_ashr_i32 s8, s6, 31
	v_add_u32_e32 v1, v26, v1
	s_add_u32 s6, s5, s6
	v_lshrrev_b32_e32 v1, s25, v1
	s_addc_u32 s7, s7, s8
	v_mul_lo_u32 v1, v1, s26
	s_ashr_i32 s45, s44, 31
	v_sub_u32_e32 v5, v26, v1
	s_lshr_b64 s[8:9], s[44:45], 2
	v_mad_u64_u32 v[2:3], s[8:9], s8, v5, 0
	v_mov_b32_e32 v4, v3
	s_lshr_b32 s5, s45, 2
	v_mad_u64_u32 v[6:7], s[8:9], s5, v5, v[4:5]
	v_mov_b32_e32 v3, v6
	v_and_b32_e32 v4, 0x3ff, v0
	v_lshl_add_u64 v[0:1], v[2:3], 2, s[6:7]
	v_lshlrev_b32_e32 v6, 4, v4
	v_mov_b32_e32 v7, 0
	v_lshl_add_u64 v[0:1], v[0:1], 0, v[6:7]
	global_load_dwordx4 v[0:3], v[0:1], off
	v_mov_b32_e32 v6, 0x4400
	v_lshlrev_b32_e32 v28, 3, v4
	v_lshl_add_u32 v32, v30, 8, v6
	v_add_u32_e32 v6, v32, v28
	s_cmp_eq_u64 s[18:19], 0
	s_waitcnt vmcnt(0)
	v_fma_mixlo_f16 v8, s28, v0, 0
	v_mov_b32_e32 v0, v3
	v_pk_mul_f32 v[0:1], s[28:29], v[0:1] op_sel_hi:[0,1]
	v_cvt_pk_f16_f32 v0, v0, v1
	v_fma_mixlo_f16 v2, s28, v2, 0
	v_and_b32_e32 v3, 0xffff, v8
	v_lshlrev_b32_e32 v1, 16, v0
	v_and_b32_e32 v0, 0xffff0000, v0
	v_and_b32_e32 v2, 0xffff, v2
	v_or_b32_e32 v0, v0, v3
	v_or3_b32 v1, v1, v2, 0
	v_or3_b32 v0, 0, 0, v0
	ds_write_b64 v6, v[0:1]
	s_waitcnt lgkmcnt(0)
	s_barrier
	s_cbranch_scc1 .LBB62_6
; %bb.5:
	s_load_dword s5, s[0:1], 0xd0
	s_mov_b32 s7, 0
	s_waitcnt lgkmcnt(0)
	s_mul_i32 s5, s5, s33
	s_add_i32 s6, s5, s2
	s_lshl_b64 s[6:7], s[6:7], 2
	s_add_u32 s6, s18, s6
	s_addc_u32 s7, s19, s7
	s_load_dword s38, s[6:7], 0x0
.LBB62_6:
	s_nop 0
	s_load_dwordx2 s[6:7], s[0:1], 0x8c
	s_load_dwordx4 s[28:31], s[0:1], 0x98
	s_ashr_i32 s5, s33, 31
	s_ashr_i32 s14, s41, 1
	s_load_dwordx2 s[18:19], s[0:1], 0xa8
	s_waitcnt lgkmcnt(0)
	s_ashr_i32 s8, s6, 2
	s_mul_hi_u32 s6, s28, s33
	s_mul_i32 s9, s28, s5
	s_add_i32 s6, s6, s9
	s_mul_i32 s9, s29, s33
	s_ashr_i32 s2, s30, 2
	s_add_i32 s6, s6, s9
	s_mul_i32 s9, s28, s33
	s_add_u32 s9, s10, s9
	s_mul_i32 s10, s15, s39
	s_addc_u32 s6, s11, s6
	s_sub_i32 s10, s42, s10
	s_xor_b32 s4, s35, s4
	s_add_i32 s11, s15, 1
	s_sub_i32 s24, s10, s39
	s_cmp_ge_u32 s10, s39
	s_cselect_b32 s11, s11, s15
	s_cselect_b32 s10, s24, s10
	s_add_i32 s15, s11, 1
	s_cmp_ge_u32 s10, s39
	s_cselect_b32 s10, s15, s11
	s_xor_b32 s10, s10, s4
	s_sub_i32 s4, s10, s4
	s_mul_i32 s7, s4, s7
	s_ashr_i32 s10, s7, 31
	s_add_u32 s9, s9, s7
	s_addc_u32 s10, s6, s10
	s_mul_hi_u32 s6, s18, s33
	s_mul_i32 s5, s18, s5
	s_add_i32 s5, s6, s5
	s_mul_i32 s6, s19, s33
	s_add_i32 s5, s5, s6
	s_mul_i32 s6, s18, s33
	s_add_u32 s6, s12, s6
	s_mul_i32 s4, s4, s31
	s_addc_u32 s5, s13, s5
	s_ashr_i32 s7, s4, 31
	s_add_u32 s18, s6, s4
	v_lshlrev_b32_e32 v27, 2, v4
	s_addc_u32 s19, s5, s7
	s_lshl_b32 s24, s3, 6
	s_sub_i32 s11, s38, 64
	s_cmp_ge_i32 s24, s11
	v_lshrrev_b32_e32 v1, 4, v4
	v_and_b32_e32 v0, 60, v27
	v_mbcnt_lo_u32_b32 v33, -1, 0
	s_cbranch_scc1 .LBB62_15
; %bb.7:
	v_lshl_add_u32 v2, v30, 1, v1
	v_lshlrev_b32_e32 v6, 2, v0
	s_movk_i32 s4, 0x110
	v_mad_u32_u24 v34, v2, s4, v6
	v_mul_lo_u32 v8, s8, v2
	s_lshl_b32 s4, s8, 4
	v_add_u32_e32 v10, s4, v8
	v_add_u32_e32 v12, s4, v10
	s_cmp_lg_u64 s[36:37], 0
	v_mad_u64_u32 v[16:17], s[6:7], v5, s14, v[4:5]
	v_add_u32_e32 v14, s4, v12
	s_cselect_b64 s[4:5], -1, 0
	v_mul_lo_u32 v18, s2, v2
	s_lshl_b32 s6, s2, 4
	v_add_u32_e32 v20, s6, v18
	v_mov_b32_e32 v7, 0x4c00
	v_add_u32_e32 v22, s6, v20
	v_mov_b32_e32 v3, 0
	v_lshl_add_u32 v39, v30, 7, v7
	v_lshl_or_b32 v41, v2, 8, v6
	v_add_u32_e32 v24, s6, v22
	s_add_u32 s6, s0, 0xd0
	v_cndmask_b32_e64 v6, 0, 1, s[4:5]
	v_ashrrev_i32_e32 v9, 31, v8
	v_add_u32_e32 v35, 0x1100, v34
	v_ashrrev_i32_e32 v11, 31, v10
	v_add_u32_e32 v36, 0x2200, v34
	;; [unrolled: 2-line block ×3, first 2 shown]
	v_ashrrev_i32_e32 v15, 31, v14
	v_mul_u32_u24_e32 v38, 0x110, v4
	v_lshl_add_u32 v40, v4, 1, v39
	v_ashrrev_i32_e32 v19, 31, v18
	v_add_u32_e32 v42, 0x1000, v41
	v_ashrrev_i32_e32 v21, 31, v20
	v_add_u32_e32 v43, 0x2000, v41
	;; [unrolled: 2-line block ×3, first 2 shown]
	v_ashrrev_i32_e32 v25, 31, v24
	s_addc_u32 s7, s1, 0
	v_mov_b32_e32 v48, 0xfeffffff
	v_lshlrev_b32_e32 v2, 2, v0
	s_mov_b32 s12, 0x3fb8aa3b
	s_mov_b32 s13, 0xc2ce8ed0
	s_mov_b32 s15, 0x42b17218
	s_mov_b32 s25, 0x10001
	v_cmp_ne_u32_e64 s[4:5], 1, v6
	v_mbcnt_hi_u32_b32 v45, -1, v33
	v_mov_b32_e32 v46, 0x7f800000
	v_mov_b32_e32 v29, v3
	;; [unrolled: 1-line block ×4, first 2 shown]
.LBB62_8:                               ; =>This Inner Loop Header: Depth=1
	s_mul_hi_i32 s29, s24, s8
	s_mul_i32 s28, s24, s8
	s_lshl_b64 s[28:29], s[28:29], 2
	s_add_u32 s28, s9, s28
	s_addc_u32 s29, s10, s29
	v_lshl_add_u64 v[6:7], v[8:9], 2, s[28:29]
	v_lshl_add_u64 v[6:7], v[6:7], 0, v[2:3]
	;; [unrolled: 1-line block ×4, first 2 shown]
	global_load_dwordx4 v[50:53], v[6:7], off
	global_load_dwordx4 v[54:57], v[58:59], off
	v_lshl_add_u64 v[6:7], v[12:13], 2, s[28:29]
	v_lshl_add_u64 v[6:7], v[6:7], 0, v[2:3]
	;; [unrolled: 1-line block ×4, first 2 shown]
	global_load_dwordx4 v[58:61], v[6:7], off
	global_load_dwordx4 v[62:65], v[66:67], off
	v_mov_b32_e32 v49, 0
	v_add_u32_e32 v6, s24, v16
	v_ashrrev_i32_e32 v7, 31, v6
	s_and_b64 vcc, exec, s[4:5]
	s_waitcnt vmcnt(3)
	ds_write_b128 v34, v[50:53]
	s_waitcnt vmcnt(2)
	ds_write_b128 v35, v[54:57]
	;; [unrolled: 2-line block ×4, first 2 shown]
	s_waitcnt lgkmcnt(0)
	s_barrier
	ds_read_b128 v[52:55], v38
	ds_read_b128 v[56:59], v32
	v_mov_b32_e32 v50, 0
	ds_read_b128 v[60:63], v38 offset:8704
	s_waitcnt lgkmcnt(1)
	;;#ASMSTART
	v_dot2_f32_f16 v50, v52, v56, v50
	;;#ASMEND
	s_nop 0
	;;#ASMSTART
	v_dot2_f32_f16 v50, v53, v57, v50
	;;#ASMEND
	v_mov_b32_e32 v51, 0
	;;#ASMSTART
	v_dot2_f32_f16 v50, v54, v58, v50
	;;#ASMEND
	s_nop 0
	;;#ASMSTART
	v_dot2_f32_f16 v50, v55, v59, v50
	;;#ASMEND
	s_waitcnt lgkmcnt(0)
	;;#ASMSTART
	v_dot2_f32_f16 v49, v60, v56, v49
	;;#ASMEND
	s_nop 0
	;;#ASMSTART
	v_dot2_f32_f16 v49, v61, v57, v49
	;;#ASMEND
	s_nop 0
	;;#ASMSTART
	v_dot2_f32_f16 v49, v62, v58, v49
	;;#ASMEND
	s_nop 0
	;;#ASMSTART
	v_dot2_f32_f16 v49, v63, v59, v49
	;;#ASMEND
	ds_read_b128 v[52:55], v38 offset:16
	ds_read_b128 v[56:59], v32 offset:16
	ds_read_b128 v[60:63], v38 offset:8720
	s_waitcnt lgkmcnt(1)
	;;#ASMSTART
	v_dot2_f32_f16 v50, v52, v56, v50
	;;#ASMEND
	s_nop 0
	;;#ASMSTART
	v_dot2_f32_f16 v50, v53, v57, v50
	;;#ASMEND
	s_nop 0
	;;#ASMSTART
	v_dot2_f32_f16 v50, v54, v58, v50
	;;#ASMEND
	s_nop 0
	;;#ASMSTART
	v_dot2_f32_f16 v50, v55, v59, v50
	;;#ASMEND
	s_waitcnt lgkmcnt(0)
	;;#ASMSTART
	v_dot2_f32_f16 v49, v60, v56, v49
	;;#ASMEND
	s_nop 0
	;;#ASMSTART
	v_dot2_f32_f16 v49, v61, v57, v49
	;;#ASMEND
	s_nop 0
	;;#ASMSTART
	v_dot2_f32_f16 v49, v62, v58, v49
	;;#ASMEND
	s_nop 0
	;;#ASMSTART
	v_dot2_f32_f16 v49, v63, v59, v49
	;;#ASMEND
	ds_read_b128 v[52:55], v38 offset:32
	ds_read_b128 v[56:59], v32 offset:32
	ds_read_b128 v[60:63], v38 offset:8736
	s_waitcnt lgkmcnt(1)
	;;#ASMSTART
	v_dot2_f32_f16 v50, v52, v56, v50
	;;#ASMEND
	s_nop 0
	;;#ASMSTART
	v_dot2_f32_f16 v50, v53, v57, v50
	;;#ASMEND
	s_nop 0
	;; [unrolled: 35-line block ×15, first 2 shown]
	;;#ASMSTART
	v_dot2_f32_f16 v50, v54, v58, v50
	;;#ASMEND
	s_nop 0
	;;#ASMSTART
	v_dot2_f32_f16 v50, v55, v59, v50
	;;#ASMEND
	s_waitcnt lgkmcnt(0)
	;;#ASMSTART
	v_dot2_f32_f16 v49, v60, v56, v49
	;;#ASMEND
	s_nop 0
	;;#ASMSTART
	v_dot2_f32_f16 v49, v61, v57, v49
	;;#ASMEND
	s_nop 0
	;; [unrolled: 4-line block ×3, first 2 shown]
	;;#ASMSTART
	v_dot2_f32_f16 v49, v63, v59, v49
	;;#ASMEND
	s_cbranch_vccnz .LBB62_10
; %bb.9:                                ;   in Loop: Header=BB62_8 Depth=1
	v_lshl_add_u64 v[52:53], v[6:7], 1, s[36:37]
	global_load_ushort v51, v[52:53], off
	s_waitcnt vmcnt(0)
	v_cvt_f32_f16_e32 v51, v51
	v_mul_f32_e32 v51, v31, v51
.LBB62_10:                              ;   in Loop: Header=BB62_8 Depth=1
	s_and_b64 vcc, exec, s[4:5]
	s_cbranch_vccnz .LBB62_12
; %bb.11:                               ;   in Loop: Header=BB62_8 Depth=1
	v_lshl_add_u64 v[6:7], v[6:7], 1, s[36:37]
	global_load_ushort v6, v[6:7], off offset:64
	s_waitcnt vmcnt(0)
	v_cvt_f32_f16_e32 v6, v6
	v_mul_f32_e32 v6, v31, v6
	s_branch .LBB62_13
.LBB62_12:                              ;   in Loop: Header=BB62_8 Depth=1
	v_mov_b32_e32 v6, 0
.LBB62_13:                              ;   in Loop: Header=BB62_8 Depth=1
	v_add_f32_e32 v72, v50, v51
	v_and_b32_e32 v50, 0x60, v45
	v_add_u32_e32 v73, 32, v50
	v_xor_b32_e32 v50, 4, v45
	v_cmp_lt_i32_e32 vcc, v50, v73
	v_add_f32_e32 v49, v49, v6
	v_add_f32_e32 v7, 0x40051340, v72
	v_cndmask_b32_e32 v74, v45, v50, vcc
	v_xor_b32_e32 v50, 16, v45
	v_cmp_lt_i32_e32 vcc, v50, v73
	v_add_f32_e32 v6, 0x40051340, v49
	v_max3_f32 v6, v48, v7, v6
	v_cndmask_b32_e32 v50, v45, v50, vcc
	v_lshlrev_b32_e32 v7, 2, v50
	ds_bpermute_b32 v7, v7, v6
	v_xor_b32_e32 v50, 8, v45
	s_mul_hi_i32 s29, s24, s2
	s_mul_i32 s28, s24, s2
	v_cmp_lt_i32_e32 vcc, v50, v73
	s_lshl_b64 s[28:29], s[28:29], 2
	s_waitcnt lgkmcnt(0)
	v_max_f32_e32 v7, v7, v7
	v_cndmask_b32_e32 v50, v45, v50, vcc
	s_add_u32 s28, s18, s28
	v_lshlrev_b32_e32 v50, 2, v50
	v_max_f32_e32 v75, v6, v7
	s_addc_u32 s29, s19, s29
	ds_bpermute_b32 v76, v50, v75
	v_lshl_add_u64 v[50:51], v[20:21], 2, s[28:29]
	v_lshl_add_u64 v[6:7], v[18:19], 2, s[28:29]
	;; [unrolled: 1-line block ×7, first 2 shown]
	s_waitcnt lgkmcnt(0)
	s_barrier
	v_lshl_add_u64 v[70:71], v[50:51], 0, v[2:3]
	global_load_dwordx4 v[50:53], v[6:7], off
	global_load_dwordx4 v[54:57], v[66:67], off
	;; [unrolled: 1-line block ×4, first 2 shown]
	v_max_f32_e32 v7, v76, v76
	v_lshlrev_b32_e32 v6, 2, v74
	v_max_f32_e32 v7, v75, v7
	ds_bpermute_b32 v6, v6, v7
	v_xor_b32_e32 v66, 2, v45
	v_cmp_lt_i32_e32 vcc, v66, v73
	s_waitcnt lgkmcnt(0)
	v_max_f32_e32 v6, v6, v6
	v_cndmask_b32_e32 v66, v45, v66, vcc
	v_lshlrev_b32_e32 v66, 2, v66
	v_max_f32_e32 v6, v7, v6
	ds_bpermute_b32 v7, v66, v6
	v_xor_b32_e32 v66, 1, v45
	v_cmp_lt_i32_e32 vcc, v66, v73
	s_waitcnt lgkmcnt(0)
	v_max_f32_e32 v7, v7, v7
	v_cndmask_b32_e32 v66, v45, v66, vcc
	v_lshlrev_b32_e32 v66, 2, v66
	v_max_f32_e32 v6, v6, v7
	ds_bpermute_b32 v7, v66, v6
	s_waitcnt lgkmcnt(0)
	v_max_f32_e32 v7, v7, v7
	v_max_f32_e32 v6, v6, v7
	v_sub_f32_e32 v7, v72, v6
	v_mul_f32_e32 v66, 0x3fb8aa3b, v7
	v_fma_f32 v67, v7, s12, -v66
	v_rndne_f32_e32 v68, v66
	v_fmac_f32_e32 v67, 0x32a5705f, v7
	v_sub_f32_e32 v66, v66, v68
	v_add_f32_e32 v66, v66, v67
	v_exp_f32_e32 v66, v66
	v_cvt_i32_f32_e32 v67, v68
	v_sub_f32_e32 v49, v49, v6
	v_sub_f32_e32 v48, v48, v6
	v_cmp_ngt_f32_e32 vcc, s13, v7
	v_ldexp_f32 v66, v66, v67
	v_mul_f32_e32 v67, 0x3fb8aa3b, v49
	v_fma_f32 v68, v49, s12, -v67
	v_rndne_f32_e32 v69, v67
	v_fmac_f32_e32 v68, 0x32a5705f, v49
	v_sub_f32_e32 v67, v67, v69
	v_add_f32_e32 v67, v67, v68
	v_exp_f32_e32 v67, v67
	v_cvt_i32_f32_e32 v68, v69
	v_cndmask_b32_e32 v66, 0, v66, vcc
	v_cmp_nlt_f32_e32 vcc, s15, v7
	v_ldexp_f32 v67, v67, v68
	v_mul_f32_e32 v68, 0x3fb8aa3b, v48
	v_fma_f32 v69, v48, s12, -v68
	v_rndne_f32_e32 v70, v68
	v_fmac_f32_e32 v69, 0x32a5705f, v48
	v_sub_f32_e32 v68, v68, v70
	v_add_f32_e32 v68, v68, v69
	v_exp_f32_e32 v68, v68
	v_cvt_i32_f32_e32 v69, v70
	v_cndmask_b32_e32 v7, v46, v66, vcc
	v_cmp_ngt_f32_e32 vcc, s13, v49
	v_cvt_f16_f32_e32 v66, v7
	s_nop 0
	v_cndmask_b32_e32 v67, 0, v67, vcc
	v_cmp_nlt_f32_e32 vcc, s15, v49
	s_nop 1
	v_cndmask_b32_e32 v49, v46, v67, vcc
	v_ldexp_f32 v67, v68, v69
	v_cmp_ngt_f32_e32 vcc, s13, v48
	v_add_f32_e32 v7, v7, v49
	v_cvt_f16_f32_e32 v49, v49
	v_cndmask_b32_e32 v67, 0, v67, vcc
	v_cmp_nlt_f32_e32 vcc, s15, v48
	ds_write_b16 v40, v66
	ds_write_b16 v40, v49 offset:64
	s_waitcnt vmcnt(3)
	ds_write_b128 v41, v[50:53]
	s_waitcnt vmcnt(2)
	ds_write_b128 v42, v[54:57]
	;; [unrolled: 2-line block ×4, first 2 shown]
	v_cndmask_b32_e32 v48, v46, v67, vcc
	v_cvt_f16_f32_e32 v67, v48
	v_fmac_f32_e32 v7, v47, v48
	s_waitcnt lgkmcnt(0)
	s_barrier
	v_mul_u32_u24_e32 v47, 0x10001, v67
	ds_read_b128 v[48:51], v39
	ds_read2_b64 v[52:55], v28 offset1:32
	ds_read_b128 v[56:59], v39 offset:16
	ds_read_b128 v[60:63], v39 offset:32
	;; [unrolled: 1-line block ×3, first 2 shown]
	s_waitcnt lgkmcnt(4)
	v_mul_u32_u24_sdwa v68, v48, s25 dst_sel:DWORD dst_unused:UNUSED_PAD src0_sel:WORD_0 src1_sel:DWORD
	s_waitcnt lgkmcnt(3)
	v_pk_mul_f16 v52, v52, v68
	s_nop 0
	v_pk_fma_f16 v29, v29, v47, v52
	v_pk_mul_f16 v52, v53, v68
	ds_read2_b64 v[68:71], v28 offset0:64 offset1:96
	v_pk_fma_f16 v17, v17, v47, v52
	v_mul_u32_u24_sdwa v47, v48, s25 dst_sel:DWORD dst_unused:UNUSED_PAD src0_sel:WORD_1 src1_sel:DWORD
	v_pk_fma_f16 v29, v54, v47, v29
	v_pk_fma_f16 v17, v55, v47, v17
	v_mul_u32_u24_sdwa v47, v49, s25 dst_sel:DWORD dst_unused:UNUSED_PAD src0_sel:WORD_0 src1_sel:DWORD
	ds_read2_b64 v[52:55], v28 offset0:128 offset1:160
	s_waitcnt lgkmcnt(1)
	v_pk_fma_f16 v29, v68, v47, v29
	v_pk_fma_f16 v17, v69, v47, v17
	v_mul_u32_u24_sdwa v47, v49, s25 dst_sel:DWORD dst_unused:UNUSED_PAD src0_sel:WORD_1 src1_sel:DWORD
	v_pk_fma_f16 v29, v70, v47, v29
	v_pk_fma_f16 v17, v71, v47, v17
	ds_read2_b64 v[68:71], v28 offset0:192 offset1:224
	v_mul_u32_u24_sdwa v47, v50, s25 dst_sel:DWORD dst_unused:UNUSED_PAD src0_sel:WORD_0 src1_sel:DWORD
	s_waitcnt lgkmcnt(1)
	v_pk_fma_f16 v29, v52, v47, v29
	v_pk_fma_f16 v17, v53, v47, v17
	v_mul_u32_u24_sdwa v47, v50, s25 dst_sel:DWORD dst_unused:UNUSED_PAD src0_sel:WORD_1 src1_sel:DWORD
	v_pk_fma_f16 v29, v54, v47, v29
	v_pk_fma_f16 v17, v55, v47, v17
	v_mul_u32_u24_sdwa v47, v51, s25 dst_sel:DWORD dst_unused:UNUSED_PAD src0_sel:WORD_0 src1_sel:DWORD
	s_waitcnt lgkmcnt(0)
	v_pk_fma_f16 v29, v68, v47, v29
	v_pk_fma_f16 v17, v69, v47, v17
	v_add_u32_e32 v47, 0x800, v28
	ds_read2_b64 v[52:55], v47 offset1:32
	v_mul_u32_u24_sdwa v48, v51, s25 dst_sel:DWORD dst_unused:UNUSED_PAD src0_sel:WORD_1 src1_sel:DWORD
	v_pk_fma_f16 v29, v70, v48, v29
	v_pk_fma_f16 v17, v71, v48, v17
	v_mul_u32_u24_sdwa v48, v56, s25 dst_sel:DWORD dst_unused:UNUSED_PAD src0_sel:WORD_0 src1_sel:DWORD
	s_waitcnt lgkmcnt(0)
	v_pk_fma_f16 v29, v52, v48, v29
	v_pk_fma_f16 v17, v53, v48, v17
	ds_read2_b64 v[48:51], v47 offset0:64 offset1:96
	v_mul_u32_u24_sdwa v52, v56, s25 dst_sel:DWORD dst_unused:UNUSED_PAD src0_sel:WORD_1 src1_sel:DWORD
	v_pk_fma_f16 v29, v54, v52, v29
	v_pk_fma_f16 v17, v55, v52, v17
	v_mul_u32_u24_sdwa v52, v57, s25 dst_sel:DWORD dst_unused:UNUSED_PAD src0_sel:WORD_0 src1_sel:DWORD
	s_waitcnt lgkmcnt(0)
	v_pk_fma_f16 v29, v48, v52, v29
	v_pk_fma_f16 v17, v49, v52, v17
	ds_read2_b64 v[52:55], v47 offset0:128 offset1:160
	v_mul_u32_u24_sdwa v48, v57, s25 dst_sel:DWORD dst_unused:UNUSED_PAD src0_sel:WORD_1 src1_sel:DWORD
	v_pk_fma_f16 v29, v50, v48, v29
	v_pk_fma_f16 v17, v51, v48, v17
	v_mul_u32_u24_sdwa v48, v58, s25 dst_sel:DWORD dst_unused:UNUSED_PAD src0_sel:WORD_0 src1_sel:DWORD
	s_waitcnt lgkmcnt(0)
	v_pk_fma_f16 v29, v52, v48, v29
	v_pk_fma_f16 v17, v53, v48, v17
	ds_read2_b64 v[48:51], v47 offset0:192 offset1:224
	v_mul_u32_u24_sdwa v47, v58, s25 dst_sel:DWORD dst_unused:UNUSED_PAD src0_sel:WORD_1 src1_sel:DWORD
	v_pk_fma_f16 v29, v54, v47, v29
	v_pk_fma_f16 v17, v55, v47, v17
	v_mul_u32_u24_sdwa v47, v59, s25 dst_sel:DWORD dst_unused:UNUSED_PAD src0_sel:WORD_0 src1_sel:DWORD
	s_waitcnt lgkmcnt(0)
	v_pk_fma_f16 v29, v48, v47, v29
	v_pk_fma_f16 v17, v49, v47, v17
	v_add_u32_e32 v47, 0x1000, v28
	ds_read2_b64 v[52:55], v47 offset1:32
	v_mul_u32_u24_sdwa v48, v59, s25 dst_sel:DWORD dst_unused:UNUSED_PAD src0_sel:WORD_1 src1_sel:DWORD
	v_pk_fma_f16 v29, v50, v48, v29
	v_pk_fma_f16 v17, v51, v48, v17
	v_mul_u32_u24_sdwa v48, v60, s25 dst_sel:DWORD dst_unused:UNUSED_PAD src0_sel:WORD_0 src1_sel:DWORD
	s_waitcnt lgkmcnt(0)
	v_pk_fma_f16 v29, v52, v48, v29
	v_pk_fma_f16 v17, v53, v48, v17
	ds_read2_b64 v[48:51], v47 offset0:64 offset1:96
	v_mul_u32_u24_sdwa v52, v60, s25 dst_sel:DWORD dst_unused:UNUSED_PAD src0_sel:WORD_1 src1_sel:DWORD
	v_pk_fma_f16 v29, v54, v52, v29
	v_pk_fma_f16 v17, v55, v52, v17
	v_mul_u32_u24_sdwa v52, v61, s25 dst_sel:DWORD dst_unused:UNUSED_PAD src0_sel:WORD_0 src1_sel:DWORD
	s_waitcnt lgkmcnt(0)
	v_pk_fma_f16 v29, v48, v52, v29
	v_pk_fma_f16 v17, v49, v52, v17
	ds_read2_b64 v[52:55], v47 offset0:128 offset1:160
	v_mul_u32_u24_sdwa v48, v61, s25 dst_sel:DWORD dst_unused:UNUSED_PAD src0_sel:WORD_1 src1_sel:DWORD
	v_pk_fma_f16 v29, v50, v48, v29
	v_pk_fma_f16 v17, v51, v48, v17
	v_mul_u32_u24_sdwa v48, v62, s25 dst_sel:DWORD dst_unused:UNUSED_PAD src0_sel:WORD_0 src1_sel:DWORD
	s_waitcnt lgkmcnt(0)
	v_pk_fma_f16 v29, v52, v48, v29
	v_pk_fma_f16 v17, v53, v48, v17
	ds_read2_b64 v[48:51], v47 offset0:192 offset1:224
	;; [unrolled: 33-line block ×3, first 2 shown]
	v_mul_u32_u24_sdwa v47, v66, s25 dst_sel:DWORD dst_unused:UNUSED_PAD src0_sel:WORD_1 src1_sel:DWORD
	v_pk_fma_f16 v29, v54, v47, v29
	v_pk_fma_f16 v17, v55, v47, v17
	v_add_u32_e32 v64, 0x2000, v28
	ds_read_b128 v[52:55], v39 offset:64
	ds_read2_b64 v[56:59], v64 offset1:32
	v_mul_u32_u24_sdwa v47, v67, s25 dst_sel:DWORD dst_unused:UNUSED_PAD src0_sel:WORD_0 src1_sel:DWORD
	ds_read2_b64 v[60:63], v64 offset0:64 offset1:96
	s_waitcnt lgkmcnt(3)
	v_pk_fma_f16 v29, v48, v47, v29
	v_pk_fma_f16 v17, v49, v47, v17
	v_mul_u32_u24_sdwa v47, v67, s25 dst_sel:DWORD dst_unused:UNUSED_PAD src0_sel:WORD_1 src1_sel:DWORD
	v_pk_fma_f16 v29, v50, v47, v29
	v_pk_fma_f16 v17, v51, v47, v17
	s_waitcnt lgkmcnt(2)
	v_mul_u32_u24_sdwa v47, v52, s25 dst_sel:DWORD dst_unused:UNUSED_PAD src0_sel:WORD_0 src1_sel:DWORD
	s_waitcnt lgkmcnt(1)
	v_pk_fma_f16 v29, v56, v47, v29
	v_pk_fma_f16 v17, v57, v47, v17
	v_mul_u32_u24_sdwa v47, v52, s25 dst_sel:DWORD dst_unused:UNUSED_PAD src0_sel:WORD_1 src1_sel:DWORD
	v_pk_fma_f16 v29, v58, v47, v29
	v_pk_fma_f16 v17, v59, v47, v17
	v_mul_u32_u24_sdwa v47, v53, s25 dst_sel:DWORD dst_unused:UNUSED_PAD src0_sel:WORD_0 src1_sel:DWORD
	ds_read2_b64 v[56:59], v64 offset0:128 offset1:160
	s_waitcnt lgkmcnt(1)
	v_pk_fma_f16 v29, v60, v47, v29
	v_pk_fma_f16 v17, v61, v47, v17
	v_mul_u32_u24_sdwa v47, v53, s25 dst_sel:DWORD dst_unused:UNUSED_PAD src0_sel:WORD_1 src1_sel:DWORD
	v_pk_fma_f16 v29, v62, v47, v29
	v_pk_fma_f16 v17, v63, v47, v17
	ds_read2_b64 v[60:63], v64 offset0:192 offset1:224
	v_mul_u32_u24_sdwa v47, v54, s25 dst_sel:DWORD dst_unused:UNUSED_PAD src0_sel:WORD_0 src1_sel:DWORD
	s_waitcnt lgkmcnt(1)
	v_pk_fma_f16 v29, v56, v47, v29
	v_pk_fma_f16 v17, v57, v47, v17
	v_mul_u32_u24_sdwa v47, v54, s25 dst_sel:DWORD dst_unused:UNUSED_PAD src0_sel:WORD_1 src1_sel:DWORD
	v_pk_fma_f16 v29, v58, v47, v29
	v_pk_fma_f16 v17, v59, v47, v17
	v_mul_u32_u24_sdwa v47, v55, s25 dst_sel:DWORD dst_unused:UNUSED_PAD src0_sel:WORD_0 src1_sel:DWORD
	ds_read_b128 v[48:51], v39 offset:80
	s_waitcnt lgkmcnt(1)
	v_pk_fma_f16 v29, v60, v47, v29
	v_pk_fma_f16 v17, v61, v47, v17
	v_add_u32_e32 v47, 0x2800, v28
	ds_read2_b64 v[56:59], v47 offset1:32
	v_mul_u32_u24_sdwa v52, v55, s25 dst_sel:DWORD dst_unused:UNUSED_PAD src0_sel:WORD_1 src1_sel:DWORD
	v_pk_fma_f16 v29, v62, v52, v29
	v_pk_fma_f16 v17, v63, v52, v17
	s_waitcnt lgkmcnt(1)
	v_mul_u32_u24_sdwa v52, v48, s25 dst_sel:DWORD dst_unused:UNUSED_PAD src0_sel:WORD_0 src1_sel:DWORD
	s_waitcnt lgkmcnt(0)
	v_pk_fma_f16 v29, v56, v52, v29
	v_pk_fma_f16 v17, v57, v52, v17
	ds_read2_b64 v[52:55], v47 offset0:64 offset1:96
	v_mul_u32_u24_sdwa v48, v48, s25 dst_sel:DWORD dst_unused:UNUSED_PAD src0_sel:WORD_1 src1_sel:DWORD
	v_pk_fma_f16 v29, v58, v48, v29
	v_pk_fma_f16 v17, v59, v48, v17
	v_mul_u32_u24_sdwa v48, v49, s25 dst_sel:DWORD dst_unused:UNUSED_PAD src0_sel:WORD_0 src1_sel:DWORD
	ds_read2_b64 v[56:59], v47 offset0:128 offset1:160
	s_waitcnt lgkmcnt(1)
	v_pk_fma_f16 v29, v52, v48, v29
	v_pk_fma_f16 v17, v53, v48, v17
	v_mul_u32_u24_sdwa v48, v49, s25 dst_sel:DWORD dst_unused:UNUSED_PAD src0_sel:WORD_1 src1_sel:DWORD
	v_pk_fma_f16 v29, v54, v48, v29
	v_pk_fma_f16 v17, v55, v48, v17
	ds_read2_b64 v[52:55], v47 offset0:192 offset1:224
	v_mul_u32_u24_sdwa v48, v50, s25 dst_sel:DWORD dst_unused:UNUSED_PAD src0_sel:WORD_0 src1_sel:DWORD
	s_waitcnt lgkmcnt(1)
	v_pk_fma_f16 v29, v56, v48, v29
	v_pk_fma_f16 v17, v57, v48, v17
	v_mul_u32_u24_sdwa v47, v50, s25 dst_sel:DWORD dst_unused:UNUSED_PAD src0_sel:WORD_1 src1_sel:DWORD
	v_pk_fma_f16 v29, v58, v47, v29
	v_pk_fma_f16 v17, v59, v47, v17
	v_mul_u32_u24_sdwa v47, v51, s25 dst_sel:DWORD dst_unused:UNUSED_PAD src0_sel:WORD_0 src1_sel:DWORD
	s_waitcnt lgkmcnt(0)
	v_pk_fma_f16 v29, v52, v47, v29
	v_pk_fma_f16 v17, v53, v47, v17
	v_mul_u32_u24_sdwa v47, v51, s25 dst_sel:DWORD dst_unused:UNUSED_PAD src0_sel:WORD_1 src1_sel:DWORD
	v_add_u32_e32 v64, 0x3000, v28
	ds_read_b128 v[48:51], v39 offset:96
	ds_read2_b64 v[56:59], v64 offset1:32
	ds_read2_b64 v[60:63], v64 offset0:64 offset1:96
	v_pk_fma_f16 v29, v54, v47, v29
	v_pk_fma_f16 v17, v55, v47, v17
	s_waitcnt lgkmcnt(2)
	v_mul_u32_u24_sdwa v47, v48, s25 dst_sel:DWORD dst_unused:UNUSED_PAD src0_sel:WORD_0 src1_sel:DWORD
	s_waitcnt lgkmcnt(1)
	v_pk_fma_f16 v29, v56, v47, v29
	v_pk_fma_f16 v17, v57, v47, v17
	v_mul_u32_u24_sdwa v47, v48, s25 dst_sel:DWORD dst_unused:UNUSED_PAD src0_sel:WORD_1 src1_sel:DWORD
	v_pk_fma_f16 v29, v58, v47, v29
	v_pk_fma_f16 v17, v59, v47, v17
	v_mul_u32_u24_sdwa v47, v49, s25 dst_sel:DWORD dst_unused:UNUSED_PAD src0_sel:WORD_0 src1_sel:DWORD
	ds_read2_b64 v[56:59], v64 offset0:128 offset1:160
	s_waitcnt lgkmcnt(1)
	v_pk_fma_f16 v29, v60, v47, v29
	v_pk_fma_f16 v17, v61, v47, v17
	v_mul_u32_u24_sdwa v47, v49, s25 dst_sel:DWORD dst_unused:UNUSED_PAD src0_sel:WORD_1 src1_sel:DWORD
	v_pk_fma_f16 v29, v62, v47, v29
	v_pk_fma_f16 v17, v63, v47, v17
	ds_read2_b64 v[60:63], v64 offset0:192 offset1:224
	v_mul_u32_u24_sdwa v47, v50, s25 dst_sel:DWORD dst_unused:UNUSED_PAD src0_sel:WORD_0 src1_sel:DWORD
	s_waitcnt lgkmcnt(1)
	v_pk_fma_f16 v29, v56, v47, v29
	v_pk_fma_f16 v17, v57, v47, v17
	v_mul_u32_u24_sdwa v47, v50, s25 dst_sel:DWORD dst_unused:UNUSED_PAD src0_sel:WORD_1 src1_sel:DWORD
	v_pk_fma_f16 v29, v58, v47, v29
	v_pk_fma_f16 v17, v59, v47, v17
	v_mul_u32_u24_sdwa v47, v51, s25 dst_sel:DWORD dst_unused:UNUSED_PAD src0_sel:WORD_0 src1_sel:DWORD
	ds_read_b128 v[52:55], v39 offset:112
	s_waitcnt lgkmcnt(1)
	v_pk_fma_f16 v29, v60, v47, v29
	v_pk_fma_f16 v17, v61, v47, v17
	v_add_u32_e32 v47, 0x3800, v28
	ds_read2_b64 v[56:59], v47 offset1:32
	v_mul_u32_u24_sdwa v48, v51, s25 dst_sel:DWORD dst_unused:UNUSED_PAD src0_sel:WORD_1 src1_sel:DWORD
	v_pk_fma_f16 v29, v62, v48, v29
	v_pk_fma_f16 v17, v63, v48, v17
	s_waitcnt lgkmcnt(1)
	v_mul_u32_u24_sdwa v48, v52, s25 dst_sel:DWORD dst_unused:UNUSED_PAD src0_sel:WORD_0 src1_sel:DWORD
	s_waitcnt lgkmcnt(0)
	v_pk_fma_f16 v29, v56, v48, v29
	v_pk_fma_f16 v17, v57, v48, v17
	ds_read2_b64 v[48:51], v47 offset0:64 offset1:96
	v_mul_u32_u24_sdwa v52, v52, s25 dst_sel:DWORD dst_unused:UNUSED_PAD src0_sel:WORD_1 src1_sel:DWORD
	v_pk_fma_f16 v29, v58, v52, v29
	v_pk_fma_f16 v17, v59, v52, v17
	ds_read2_b64 v[56:59], v47 offset0:128 offset1:160
	v_mul_u32_u24_sdwa v52, v53, s25 dst_sel:DWORD dst_unused:UNUSED_PAD src0_sel:WORD_0 src1_sel:DWORD
	s_waitcnt lgkmcnt(1)
	v_pk_fma_f16 v29, v48, v52, v29
	v_pk_fma_f16 v17, v49, v52, v17
	v_mul_u32_u24_sdwa v48, v53, s25 dst_sel:DWORD dst_unused:UNUSED_PAD src0_sel:WORD_1 src1_sel:DWORD
	v_pk_fma_f16 v29, v50, v48, v29
	v_pk_fma_f16 v17, v51, v48, v17
	v_mul_u32_u24_sdwa v48, v54, s25 dst_sel:DWORD dst_unused:UNUSED_PAD src0_sel:WORD_0 src1_sel:DWORD
	s_waitcnt lgkmcnt(0)
	v_pk_fma_f16 v29, v56, v48, v29
	v_pk_fma_f16 v17, v57, v48, v17
	v_mul_u32_u24_sdwa v48, v54, s25 dst_sel:DWORD dst_unused:UNUSED_PAD src0_sel:WORD_1 src1_sel:DWORD
	v_pk_fma_f16 v29, v58, v48, v29
	v_pk_fma_f16 v17, v59, v48, v17
	ds_read2_b64 v[48:51], v47 offset0:192 offset1:224
	s_waitcnt lgkmcnt(0)
	s_barrier
	s_load_dword s28, s[6:7], 0x4
	v_mul_u32_u24_sdwa v47, v55, s25 dst_sel:DWORD dst_unused:UNUSED_PAD src0_sel:WORD_0 src1_sel:DWORD
	v_pk_fma_f16 v29, v48, v47, v29
	v_pk_fma_f16 v17, v49, v47, v17
	v_mul_u32_u24_sdwa v47, v55, s25 dst_sel:DWORD dst_unused:UNUSED_PAD src0_sel:WORD_1 src1_sel:DWORD
	s_waitcnt lgkmcnt(0)
	s_lshl_b32 s28, s28, 6
	s_add_i32 s24, s28, s24
	v_pk_fma_f16 v29, v50, v47, v29
	s_cmp_lt_i32 s24, s11
	v_pk_fma_f16 v17, v51, v47, v17
	s_cbranch_scc0 .LBB62_16
; %bb.14:                               ;   in Loop: Header=BB62_8 Depth=1
	v_mov_b32_e32 v48, v6
	v_mov_b32_e32 v47, v7
	s_branch .LBB62_8
.LBB62_15:
	v_mov_b32_e32 v17, 0
	v_mov_b32_e32 v6, 0xfeffffff
	;; [unrolled: 1-line block ×3, first 2 shown]
.LBB62_16:
	s_cmp_gt_i32 s38, s24
	s_cbranch_scc1 .LBB62_18
; %bb.17:
	v_mbcnt_hi_u32_b32 v14, -1, v33
	v_and_b32_e32 v2, 0x60, v14
	v_add_u32_e32 v15, 32, v2
	v_xor_b32_e32 v18, 16, v14
	v_xor_b32_e32 v16, 8, v14
	;; [unrolled: 1-line block ×5, first 2 shown]
	s_cbranch_execz .LBB62_19
	s_branch .LBB62_29
.LBB62_18:
                                        ; implicit-def: $vgpr14
                                        ; implicit-def: $vgpr15
                                        ; implicit-def: $vgpr18
                                        ; implicit-def: $vgpr16
                                        ; implicit-def: $vgpr19
                                        ; implicit-def: $vgpr20
                                        ; implicit-def: $vgpr21
.LBB62_19:
	s_mul_hi_i32 s5, s24, s8
	s_mul_i32 s4, s24, s8
	s_sub_i32 s25, s38, s24
	s_lshl_b64 s[4:5], s[4:5], 2
	v_lshl_add_u32 v10, v30, 1, v1
	s_mov_b64 s[6:7], src_private_base
	s_add_u32 s28, s9, s4
	v_mul_lo_u32 v12, s8, v10
	s_mov_b32 s4, 0
	s_addc_u32 s29, s10, s5
	v_ashrrev_i32_e32 v13, 31, v12
	s_mov_b32 s6, s4
	v_mov_b32_e32 v9, 0
	v_lshlrev_b32_e32 v8, 2, v0
	s_mov_b32 s5, s4
	v_mov_b32_e32 v36, s6
	v_lshl_add_u64 v[0:1], v[12:13], 2, s[28:29]
	v_mov_b32_e32 v35, s5
	v_mov_b32_e32 v34, s4
	v_lshl_add_u64 v[0:1], v[0:1], 0, v[8:9]
	v_mov_b32_e32 v16, s7
	v_cmp_gt_i32_e64 s[12:13], s25, v10
	v_mov_b32_e32 v20, 0
	scratch_store_dword off, v9, off
	scratch_store_dwordx3 off, v[34:36], off offset:4
	v_cndmask_b32_e64 v1, v16, v1, s[12:13]
	v_cndmask_b32_e64 v0, v20, v0, s[12:13]
	flat_load_dwordx4 v[0:3], v[0:1]
	s_lshl_b32 s8, s8, 4
	v_add_u32_e32 v14, s8, v12
	v_ashrrev_i32_e32 v15, 31, v14
	s_movk_i32 s4, 0x110
	v_add_u32_e32 v11, 16, v10
	v_lshl_add_u64 v[12:13], v[14:15], 2, s[28:29]
	v_mad_u32_u24 v22, v10, s4, v8
	v_lshl_add_u64 v[12:13], v[12:13], 0, v[8:9]
	v_cmp_gt_i32_e64 s[6:7], s25, v11
	scratch_store_dword off, v9, off
	scratch_store_dwordx3 off, v[34:36], off offset:4
	v_cndmask_b32_e64 v13, v16, v13, s[6:7]
	v_cndmask_b32_e64 v12, v20, v12, s[6:7]
	v_add_u32_e32 v14, s8, v14
	v_ashrrev_i32_e32 v15, 31, v14
	v_lshl_add_u64 v[18:19], v[14:15], 2, s[28:29]
	v_lshl_add_u64 v[18:19], v[18:19], 0, v[8:9]
	v_add_u32_e32 v14, s8, v14
	v_ashrrev_i32_e32 v15, 31, v14
	v_lshl_add_u64 v[14:15], v[14:15], 2, s[28:29]
	v_lshl_add_u64 v[14:15], v[14:15], 0, v[8:9]
	s_cmp_lg_u64 s[36:37], 0
	s_cselect_b64 s[10:11], -1, 0
	v_cmp_gt_i32_e32 vcc, s25, v4
	s_waitcnt vmcnt(0) lgkmcnt(0)
	ds_write_b128 v22, v[0:3]
	flat_load_dwordx4 v[0:3], v[12:13]
	v_add_u32_e32 v12, 32, v10
	v_cmp_gt_i32_e64 s[4:5], s25, v12
	scratch_store_dword off, v9, off
	scratch_store_dwordx3 off, v[34:36], off offset:4
	v_cndmask_b32_e64 v19, v16, v19, s[4:5]
	v_cndmask_b32_e64 v18, v20, v18, s[4:5]
	v_add_u32_e32 v13, 48, v10
	v_cmp_gt_i32_e64 s[8:9], s25, v13
	s_waitcnt vmcnt(0) lgkmcnt(0)
	ds_write_b128 v22, v[0:3] offset:4352
	flat_load_dwordx4 v[0:3], v[18:19]
	v_cndmask_b32_e64 v15, v16, v15, s[8:9]
	v_cndmask_b32_e64 v14, v20, v14, s[8:9]
	scratch_store_dword off, v9, off
	scratch_store_dwordx3 off, v[34:36], off offset:4
	s_waitcnt vmcnt(0) lgkmcnt(0)
	ds_write_b128 v22, v[0:3] offset:8704
	flat_load_dwordx4 v[18:21], v[14:15]
	v_mul_u32_u24_e32 v3, 0x110, v4
	v_mov_b32_e32 v0, v9
	v_mov_b32_e32 v1, v9
	v_mul_lo_u32 v2, v5, s14
	v_cndmask_b32_e64 v5, 0, 1, s[10:11]
	v_add_u32_e32 v2, s24, v2
	v_cmp_ne_u32_e64 s[10:11], 1, v5
	s_waitcnt vmcnt(0) lgkmcnt(0)
	ds_write_b128 v22, v[18:21] offset:13056
	s_waitcnt lgkmcnt(0)
	s_barrier
	ds_read_b128 v[18:21], v3
	ds_read_b128 v[22:25], v32
	ds_read_b128 v[34:37], v3 offset:8704
	s_waitcnt lgkmcnt(1)
	;;#ASMSTART
	v_dot2_f32_f16 v0, v18, v22, v0
	;;#ASMEND
	s_nop 0
	;;#ASMSTART
	v_dot2_f32_f16 v0, v19, v23, v0
	;;#ASMEND
	s_nop 0
	;;#ASMSTART
	v_dot2_f32_f16 v0, v20, v24, v0
	;;#ASMEND
	s_nop 0
	;;#ASMSTART
	v_dot2_f32_f16 v0, v21, v25, v0
	;;#ASMEND
	s_waitcnt lgkmcnt(0)
	;;#ASMSTART
	v_dot2_f32_f16 v1, v34, v22, v1
	;;#ASMEND
	s_nop 0
	;;#ASMSTART
	v_dot2_f32_f16 v1, v35, v23, v1
	;;#ASMEND
	s_nop 0
	;;#ASMSTART
	v_dot2_f32_f16 v1, v36, v24, v1
	;;#ASMEND
	s_nop 0
	;;#ASMSTART
	v_dot2_f32_f16 v1, v37, v25, v1
	;;#ASMEND
	ds_read_b128 v[18:21], v3 offset:16
	ds_read_b128 v[22:25], v32 offset:16
	ds_read_b128 v[34:37], v3 offset:8720
	s_waitcnt lgkmcnt(1)
	;;#ASMSTART
	v_dot2_f32_f16 v0, v18, v22, v0
	;;#ASMEND
	s_nop 0
	;;#ASMSTART
	v_dot2_f32_f16 v0, v19, v23, v0
	;;#ASMEND
	s_nop 0
	;;#ASMSTART
	v_dot2_f32_f16 v0, v20, v24, v0
	;;#ASMEND
	s_nop 0
	;;#ASMSTART
	v_dot2_f32_f16 v0, v21, v25, v0
	;;#ASMEND
	s_waitcnt lgkmcnt(0)
	;;#ASMSTART
	v_dot2_f32_f16 v1, v34, v22, v1
	;;#ASMEND
	s_nop 0
	;;#ASMSTART
	v_dot2_f32_f16 v1, v35, v23, v1
	;;#ASMEND
	s_nop 0
	;;#ASMSTART
	v_dot2_f32_f16 v1, v36, v24, v1
	;;#ASMEND
	s_nop 0
	;;#ASMSTART
	v_dot2_f32_f16 v1, v37, v25, v1
	;;#ASMEND
	ds_read_b128 v[18:21], v3 offset:32
	ds_read_b128 v[22:25], v32 offset:32
	;; [unrolled: 35-line block ×15, first 2 shown]
	ds_read_b128 v[34:37], v3 offset:8944
	s_waitcnt lgkmcnt(1)
	;;#ASMSTART
	v_dot2_f32_f16 v0, v18, v22, v0
	;;#ASMEND
	s_nop 0
	;;#ASMSTART
	v_dot2_f32_f16 v0, v19, v23, v0
	;;#ASMEND
	v_mov_b32_e32 v19, v6
	;;#ASMSTART
	v_dot2_f32_f16 v0, v20, v24, v0
	;;#ASMEND
	s_nop 0
	;;#ASMSTART
	v_dot2_f32_f16 v0, v21, v25, v0
	;;#ASMEND
	s_waitcnt lgkmcnt(0)
	;;#ASMSTART
	v_dot2_f32_f16 v1, v34, v22, v1
	;;#ASMEND
	s_nop 0
	;;#ASMSTART
	v_dot2_f32_f16 v1, v35, v23, v1
	;;#ASMEND
	s_nop 0
	;; [unrolled: 4-line block ×3, first 2 shown]
	;;#ASMSTART
	v_dot2_f32_f16 v1, v37, v25, v1
	;;#ASMEND
	s_and_saveexec_b64 s[14:15], vcc
	s_cbranch_execz .LBB62_23
; %bb.20:
	s_and_b64 vcc, exec, s[10:11]
	s_cbranch_vccnz .LBB62_22
; %bb.21:
	v_add_u32_e32 v14, v2, v4
	v_ashrrev_i32_e32 v15, 31, v14
	v_lshl_add_u64 v[14:15], v[14:15], 1, s[36:37]
	global_load_ushort v3, v[14:15], off
	s_waitcnt vmcnt(0)
	v_cvt_f32_f16_e32 v3, v3
	v_mul_f32_e32 v9, v31, v3
.LBB62_22:
	v_add_f32_e32 v0, v0, v9
	v_add_f32_e32 v3, 0x40051340, v0
	v_max_f32_e32 v5, v6, v6
	v_max_f32_e32 v19, v5, v3
.LBB62_23:
	s_or_b64 exec, exec, s[14:15]
	v_add_u32_e32 v9, 32, v4
	v_cmp_gt_i32_e32 vcc, s25, v9
	s_and_saveexec_b64 s[14:15], vcc
	s_cbranch_execz .LBB62_28
; %bb.24:
	s_and_b64 vcc, exec, s[10:11]
	s_cbranch_vccnz .LBB62_26
; %bb.25:
	v_ashrrev_i32_e32 v3, 31, v2
	v_mov_b32_e32 v5, 0
	v_lshl_add_u64 v[2:3], v[2:3], 0, v[4:5]
	v_lshl_add_u64 v[2:3], v[2:3], 1, s[36:37]
	global_load_ushort v2, v[2:3], off offset:64
	s_waitcnt vmcnt(0)
	v_cvt_f32_f16_e32 v2, v2
	v_mul_f32_e32 v2, v31, v2
	s_branch .LBB62_27
.LBB62_26:
	v_mov_b32_e32 v2, 0
.LBB62_27:
	v_add_f32_e32 v1, v1, v2
	v_add_f32_e32 v2, 0x40051340, v1
	v_max_f32_e32 v3, v19, v19
	v_max_f32_e32 v19, v3, v2
.LBB62_28:
	s_or_b64 exec, exec, s[14:15]
	v_mbcnt_hi_u32_b32 v14, -1, v33
	v_and_b32_e32 v2, 0x60, v14
	v_add_u32_e32 v15, 32, v2
	v_xor_b32_e32 v18, 16, v14
	v_cmp_lt_i32_e32 vcc, v18, v15
	v_xor_b32_e32 v16, 8, v14
	v_max_f32_e32 v5, v19, v19
	v_cndmask_b32_e32 v2, v14, v18, vcc
	v_lshlrev_b32_e32 v2, 2, v2
	ds_bpermute_b32 v2, v2, v19
	v_cmp_lt_i32_e32 vcc, v16, v15
	v_xor_b32_e32 v19, 4, v14
	v_xor_b32_e32 v20, 2, v14
	v_cndmask_b32_e32 v3, v14, v16, vcc
	s_waitcnt lgkmcnt(0)
	v_max_f32_e32 v2, v2, v2
	v_lshlrev_b32_e32 v3, 2, v3
	v_max_f32_e32 v2, v5, v2
	ds_bpermute_b32 v3, v3, v2
	v_cmp_lt_i32_e32 vcc, v19, v15
	v_xor_b32_e32 v21, 1, v14
	s_mov_b32 s15, 0x3fb8aa3b
	v_cndmask_b32_e32 v5, v14, v19, vcc
	s_waitcnt lgkmcnt(0)
	v_max_f32_e32 v3, v3, v3
	v_lshlrev_b32_e32 v5, 2, v5
	v_max_f32_e32 v2, v2, v3
	ds_bpermute_b32 v3, v5, v2
	v_cmp_lt_i32_e32 vcc, v20, v15
	s_mov_b64 s[10:11], src_private_base
	s_mov_b32 s10, 0xc2ce8ed0
	v_cndmask_b32_e32 v5, v14, v20, vcc
	s_waitcnt lgkmcnt(0)
	v_max_f32_e32 v3, v3, v3
	v_lshlrev_b32_e32 v5, 2, v5
	v_max_f32_e32 v2, v2, v3
	ds_bpermute_b32 v3, v5, v2
	v_cmp_lt_i32_e32 vcc, v21, v15
	s_mov_b32 s14, 0x42b17218
	s_mov_b32 s28, 0
	v_cndmask_b32_e32 v5, v14, v21, vcc
	s_waitcnt lgkmcnt(0)
	v_max_f32_e32 v3, v3, v3
	v_lshlrev_b32_e32 v5, 2, v5
	v_max_f32_e32 v2, v2, v3
	ds_bpermute_b32 v3, v5, v2
	s_mov_b32 s30, s28
	s_waitcnt lgkmcnt(0)
	s_barrier
	v_max_f32_e32 v3, v3, v3
	v_max_f32_e32 v31, v2, v3
	v_sub_f32_e32 v0, v0, v31
	v_mul_f32_e32 v2, 0x3fb8aa3b, v0
	v_fma_f32 v3, v0, s15, -v2
	v_rndne_f32_e32 v5, v2
	v_fmac_f32_e32 v3, 0x32a5705f, v0
	v_sub_f32_e32 v2, v2, v5
	v_add_f32_e32 v2, v2, v3
	v_exp_f32_e32 v2, v2
	v_cvt_i32_f32_e32 v3, v5
	v_cmp_ngt_f32_e32 vcc, s10, v0
	v_lshlrev_b32_e32 v5, 7, v30
	v_mov_b32_e32 v30, 0x7f800000
	v_ldexp_f32 v2, v2, v3
	v_cndmask_b32_e32 v2, 0, v2, vcc
	v_cmp_nlt_f32_e32 vcc, s14, v0
	v_sub_f32_e32 v1, v1, v31
	s_mov_b32 s29, s28
	v_cndmask_b32_e32 v0, v30, v2, vcc
	v_mul_f32_e32 v2, 0x3fb8aa3b, v1
	v_fma_f32 v3, v1, s15, -v2
	v_rndne_f32_e32 v22, v2
	v_fmac_f32_e32 v3, 0x32a5705f, v1
	v_sub_f32_e32 v2, v2, v22
	v_add_f32_e32 v2, v2, v3
	v_exp_f32_e32 v2, v2
	v_cvt_i32_f32_e32 v3, v22
	v_cmp_gt_u32_e32 vcc, s25, v4
	v_mul_lo_u32 v22, s2, v10
	v_ashrrev_i32_e32 v23, 31, v22
	v_cndmask_b32_e32 v32, 0, v0, vcc
	v_ldexp_f32 v2, v2, v3
	v_cmp_ngt_f32_e32 vcc, s10, v1
	v_cvt_f16_f32_e32 v0, v32
	v_mov_b32_e32 v38, s30
	v_cndmask_b32_e32 v2, 0, v2, vcc
	v_cmp_nlt_f32_e32 vcc, s14, v1
	v_mov_b32_e32 v37, s29
	v_mov_b32_e32 v36, s28
	v_cndmask_b32_e32 v1, v30, v2, vcc
	v_cmp_gt_u32_e32 vcc, s25, v9
	v_lshlrev_b32_e32 v2, 1, v4
	s_movk_i32 s25, 0x4c00
	v_cndmask_b32_e32 v33, 0, v1, vcc
	v_add3_u32 v2, v5, s25, v2
	s_mul_hi_i32 s25, s24, s2
	s_mul_i32 s24, s24, s2
	v_cvt_f16_f32_e32 v1, v33
	s_lshl_b64 s[24:25], s[24:25], 2
	s_add_u32 s18, s18, s24
	s_addc_u32 s19, s19, s25
	ds_write_b16 v2, v0
	ds_write_b16 v2, v1 offset:64
	v_lshl_add_u64 v[0:1], v[22:23], 2, s[18:19]
	v_mov_b32_e32 v9, 0
	v_lshl_add_u64 v[0:1], v[0:1], 0, v[8:9]
	v_mov_b32_e32 v34, s11
	v_mov_b32_e32 v35, 0
	scratch_store_dword off, v9, off
	scratch_store_dwordx3 off, v[36:38], off offset:4
	v_cndmask_b32_e64 v1, v34, v1, s[12:13]
	v_cndmask_b32_e64 v0, v35, v0, s[12:13]
	flat_load_dwordx4 v[0:3], v[0:1]
	s_lshl_b32 s2, s2, 4
	v_add_u32_e32 v22, s2, v22
	v_ashrrev_i32_e32 v23, 31, v22
	v_lshl_add_u64 v[24:25], v[22:23], 2, s[18:19]
	v_lshl_or_b32 v10, v10, 8, v8
	v_lshl_add_u64 v[24:25], v[24:25], 0, v[8:9]
	v_cndmask_b32_e64 v25, v34, v25, s[6:7]
	v_cndmask_b32_e64 v24, v35, v24, s[6:7]
	scratch_store_dword off, v9, off
	scratch_store_dwordx3 off, v[36:38], off offset:4
	v_lshl_or_b32 v12, v12, 8, v8
	v_sub_f32_e32 v6, v6, v31
	v_cmp_ngt_f32_e32 vcc, s10, v6
	v_add_f32_e32 v70, v32, v33
	v_add_u32_e32 v62, 0x1800, v28
	v_add_u32_e32 v66, 0x2000, v28
	;; [unrolled: 1-line block ×5, first 2 shown]
	s_waitcnt vmcnt(0) lgkmcnt(0)
	ds_write_b128 v10, v[0:3]
	flat_load_dwordx4 v[0:3], v[24:25]
	v_add_u32_e32 v10, s2, v22
	v_lshl_or_b32 v24, v11, 8, v8
	v_ashrrev_i32_e32 v11, 31, v10
	v_lshl_add_u64 v[22:23], v[10:11], 2, s[18:19]
	v_lshl_add_u64 v[22:23], v[22:23], 0, v[8:9]
	v_cndmask_b32_e64 v23, v34, v23, s[4:5]
	v_cndmask_b32_e64 v22, v35, v22, s[4:5]
	scratch_store_dword off, v9, off
	scratch_store_dwordx3 off, v[36:38], off offset:4
	v_add_u32_e32 v10, s2, v10
	v_ashrrev_i32_e32 v11, 31, v10
	v_lshl_add_u64 v[10:11], v[10:11], 2, s[18:19]
	v_lshl_add_u64 v[10:11], v[10:11], 0, v[8:9]
	v_cndmask_b32_e64 v11, v34, v11, s[8:9]
	v_cndmask_b32_e64 v10, v35, v10, s[8:9]
	s_mov_b32 s2, 0x10001
	v_lshl_or_b32 v8, v13, 8, v8
	v_add_u32_e32 v13, 0x1000, v28
	s_waitcnt vmcnt(0) lgkmcnt(0)
	ds_write_b128 v24, v[0:3]
	flat_load_dwordx4 v[0:3], v[22:23]
	s_nop 0
	scratch_store_dword off, v9, off
	scratch_store_dwordx3 off, v[36:38], off offset:4
	v_mul_f32_e32 v9, 0x3fb8aa3b, v6
	s_waitcnt vmcnt(0) lgkmcnt(0)
	ds_write_b128 v12, v[0:3]
	flat_load_dwordx4 v[0:3], v[10:11]
	v_fma_f32 v10, v6, s15, -v9
	v_rndne_f32_e32 v11, v9
	v_fmac_f32_e32 v10, 0x32a5705f, v6
	v_sub_f32_e32 v9, v9, v11
	v_add_f32_e32 v9, v9, v10
	v_cvt_i32_f32_e32 v11, v11
	v_exp_f32_e32 v9, v9
	v_add_u32_e32 v12, 0x800, v28
	v_ldexp_f32 v9, v9, v11
	v_cndmask_b32_e32 v9, 0, v9, vcc
	v_cmp_nlt_f32_e32 vcc, s14, v6
	v_mov_b32_e32 v6, v31
	s_waitcnt vmcnt(0) lgkmcnt(0)
	ds_write_b128 v8, v[0:3]
	v_cndmask_b32_e32 v9, v30, v9, vcc
	v_cvt_f16_f32_e32 v10, v9
	v_fmac_f32_e32 v70, v7, v9
	s_waitcnt lgkmcnt(0)
	s_barrier
	v_mul_u32_u24_e32 v7, 0x10001, v10
	ds_read2_b64 v[0:3], v28 offset1:32
	ds_read_b128 v[8:11], v5 offset:19456
	ds_read_b128 v[22:25], v5 offset:19472
	;; [unrolled: 1-line block ×4, first 2 shown]
	ds_read2_b64 v[38:41], v28 offset0:64 offset1:96
	ds_read2_b64 v[42:45], v28 offset0:128 offset1:160
	;; [unrolled: 1-line block ×3, first 2 shown]
	ds_read2_b64 v[50:53], v12 offset1:32
	ds_read2_b64 v[54:57], v12 offset0:64 offset1:96
	s_waitcnt lgkmcnt(8)
	v_mul_u32_u24_sdwa v28, v8, s2 dst_sel:DWORD dst_unused:UNUSED_PAD src0_sel:WORD_0 src1_sel:DWORD
	v_pk_mul_f16 v0, v0, v28
	v_pk_mul_f16 v1, v1, v28
	v_pk_fma_f16 v0, v29, v7, v0
	v_pk_fma_f16 v1, v17, v7, v1
	v_mul_u32_u24_sdwa v7, v8, s2 dst_sel:DWORD dst_unused:UNUSED_PAD src0_sel:WORD_1 src1_sel:DWORD
	ds_read2_b64 v[58:61], v12 offset0:128 offset1:160
	v_pk_fma_f16 v8, v2, v7, v0
	v_pk_fma_f16 v7, v3, v7, v1
	ds_read2_b64 v[0:3], v12 offset0:192 offset1:224
	v_mul_u32_u24_sdwa v12, v9, s2 dst_sel:DWORD dst_unused:UNUSED_PAD src0_sel:WORD_0 src1_sel:DWORD
	v_mul_u32_u24_sdwa v9, v9, s2 dst_sel:DWORD dst_unused:UNUSED_PAD src0_sel:WORD_1 src1_sel:DWORD
	s_waitcnt lgkmcnt(6)
	v_pk_fma_f16 v8, v38, v12, v8
	v_pk_fma_f16 v7, v39, v12, v7
	;; [unrolled: 1-line block ×4, first 2 shown]
	v_mul_u32_u24_sdwa v9, v10, s2 dst_sel:DWORD dst_unused:UNUSED_PAD src0_sel:WORD_0 src1_sel:DWORD
	v_mul_u32_u24_sdwa v12, v10, s2 dst_sel:DWORD dst_unused:UNUSED_PAD src0_sel:WORD_1 src1_sel:DWORD
	s_waitcnt lgkmcnt(5)
	v_pk_fma_f16 v29, v42, v9, v8
	v_pk_fma_f16 v7, v43, v9, v7
	v_mul_u32_u24_sdwa v17, v11, s2 dst_sel:DWORD dst_unused:UNUSED_PAD src0_sel:WORD_0 src1_sel:DWORD
	v_pk_fma_f16 v29, v44, v12, v29
	v_pk_fma_f16 v7, v45, v12, v7
	v_mul_u32_u24_sdwa v28, v11, s2 dst_sel:DWORD dst_unused:UNUSED_PAD src0_sel:WORD_1 src1_sel:DWORD
	s_waitcnt lgkmcnt(4)
	v_pk_fma_f16 v12, v46, v17, v29
	v_pk_fma_f16 v7, v47, v17, v7
	ds_read2_b64 v[38:41], v13 offset1:32
	ds_read2_b64 v[8:11], v13 offset0:64 offset1:96
	ds_read2_b64 v[42:45], v13 offset0:128 offset1:160
	v_pk_fma_f16 v12, v48, v28, v12
	v_pk_fma_f16 v7, v49, v28, v7
	ds_read2_b64 v[46:49], v13 offset0:192 offset1:224
	v_mul_u32_u24_sdwa v13, v22, s2 dst_sel:DWORD dst_unused:UNUSED_PAD src0_sel:WORD_0 src1_sel:DWORD
	v_mul_u32_u24_sdwa v17, v22, s2 dst_sel:DWORD dst_unused:UNUSED_PAD src0_sel:WORD_1 src1_sel:DWORD
	s_waitcnt lgkmcnt(7)
	v_pk_fma_f16 v12, v50, v13, v12
	v_pk_fma_f16 v7, v51, v13, v7
	v_pk_fma_f16 v12, v52, v17, v12
	v_pk_fma_f16 v7, v53, v17, v7
	v_mul_u32_u24_sdwa v13, v23, s2 dst_sel:DWORD dst_unused:UNUSED_PAD src0_sel:WORD_0 src1_sel:DWORD
	v_mul_u32_u24_sdwa v17, v23, s2 dst_sel:DWORD dst_unused:UNUSED_PAD src0_sel:WORD_1 src1_sel:DWORD
	s_waitcnt lgkmcnt(6)
	v_pk_fma_f16 v12, v54, v13, v12
	v_pk_fma_f16 v7, v55, v13, v7
	v_pk_fma_f16 v12, v56, v17, v12
	v_pk_fma_f16 v7, v57, v17, v7
	;; [unrolled: 7-line block ×4, first 2 shown]
	v_mul_u32_u24_sdwa v13, v30, s2 dst_sel:DWORD dst_unused:UNUSED_PAD src0_sel:WORD_0 src1_sel:DWORD
	s_waitcnt lgkmcnt(3)
	v_pk_fma_f16 v7, v38, v13, v7
	v_pk_fma_f16 v12, v39, v13, v12
	v_mul_u32_u24_sdwa v13, v30, s2 dst_sel:DWORD dst_unused:UNUSED_PAD src0_sel:WORD_1 src1_sel:DWORD
	v_pk_fma_f16 v7, v40, v13, v7
	v_pk_fma_f16 v12, v41, v13, v12
	v_mul_u32_u24_sdwa v13, v31, s2 dst_sel:DWORD dst_unused:UNUSED_PAD src0_sel:WORD_0 src1_sel:DWORD
	s_waitcnt lgkmcnt(2)
	v_pk_fma_f16 v7, v8, v13, v7
	v_pk_fma_f16 v8, v9, v13, v12
	v_mul_u32_u24_sdwa v9, v31, s2 dst_sel:DWORD dst_unused:UNUSED_PAD src0_sel:WORD_1 src1_sel:DWORD
	ds_read2_b64 v[50:53], v62 offset1:32
	v_pk_fma_f16 v7, v10, v9, v7
	v_pk_fma_f16 v12, v11, v9, v8
	v_mul_u32_u24_sdwa v13, v32, s2 dst_sel:DWORD dst_unused:UNUSED_PAD src0_sel:WORD_0 src1_sel:DWORD
	v_mul_u32_u24_sdwa v17, v32, s2 dst_sel:DWORD dst_unused:UNUSED_PAD src0_sel:WORD_1 src1_sel:DWORD
	s_waitcnt lgkmcnt(2)
	v_pk_fma_f16 v7, v42, v13, v7
	v_pk_fma_f16 v12, v43, v13, v12
	ds_read2_b64 v[54:57], v62 offset0:64 offset1:96
	v_pk_fma_f16 v7, v44, v17, v7
	v_pk_fma_f16 v12, v45, v17, v12
	v_mul_u32_u24_sdwa v13, v33, s2 dst_sel:DWORD dst_unused:UNUSED_PAD src0_sel:WORD_0 src1_sel:DWORD
	v_mul_u32_u24_sdwa v17, v33, s2 dst_sel:DWORD dst_unused:UNUSED_PAD src0_sel:WORD_1 src1_sel:DWORD
	s_waitcnt lgkmcnt(2)
	v_pk_fma_f16 v7, v46, v13, v7
	v_pk_fma_f16 v12, v47, v13, v12
	;; [unrolled: 1-line block ×4, first 2 shown]
	v_mul_u32_u24_sdwa v13, v34, s2 dst_sel:DWORD dst_unused:UNUSED_PAD src0_sel:WORD_0 src1_sel:DWORD
	ds_read2_b64 v[58:61], v62 offset0:128 offset1:160
	ds_read2_b64 v[62:65], v62 offset0:192 offset1:224
	v_mul_u32_u24_sdwa v17, v34, s2 dst_sel:DWORD dst_unused:UNUSED_PAD src0_sel:WORD_1 src1_sel:DWORD
	s_waitcnt lgkmcnt(3)
	v_pk_fma_f16 v7, v50, v13, v7
	v_pk_fma_f16 v12, v51, v13, v12
	v_mul_u32_u24_sdwa v13, v35, s2 dst_sel:DWORD dst_unused:UNUSED_PAD src0_sel:WORD_0 src1_sel:DWORD
	v_pk_fma_f16 v7, v52, v17, v7
	v_pk_fma_f16 v12, v53, v17, v12
	v_mul_u32_u24_sdwa v17, v35, s2 dst_sel:DWORD dst_unused:UNUSED_PAD src0_sel:WORD_1 src1_sel:DWORD
	s_waitcnt lgkmcnt(2)
	v_pk_fma_f16 v7, v54, v13, v7
	v_pk_fma_f16 v12, v55, v13, v12
	ds_read2_b64 v[22:25], v66 offset1:32
	ds_read2_b64 v[0:3], v66 offset0:64 offset1:96
	ds_read2_b64 v[38:41], v66 offset0:128 offset1:160
	;; [unrolled: 1-line block ×3, first 2 shown]
	ds_read2_b64 v[28:31], v67 offset1:32
	ds_read_b128 v[42:45], v5 offset:19520
	ds_read_b128 v[46:49], v5 offset:19536
	v_mul_u32_u24_sdwa v66, v36, s2 dst_sel:DWORD dst_unused:UNUSED_PAD src0_sel:WORD_0 src1_sel:DWORD
	v_pk_fma_f16 v7, v56, v17, v7
	v_pk_fma_f16 v12, v57, v17, v12
	v_mul_u32_u24_sdwa v36, v36, s2 dst_sel:DWORD dst_unused:UNUSED_PAD src0_sel:WORD_1 src1_sel:DWORD
	s_waitcnt lgkmcnt(8)
	v_pk_fma_f16 v7, v58, v66, v7
	v_pk_fma_f16 v12, v59, v66, v12
	v_mul_u32_u24_sdwa v71, v37, s2 dst_sel:DWORD dst_unused:UNUSED_PAD src0_sel:WORD_0 src1_sel:DWORD
	v_pk_fma_f16 v7, v60, v36, v7
	v_pk_fma_f16 v12, v61, v36, v12
	v_mul_u32_u24_sdwa v37, v37, s2 dst_sel:DWORD dst_unused:UNUSED_PAD src0_sel:WORD_1 src1_sel:DWORD
	s_waitcnt lgkmcnt(7)
	v_pk_fma_f16 v7, v62, v71, v7
	v_pk_fma_f16 v12, v63, v71, v12
	;; [unrolled: 1-line block ×4, first 2 shown]
	s_waitcnt lgkmcnt(1)
	v_mul_u32_u24_sdwa v13, v42, s2 dst_sel:DWORD dst_unused:UNUSED_PAD src0_sel:WORD_0 src1_sel:DWORD
	v_mul_u32_u24_sdwa v17, v42, s2 dst_sel:DWORD dst_unused:UNUSED_PAD src0_sel:WORD_1 src1_sel:DWORD
	v_pk_fma_f16 v7, v22, v13, v7
	v_pk_fma_f16 v12, v23, v13, v12
	;; [unrolled: 1-line block ×4, first 2 shown]
	v_mul_u32_u24_sdwa v13, v43, s2 dst_sel:DWORD dst_unused:UNUSED_PAD src0_sel:WORD_0 src1_sel:DWORD
	v_mul_u32_u24_sdwa v17, v43, s2 dst_sel:DWORD dst_unused:UNUSED_PAD src0_sel:WORD_1 src1_sel:DWORD
	v_pk_fma_f16 v0, v0, v13, v7
	v_pk_fma_f16 v1, v1, v13, v12
	;; [unrolled: 1-line block ×4, first 2 shown]
	v_mul_u32_u24_sdwa v13, v44, s2 dst_sel:DWORD dst_unused:UNUSED_PAD src0_sel:WORD_0 src1_sel:DWORD
	v_mul_u32_u24_sdwa v17, v44, s2 dst_sel:DWORD dst_unused:UNUSED_PAD src0_sel:WORD_1 src1_sel:DWORD
	v_pk_fma_f16 v7, v38, v13, v7
	v_pk_fma_f16 v12, v39, v13, v12
	ds_read2_b64 v[32:35], v67 offset0:64 offset1:96
	v_mul_u32_u24_sdwa v66, v45, s2 dst_sel:DWORD dst_unused:UNUSED_PAD src0_sel:WORD_0 src1_sel:DWORD
	v_pk_fma_f16 v7, v40, v17, v7
	v_pk_fma_f16 v12, v41, v17, v12
	ds_read2_b64 v[50:53], v67 offset0:128 offset1:160
	ds_read2_b64 v[54:57], v67 offset0:192 offset1:224
	v_mul_u32_u24_sdwa v67, v45, s2 dst_sel:DWORD dst_unused:UNUSED_PAD src0_sel:WORD_1 src1_sel:DWORD
	v_pk_fma_f16 v7, v8, v66, v7
	v_pk_fma_f16 v8, v9, v66, v12
	s_waitcnt lgkmcnt(3)
	v_mul_u32_u24_sdwa v13, v46, s2 dst_sel:DWORD dst_unused:UNUSED_PAD src0_sel:WORD_0 src1_sel:DWORD
	v_pk_fma_f16 v7, v10, v67, v7
	v_pk_fma_f16 v40, v11, v67, v8
	v_mul_u32_u24_sdwa v17, v46, s2 dst_sel:DWORD dst_unused:UNUSED_PAD src0_sel:WORD_1 src1_sel:DWORD
	v_pk_fma_f16 v7, v28, v13, v7
	v_pk_fma_f16 v13, v29, v13, v40
	v_mul_u32_u24_sdwa v12, v47, s2 dst_sel:DWORD dst_unused:UNUSED_PAD src0_sel:WORD_0 src1_sel:DWORD
	v_pk_fma_f16 v7, v30, v17, v7
	v_pk_fma_f16 v13, v31, v17, v13
	ds_read_b128 v[62:65], v5 offset:19552
	ds_read_b128 v[8:11], v5 offset:19568
	v_mul_u32_u24_sdwa v41, v47, s2 dst_sel:DWORD dst_unused:UNUSED_PAD src0_sel:WORD_1 src1_sel:DWORD
	s_waitcnt lgkmcnt(4)
	v_pk_fma_f16 v7, v32, v12, v7
	v_pk_fma_f16 v12, v33, v12, v13
	ds_read2_b64 v[58:61], v68 offset1:32
	v_mul_u32_u24_sdwa v46, v48, s2 dst_sel:DWORD dst_unused:UNUSED_PAD src0_sel:WORD_0 src1_sel:DWORD
	v_pk_fma_f16 v7, v34, v41, v7
	v_pk_fma_f16 v12, v35, v41, v12
	v_mul_u32_u24_sdwa v47, v48, s2 dst_sel:DWORD dst_unused:UNUSED_PAD src0_sel:WORD_1 src1_sel:DWORD
	s_waitcnt lgkmcnt(4)
	v_pk_fma_f16 v7, v50, v46, v7
	v_pk_fma_f16 v12, v51, v46, v12
	ds_read2_b64 v[22:25], v68 offset0:64 offset1:96
	v_mul_u32_u24_sdwa v48, v49, s2 dst_sel:DWORD dst_unused:UNUSED_PAD src0_sel:WORD_0 src1_sel:DWORD
	v_pk_fma_f16 v7, v52, v47, v7
	v_pk_fma_f16 v12, v53, v47, v12
	v_mul_u32_u24_sdwa v49, v49, s2 dst_sel:DWORD dst_unused:UNUSED_PAD src0_sel:WORD_1 src1_sel:DWORD
	s_waitcnt lgkmcnt(4)
	v_pk_fma_f16 v7, v54, v48, v7
	v_pk_fma_f16 v12, v55, v48, v12
	ds_read2_b64 v[0:3], v68 offset0:128 offset1:160
	s_waitcnt lgkmcnt(4)
	v_mul_u32_u24_sdwa v5, v62, s2 dst_sel:DWORD dst_unused:UNUSED_PAD src0_sel:WORD_0 src1_sel:DWORD
	v_pk_fma_f16 v7, v56, v49, v7
	v_pk_fma_f16 v12, v57, v49, v12
	v_mul_u32_u24_sdwa v40, v62, s2 dst_sel:DWORD dst_unused:UNUSED_PAD src0_sel:WORD_1 src1_sel:DWORD
	s_waitcnt lgkmcnt(2)
	v_pk_fma_f16 v7, v58, v5, v7
	v_pk_fma_f16 v5, v59, v5, v12
	ds_read2_b64 v[42:45], v68 offset0:192 offset1:224
	v_mul_u32_u24_sdwa v17, v63, s2 dst_sel:DWORD dst_unused:UNUSED_PAD src0_sel:WORD_0 src1_sel:DWORD
	v_pk_fma_f16 v7, v60, v40, v7
	v_pk_fma_f16 v5, v61, v40, v5
	v_mul_u32_u24_sdwa v62, v63, s2 dst_sel:DWORD dst_unused:UNUSED_PAD src0_sel:WORD_1 src1_sel:DWORD
	s_waitcnt lgkmcnt(2)
	v_pk_fma_f16 v7, v22, v17, v7
	v_pk_fma_f16 v5, v23, v17, v5
	ds_read2_b64 v[36:39], v69 offset1:32
	v_mul_u32_u24_sdwa v63, v64, s2 dst_sel:DWORD dst_unused:UNUSED_PAD src0_sel:WORD_0 src1_sel:DWORD
	v_pk_fma_f16 v7, v24, v62, v7
	v_pk_fma_f16 v5, v25, v62, v5
	v_mul_u32_u24_sdwa v64, v64, s2 dst_sel:DWORD dst_unused:UNUSED_PAD src0_sel:WORD_1 src1_sel:DWORD
	s_waitcnt lgkmcnt(2)
	v_pk_fma_f16 v0, v0, v63, v7
	v_pk_fma_f16 v1, v1, v63, v5
	v_mul_u32_u24_sdwa v66, v65, s2 dst_sel:DWORD dst_unused:UNUSED_PAD src0_sel:WORD_0 src1_sel:DWORD
	ds_read2_b64 v[28:31], v69 offset0:64 offset1:96
	v_pk_fma_f16 v0, v2, v64, v0
	v_pk_fma_f16 v1, v3, v64, v1
	v_mul_u32_u24_sdwa v65, v65, s2 dst_sel:DWORD dst_unused:UNUSED_PAD src0_sel:WORD_1 src1_sel:DWORD
	s_waitcnt lgkmcnt(2)
	v_pk_fma_f16 v0, v42, v66, v0
	v_pk_fma_f16 v1, v43, v66, v1
	ds_read2_b64 v[32:35], v69 offset0:128 offset1:160
	v_mul_u32_u24_sdwa v13, v8, s2 dst_sel:DWORD dst_unused:UNUSED_PAD src0_sel:WORD_0 src1_sel:DWORD
	v_pk_fma_f16 v0, v44, v65, v0
	v_pk_fma_f16 v1, v45, v65, v1
	v_mul_u32_u24_sdwa v41, v8, s2 dst_sel:DWORD dst_unused:UNUSED_PAD src0_sel:WORD_1 src1_sel:DWORD
	s_waitcnt lgkmcnt(2)
	v_pk_fma_f16 v0, v36, v13, v0
	v_pk_fma_f16 v1, v37, v13, v1
	v_mul_u32_u24_sdwa v46, v9, s2 dst_sel:DWORD dst_unused:UNUSED_PAD src0_sel:WORD_0 src1_sel:DWORD
	v_mul_u32_u24_sdwa v47, v9, s2 dst_sel:DWORD dst_unused:UNUSED_PAD src0_sel:WORD_1 src1_sel:DWORD
	v_mul_u32_u24_sdwa v50, v10, s2 dst_sel:DWORD dst_unused:UNUSED_PAD src0_sel:WORD_0 src1_sel:DWORD
	v_mul_u32_u24_sdwa v51, v10, s2 dst_sel:DWORD dst_unused:UNUSED_PAD src0_sel:WORD_1 src1_sel:DWORD
	;; [unrolled: 2-line block ×3, first 2 shown]
	ds_read2_b64 v[8:11], v69 offset0:192 offset1:224
	v_pk_fma_f16 v0, v38, v41, v0
	v_pk_fma_f16 v1, v39, v41, v1
	s_waitcnt lgkmcnt(2)
	v_pk_fma_f16 v0, v28, v46, v0
	v_pk_fma_f16 v1, v29, v46, v1
	v_pk_fma_f16 v0, v30, v47, v0
	v_pk_fma_f16 v1, v31, v47, v1
	s_waitcnt lgkmcnt(1)
	v_pk_fma_f16 v0, v32, v50, v0
	v_pk_fma_f16 v1, v33, v50, v1
	;; [unrolled: 5-line block ×3, first 2 shown]
	v_pk_fma_f16 v29, v10, v53, v0
	v_pk_fma_f16 v17, v11, v53, v1
	v_mov_b32_e32 v7, v70
	s_barrier
.LBB62_29:
	v_cmp_lt_i32_e32 vcc, v18, v15
	s_cmp_eq_u64 s[16:17], 0
	s_cselect_b64 s[4:5], -1, 0
	v_cndmask_b32_e32 v0, v14, v18, vcc
	v_lshlrev_b32_e32 v0, 2, v0
	ds_bpermute_b32 v0, v0, v7
	v_cmp_lt_i32_e32 vcc, v16, v15
	s_cmp_lg_u32 s3, 0
	s_cselect_b64 s[6:7], -1, 0
	v_cndmask_b32_e32 v1, v14, v16, vcc
	v_lshlrev_b32_e32 v1, 2, v1
	s_waitcnt lgkmcnt(0)
	v_add_f32_e32 v0, v7, v0
	ds_bpermute_b32 v1, v1, v0
	v_cmp_lt_i32_e32 vcc, v19, v15
	s_or_b64 s[4:5], s[6:7], s[4:5]
	s_waitcnt lgkmcnt(0)
	v_add_f32_e32 v0, v0, v1
	v_cndmask_b32_e32 v2, v14, v19, vcc
	v_lshlrev_b32_e32 v2, 2, v2
	ds_bpermute_b32 v1, v2, v0
	v_cmp_lt_i32_e32 vcc, v20, v15
	s_waitcnt lgkmcnt(0)
	v_add_f32_e32 v0, v0, v1
	v_cndmask_b32_e32 v2, v14, v20, vcc
	v_lshlrev_b32_e32 v2, 2, v2
	ds_bpermute_b32 v1, v2, v0
	v_cmp_lt_i32_e32 vcc, v21, v15
	s_waitcnt lgkmcnt(0)
	v_add_f32_e32 v0, v0, v1
	v_cndmask_b32_e32 v2, v14, v21, vcc
	v_lshlrev_b32_e32 v2, 2, v2
	ds_bpermute_b32 v1, v2, v0
	s_and_b64 vcc, exec, s[4:5]
	s_waitcnt lgkmcnt(0)
	v_add_f32_e32 v7, v0, v1
	s_cbranch_vccnz .LBB62_32
; %bb.30:
	s_lshl_b64 s[4:5], s[34:35], 2
	s_add_u32 s4, s16, s4
	s_addc_u32 s5, s17, s5
	v_mov_b32_e32 v0, 0
	global_load_dword v1, v0, s[4:5]
	v_max_f32_e32 v0, v6, v6
	s_mov_b32 s2, 0x3fb8aa3b
	s_mov_b32 s4, 0xc2ce8ed0
	s_waitcnt vmcnt(0)
	v_max_f32_e32 v2, v1, v1
	v_max_f32_e32 v0, v0, v2
	v_sub_f32_e32 v2, v6, v0
	v_sub_f32_e32 v1, v1, v0
	v_mul_f32_e32 v3, 0x3fb8aa3b, v2
	v_mul_f32_e32 v5, 0x3fb8aa3b, v1
	v_fma_f32 v6, v2, s2, -v3
	v_rndne_f32_e32 v8, v3
	v_fma_f32 v9, v1, s2, -v5
	v_rndne_f32_e32 v10, v5
	v_fmac_f32_e32 v6, 0x32a5705f, v2
	v_sub_f32_e32 v3, v3, v8
	v_fmac_f32_e32 v9, 0x32a5705f, v1
	v_sub_f32_e32 v5, v5, v10
	v_add_f32_e32 v3, v3, v6
	v_cvt_i32_f32_e32 v8, v8
	v_add_f32_e32 v5, v5, v9
	v_exp_f32_e32 v3, v3
	v_cvt_i32_f32_e32 v10, v10
	v_exp_f32_e32 v5, v5
	v_cmp_ngt_f32_e32 vcc, s4, v2
	v_ldexp_f32 v3, v3, v8
	s_mov_b32 s2, 0x42b17218
	v_ldexp_f32 v5, v5, v10
	v_cndmask_b32_e32 v3, 0, v3, vcc
	v_cmp_ngt_f32_e32 vcc, s4, v1
	v_mov_b32_e32 v6, 0x7f800000
	s_nop 0
	v_cndmask_b32_e32 v5, 0, v5, vcc
	v_cmp_nlt_f32_e32 vcc, s2, v2
	s_nop 1
	v_cndmask_b32_e32 v2, v6, v3, vcc
	v_cvt_f16_f32_e32 v3, v2
	v_cmp_nlt_f32_e32 vcc, s2, v1
	s_nop 1
	v_cndmask_b32_e32 v1, v6, v5, vcc
	v_fmac_f32_e32 v1, v7, v2
	v_mul_u32_u24_e32 v2, 0x10001, v3
	v_pk_mul_f16 v29, v29, v2
	v_pk_mul_f16 v17, v17, v2
	v_mov_b64_e32 v[6:7], v[0:1]
	v_cmp_gt_i32_e32 vcc, s26, v26
	s_and_saveexec_b64 s[4:5], vcc
	s_cbranch_execnz .LBB62_33
.LBB62_31:
	s_endpgm
.LBB62_32:
	v_mov_b32_e32 v1, v7
	v_cmp_gt_i32_e32 vcc, s26, v26
	s_and_saveexec_b64 s[4:5], vcc
	s_cbranch_execz .LBB62_31
.LBB62_33:
	s_load_dword s2, s[0:1], 0xd4
	v_div_scale_f32 v0, s[0:1], v1, v1, 1.0
	v_rcp_f32_e32 v5, v0
	s_mul_i32 s33, s33, s26
	s_waitcnt lgkmcnt(0)
	s_cmp_lg_u32 s2, 1
	s_cselect_b64 s[0:1], -1, 0
	v_fma_f32 v8, -v0, v5, 1.0
	v_fmac_f32_e32 v5, v8, v5
	v_div_scale_f32 v8, vcc, 1.0, v1, 1.0
	v_mul_f32_e32 v9, v8, v5
	v_fma_f32 v10, -v0, v9, v8
	v_fmac_f32_e32 v9, v10, v5
	v_fma_f32 v0, -v0, v9, v8
	v_div_fmas_f32 v0, v0, v5, v9
	v_div_fixup_f32 v0, v0, v1, 1.0
	v_cndmask_b32_e64 v8, v0, 1.0, s[0:1]
	v_add_u32_e32 v0, s33, v26
	v_mul_lo_u32 v0, v0, s27
	v_add_u32_e32 v0, s34, v0
	v_mul_lo_u32 v0, s2, v0
	v_add_u32_e32 v0, s3, v0
	v_mov_b32_e32 v2, s20
	v_mov_b32_e32 v3, s21
	v_lshl_add_u32 v10, v0, 7, v27
	v_mov_b32_e32 v11, 0
	v_lshl_add_u64 v[10:11], v[10:11], 2, v[2:3]
	v_cvt_f32_f16_sdwa v3, v29 dst_sel:DWORD dst_unused:UNUSED_PAD src0_sel:WORD_1
	v_cvt_f32_f16_e32 v2, v29
	v_cvt_f32_f16_sdwa v13, v17 dst_sel:DWORD dst_unused:UNUSED_PAD src0_sel:WORD_1
	v_cvt_f32_f16_e32 v12, v17
	v_cmp_eq_u32_e32 vcc, 0, v4
	s_and_b64 s[0:1], vcc, s[0:1]
	v_pk_mul_f32 v[2:3], v[8:9], v[2:3] op_sel_hi:[0,1]
	v_pk_mul_f32 v[4:5], v[8:9], v[12:13] op_sel_hi:[0,1]
	global_store_dwordx4 v[10:11], v[2:5], off
	s_and_b64 exec, exec, s[0:1]
	s_cbranch_execz .LBB62_31
; %bb.34:
	v_mov_b32_e32 v2, s22
	v_mov_b32_e32 v3, s23
	v_ashrrev_i32_e32 v1, 31, v0
	v_lshl_add_u64 v[0:1], v[0:1], 3, v[2:3]
	global_store_dwordx2 v[0:1], v[6:7], off
	s_endpgm
	.section	.rodata,"a",@progbits
	.p2align	6, 0x0
	.amdhsa_kernel _ZL15flash_attn_tileILi128ELi128ELi8ELi1ELb0EEvPKcS1_S1_S1_S1_PKiPfP15HIP_vector_typeIfLj2EEffffjfiS5_IjLj3EEiiiiiiiiiiiliiliiiiil
		.amdhsa_group_segment_fixed_size 20480
		.amdhsa_private_segment_fixed_size 32
		.amdhsa_kernarg_size 464
		.amdhsa_user_sgpr_count 2
		.amdhsa_user_sgpr_dispatch_ptr 0
		.amdhsa_user_sgpr_queue_ptr 0
		.amdhsa_user_sgpr_kernarg_segment_ptr 1
		.amdhsa_user_sgpr_dispatch_id 0
		.amdhsa_user_sgpr_kernarg_preload_length 0
		.amdhsa_user_sgpr_kernarg_preload_offset 0
		.amdhsa_user_sgpr_private_segment_size 0
		.amdhsa_uses_dynamic_stack 0
		.amdhsa_enable_private_segment 1
		.amdhsa_system_sgpr_workgroup_id_x 1
		.amdhsa_system_sgpr_workgroup_id_y 1
		.amdhsa_system_sgpr_workgroup_id_z 1
		.amdhsa_system_sgpr_workgroup_info 0
		.amdhsa_system_vgpr_workitem_id 1
		.amdhsa_next_free_vgpr 77
		.amdhsa_next_free_sgpr 48
		.amdhsa_accum_offset 80
		.amdhsa_reserve_vcc 1
		.amdhsa_float_round_mode_32 0
		.amdhsa_float_round_mode_16_64 0
		.amdhsa_float_denorm_mode_32 3
		.amdhsa_float_denorm_mode_16_64 3
		.amdhsa_dx10_clamp 1
		.amdhsa_ieee_mode 1
		.amdhsa_fp16_overflow 0
		.amdhsa_tg_split 0
		.amdhsa_exception_fp_ieee_invalid_op 0
		.amdhsa_exception_fp_denorm_src 0
		.amdhsa_exception_fp_ieee_div_zero 0
		.amdhsa_exception_fp_ieee_overflow 0
		.amdhsa_exception_fp_ieee_underflow 0
		.amdhsa_exception_fp_ieee_inexact 0
		.amdhsa_exception_int_div_zero 0
	.end_amdhsa_kernel
	.section	.text._ZL15flash_attn_tileILi128ELi128ELi8ELi1ELb0EEvPKcS1_S1_S1_S1_PKiPfP15HIP_vector_typeIfLj2EEffffjfiS5_IjLj3EEiiiiiiiiiiiliiliiiiil,"axG",@progbits,_ZL15flash_attn_tileILi128ELi128ELi8ELi1ELb0EEvPKcS1_S1_S1_S1_PKiPfP15HIP_vector_typeIfLj2EEffffjfiS5_IjLj3EEiiiiiiiiiiiliiliiiiil,comdat
.Lfunc_end62:
	.size	_ZL15flash_attn_tileILi128ELi128ELi8ELi1ELb0EEvPKcS1_S1_S1_S1_PKiPfP15HIP_vector_typeIfLj2EEffffjfiS5_IjLj3EEiiiiiiiiiiiliiliiiiil, .Lfunc_end62-_ZL15flash_attn_tileILi128ELi128ELi8ELi1ELb0EEvPKcS1_S1_S1_S1_PKiPfP15HIP_vector_typeIfLj2EEffffjfiS5_IjLj3EEiiiiiiiiiiiliiliiiiil
                                        ; -- End function
	.set _ZL15flash_attn_tileILi128ELi128ELi8ELi1ELb0EEvPKcS1_S1_S1_S1_PKiPfP15HIP_vector_typeIfLj2EEffffjfiS5_IjLj3EEiiiiiiiiiiiliiliiiiil.num_vgpr, 77
	.set _ZL15flash_attn_tileILi128ELi128ELi8ELi1ELb0EEvPKcS1_S1_S1_S1_PKiPfP15HIP_vector_typeIfLj2EEffffjfiS5_IjLj3EEiiiiiiiiiiiliiliiiiil.num_agpr, 0
	.set _ZL15flash_attn_tileILi128ELi128ELi8ELi1ELb0EEvPKcS1_S1_S1_S1_PKiPfP15HIP_vector_typeIfLj2EEffffjfiS5_IjLj3EEiiiiiiiiiiiliiliiiiil.numbered_sgpr, 48
	.set _ZL15flash_attn_tileILi128ELi128ELi8ELi1ELb0EEvPKcS1_S1_S1_S1_PKiPfP15HIP_vector_typeIfLj2EEffffjfiS5_IjLj3EEiiiiiiiiiiiliiliiiiil.num_named_barrier, 0
	.set _ZL15flash_attn_tileILi128ELi128ELi8ELi1ELb0EEvPKcS1_S1_S1_S1_PKiPfP15HIP_vector_typeIfLj2EEffffjfiS5_IjLj3EEiiiiiiiiiiiliiliiiiil.private_seg_size, 32
	.set _ZL15flash_attn_tileILi128ELi128ELi8ELi1ELb0EEvPKcS1_S1_S1_S1_PKiPfP15HIP_vector_typeIfLj2EEffffjfiS5_IjLj3EEiiiiiiiiiiiliiliiiiil.uses_vcc, 1
	.set _ZL15flash_attn_tileILi128ELi128ELi8ELi1ELb0EEvPKcS1_S1_S1_S1_PKiPfP15HIP_vector_typeIfLj2EEffffjfiS5_IjLj3EEiiiiiiiiiiiliiliiiiil.uses_flat_scratch, 0
	.set _ZL15flash_attn_tileILi128ELi128ELi8ELi1ELb0EEvPKcS1_S1_S1_S1_PKiPfP15HIP_vector_typeIfLj2EEffffjfiS5_IjLj3EEiiiiiiiiiiiliiliiiiil.has_dyn_sized_stack, 0
	.set _ZL15flash_attn_tileILi128ELi128ELi8ELi1ELb0EEvPKcS1_S1_S1_S1_PKiPfP15HIP_vector_typeIfLj2EEffffjfiS5_IjLj3EEiiiiiiiiiiiliiliiiiil.has_recursion, 0
	.set _ZL15flash_attn_tileILi128ELi128ELi8ELi1ELb0EEvPKcS1_S1_S1_S1_PKiPfP15HIP_vector_typeIfLj2EEffffjfiS5_IjLj3EEiiiiiiiiiiiliiliiiiil.has_indirect_call, 0
	.section	.AMDGPU.csdata,"",@progbits
; Kernel info:
; codeLenInByte = 15900
; TotalNumSgprs: 54
; NumVgprs: 77
; NumAgprs: 0
; TotalNumVgprs: 77
; ScratchSize: 32
; MemoryBound: 0
; FloatMode: 240
; IeeeMode: 1
; LDSByteSize: 20480 bytes/workgroup (compile time only)
; SGPRBlocks: 6
; VGPRBlocks: 9
; NumSGPRsForWavesPerEU: 54
; NumVGPRsForWavesPerEU: 77
; AccumOffset: 80
; Occupancy: 6
; WaveLimiterHint : 1
; COMPUTE_PGM_RSRC2:SCRATCH_EN: 1
; COMPUTE_PGM_RSRC2:USER_SGPR: 2
; COMPUTE_PGM_RSRC2:TRAP_HANDLER: 0
; COMPUTE_PGM_RSRC2:TGID_X_EN: 1
; COMPUTE_PGM_RSRC2:TGID_Y_EN: 1
; COMPUTE_PGM_RSRC2:TGID_Z_EN: 1
; COMPUTE_PGM_RSRC2:TIDIG_COMP_CNT: 1
; COMPUTE_PGM_RSRC3_GFX90A:ACCUM_OFFSET: 19
; COMPUTE_PGM_RSRC3_GFX90A:TG_SPLIT: 0
	.section	.text._ZL33flash_attn_stream_k_fixup_uniformILi128ELi8ELi1EEvPfPK15HIP_vector_typeIfLj2EEiiiiiiS1_IjLj3EES5_S5_,"axG",@progbits,_ZL33flash_attn_stream_k_fixup_uniformILi128ELi8ELi1EEvPfPK15HIP_vector_typeIfLj2EEiiiiiiS1_IjLj3EES5_S5_,comdat
	.globl	_ZL33flash_attn_stream_k_fixup_uniformILi128ELi8ELi1EEvPfPK15HIP_vector_typeIfLj2EEiiiiiiS1_IjLj3EES5_S5_ ; -- Begin function _ZL33flash_attn_stream_k_fixup_uniformILi128ELi8ELi1EEvPfPK15HIP_vector_typeIfLj2EEiiiiiiS1_IjLj3EES5_S5_
	.p2align	8
	.type	_ZL33flash_attn_stream_k_fixup_uniformILi128ELi8ELi1EEvPfPK15HIP_vector_typeIfLj2EEiiiiiiS1_IjLj3EES5_S5_,@function
_ZL33flash_attn_stream_k_fixup_uniformILi128ELi8ELi1EEvPfPK15HIP_vector_typeIfLj2EEiiiiiiS1_IjLj3EES5_S5_: ; @_ZL33flash_attn_stream_k_fixup_uniformILi128ELi8ELi1EEvPfPK15HIP_vector_typeIfLj2EEiiiiiiS1_IjLj3EES5_S5_
; %bb.0:
	s_load_dwordx8 s[8:15], s[0:1], 0x1c
	s_load_dwordx2 s[6:7], s[0:1], 0x10
	s_load_dwordx4 s[20:23], s[0:1], 0x3c
	s_waitcnt lgkmcnt(0)
	s_mul_hi_u32 s5, s11, s2
	s_add_i32 s5, s2, s5
	s_lshr_b32 s5, s5, s12
	s_mul_i32 s11, s5, s13
	s_sub_i32 s11, s2, s11
	s_mul_hi_u32 s12, s11, s14
	s_add_i32 s12, s11, s12
	s_lshr_b32 s16, s12, s15
	s_mul_i32 s12, s16, s20
	s_sub_i32 s12, s11, s12
	;; [unrolled: 5-line block ×3, first 2 shown]
	s_lshl_b32 s12, s17, 3
	s_add_i32 s12, s12, s3
	s_cmp_lt_i32 s12, s6
	s_cselect_b64 s[12:13], -1, 0
	s_add_i32 s14, s11, s4
	s_cmp_lt_i32 s14, s9
	s_cselect_b64 s[14:15], -1, 0
	s_and_b64 s[12:13], s[12:13], s[14:15]
	s_andn2_b64 vcc, exec, s[12:13]
	s_cbranch_vccnz .LBB63_6
; %bb.1:
	s_load_dwordx4 s[12:15], s[0:1], 0x0
	s_mul_i32 s0, s5, s6
	s_add_i32 s0, s0, s3
	s_mul_i32 s0, s0, s7
	s_mul_i32 s16, s16, s9
	s_add_i32 s0, s0, s4
	s_add_i32 s0, s0, s16
	s_mul_i32 s1, s7, s17
	s_add_i32 s0, s0, s11
	s_lshl_b32 s1, s1, 10
	s_lshl_b32 s0, s0, 7
	s_add_i32 s1, s1, s0
	v_or_b32_e32 v4, s1, v0
	s_waitcnt lgkmcnt(0)
	v_mov_b32_e32 v2, s12
	v_mov_b32_e32 v3, s13
	v_ashrrev_i32_e32 v5, 31, v4
	v_lshl_add_u64 v[2:3], v[4:5], 2, v[2:3]
	global_load_dword v5, v[2:3], off
	s_mul_i32 s6, s10, s2
	s_add_i32 s7, s6, s10
	s_add_i32 s3, s3, s4
	s_lshl_b32 s0, s7, 3
	s_add_i32 s0, s3, s0
	s_add_i32 s0, s0, -8
	s_ashr_i32 s1, s0, 31
	s_lshl_b64 s[0:1], s[0:1], 3
	s_add_u32 s0, s14, s0
	s_addc_u32 s1, s15, s1
	s_load_dword s9, s[0:1], 0x4
	s_add_i32 s4, s7, -2
	s_cmp_lt_i32 s4, s6
	s_cbranch_scc1 .LBB63_4
; %bb.2:
	s_lshl_b32 s4, s8, 5
	s_ashr_i32 s5, s4, 31
	s_lshl_b64 s[4:5], s[4:5], 2
	s_add_u32 s4, s14, s4
	s_addc_u32 s5, s15, s5
	s_add_i32 s2, s2, 1
	s_mul_i32 s2, s10, s2
	s_load_dword s0, s[0:1], 0x0
	s_lshl_b32 s1, s3, 7
	s_lshl_b32 s10, s2, 10
	s_add_i32 s1, s1, s10
	v_or_b32_e32 v0, s1, v0
	s_lshl_b32 s1, s2, 3
	s_add_i32 s1, s3, s1
	s_lshl_b32 s2, s8, 3
	s_add_i32 s1, s1, s2
	s_add_i32 s7, s7, -1
	v_add_u32_e32 v0, 0xfffff800, v0
	s_add_i32 s2, s1, -16
	s_waitcnt lgkmcnt(0)
	v_mov_b32_e32 v7, s0
	v_mov_b32_e32 v4, s9
	s_mov_b32 s8, 0x3fb8aa3b
	s_mov_b32 s9, 0xc2ce8ed0
	;; [unrolled: 1-line block ×3, first 2 shown]
	v_mov_b32_e32 v6, 0x7f800000
	s_mov_b32 s11, 0xc1a00000
.LBB63_3:                               ; =>This Inner Loop Header: Depth=1
	v_ashrrev_i32_e32 v1, 31, v0
	v_lshl_add_u64 v[8:9], v[0:1], 2, s[4:5]
	global_load_dword v9, v[8:9], off
	s_ashr_i32 s3, s2, 31
	s_lshl_b64 s[0:1], s[2:3], 3
	s_add_u32 s0, s14, s0
	s_addc_u32 s1, s15, s1
	s_load_dwordx2 s[0:1], s[0:1], 0x0
	v_max_f32_e32 v1, v7, v7
	s_add_i32 s7, s7, -1
	s_add_i32 s2, s2, -8
	v_add_u32_e32 v0, 0xfffffc00, v0
	s_waitcnt lgkmcnt(0)
	v_max_f32_e64 v10, s0, s0
	v_max_f32_e32 v1, v1, v10
	v_sub_f32_e32 v11, s0, v1
	v_sub_f32_e32 v10, v7, v1
	v_mul_f32_e32 v12, 0x3fb8aa3b, v11
	v_mov_b32_e32 v7, v1
	v_mul_f32_e32 v1, 0x3fb8aa3b, v10
	v_fma_f32 v15, v11, s8, -v12
	v_rndne_f32_e32 v16, v12
	v_fma_f32 v13, v10, s8, -v1
	v_rndne_f32_e32 v14, v1
	v_fmac_f32_e32 v15, 0x32a5705f, v11
	v_sub_f32_e32 v12, v12, v16
	v_fmac_f32_e32 v13, 0x32a5705f, v10
	v_sub_f32_e32 v1, v1, v14
	v_add_f32_e32 v12, v12, v15
	v_cvt_i32_f32_e32 v16, v16
	v_add_f32_e32 v1, v1, v13
	v_exp_f32_e32 v12, v12
	v_cvt_i32_f32_e32 v14, v14
	v_exp_f32_e32 v1, v1
	v_cmp_ngt_f32_e32 vcc, s9, v11
	v_ldexp_f32 v12, v12, v16
	v_mov_b32_e32 v8, s1
	v_ldexp_f32 v1, v1, v14
	v_cmp_ngt_f32_e64 s[0:1], s9, v10
	v_cndmask_b32_e32 v12, 0, v12, vcc
	v_cmp_nlt_f32_e32 vcc, s10, v11
	v_cndmask_b32_e64 v1, 0, v1, s[0:1]
	v_cmp_nlt_f32_e64 s[0:1], s10, v10
	v_cndmask_b32_e32 v12, v6, v12, vcc
	v_cmp_le_f32_e32 vcc, s11, v11
	v_cndmask_b32_e64 v1, v6, v1, s[0:1]
	v_cmp_le_f32_e64 s[0:1], s11, v10
	v_cndmask_b32_e32 v12, 0, v12, vcc
	s_cmp_le_i32 s7, s6
	v_cndmask_b32_e64 v10, 0, v1, s[0:1]
	s_waitcnt vmcnt(0)
	v_pk_mul_f32 v[8:9], v[8:9], v[12:13] op_sel_hi:[1,0]
	s_nop 0
	v_pk_fma_f32 v[4:5], v[4:5], v[10:11], v[8:9] op_sel_hi:[1,0,1]
	s_cbranch_scc0 .LBB63_3
	s_branch .LBB63_5
.LBB63_4:
	s_waitcnt lgkmcnt(0)
	v_mov_b32_e32 v4, s9
.LBB63_5:
	s_waitcnt vmcnt(0)
	v_div_scale_f32 v0, s[0:1], v4, v4, v5
	v_rcp_f32_e32 v1, v0
	v_div_scale_f32 v6, vcc, v5, v4, v5
	v_fma_f32 v7, -v0, v1, 1.0
	v_fmac_f32_e32 v1, v7, v1
	v_mul_f32_e32 v7, v6, v1
	v_fma_f32 v8, -v0, v7, v6
	v_fmac_f32_e32 v7, v8, v1
	v_fma_f32 v0, -v0, v7, v6
	v_div_fmas_f32 v0, v0, v1, v7
	v_div_fixup_f32 v0, v0, v4, v5
	global_store_dword v[2:3], v0, off
.LBB63_6:
	s_endpgm
	.section	.rodata,"a",@progbits
	.p2align	6, 0x0
	.amdhsa_kernel _ZL33flash_attn_stream_k_fixup_uniformILi128ELi8ELi1EEvPfPK15HIP_vector_typeIfLj2EEiiiiiiS1_IjLj3EES5_S5_
		.amdhsa_group_segment_fixed_size 0
		.amdhsa_private_segment_fixed_size 0
		.amdhsa_kernarg_size 76
		.amdhsa_user_sgpr_count 2
		.amdhsa_user_sgpr_dispatch_ptr 0
		.amdhsa_user_sgpr_queue_ptr 0
		.amdhsa_user_sgpr_kernarg_segment_ptr 1
		.amdhsa_user_sgpr_dispatch_id 0
		.amdhsa_user_sgpr_kernarg_preload_length 0
		.amdhsa_user_sgpr_kernarg_preload_offset 0
		.amdhsa_user_sgpr_private_segment_size 0
		.amdhsa_uses_dynamic_stack 0
		.amdhsa_enable_private_segment 0
		.amdhsa_system_sgpr_workgroup_id_x 1
		.amdhsa_system_sgpr_workgroup_id_y 1
		.amdhsa_system_sgpr_workgroup_id_z 1
		.amdhsa_system_sgpr_workgroup_info 0
		.amdhsa_system_vgpr_workitem_id 0
		.amdhsa_next_free_vgpr 17
		.amdhsa_next_free_sgpr 24
		.amdhsa_accum_offset 20
		.amdhsa_reserve_vcc 1
		.amdhsa_float_round_mode_32 0
		.amdhsa_float_round_mode_16_64 0
		.amdhsa_float_denorm_mode_32 3
		.amdhsa_float_denorm_mode_16_64 3
		.amdhsa_dx10_clamp 1
		.amdhsa_ieee_mode 1
		.amdhsa_fp16_overflow 0
		.amdhsa_tg_split 0
		.amdhsa_exception_fp_ieee_invalid_op 0
		.amdhsa_exception_fp_denorm_src 0
		.amdhsa_exception_fp_ieee_div_zero 0
		.amdhsa_exception_fp_ieee_overflow 0
		.amdhsa_exception_fp_ieee_underflow 0
		.amdhsa_exception_fp_ieee_inexact 0
		.amdhsa_exception_int_div_zero 0
	.end_amdhsa_kernel
	.section	.text._ZL33flash_attn_stream_k_fixup_uniformILi128ELi8ELi1EEvPfPK15HIP_vector_typeIfLj2EEiiiiiiS1_IjLj3EES5_S5_,"axG",@progbits,_ZL33flash_attn_stream_k_fixup_uniformILi128ELi8ELi1EEvPfPK15HIP_vector_typeIfLj2EEiiiiiiS1_IjLj3EES5_S5_,comdat
.Lfunc_end63:
	.size	_ZL33flash_attn_stream_k_fixup_uniformILi128ELi8ELi1EEvPfPK15HIP_vector_typeIfLj2EEiiiiiiS1_IjLj3EES5_S5_, .Lfunc_end63-_ZL33flash_attn_stream_k_fixup_uniformILi128ELi8ELi1EEvPfPK15HIP_vector_typeIfLj2EEiiiiiiS1_IjLj3EES5_S5_
                                        ; -- End function
	.set _ZL33flash_attn_stream_k_fixup_uniformILi128ELi8ELi1EEvPfPK15HIP_vector_typeIfLj2EEiiiiiiS1_IjLj3EES5_S5_.num_vgpr, 17
	.set _ZL33flash_attn_stream_k_fixup_uniformILi128ELi8ELi1EEvPfPK15HIP_vector_typeIfLj2EEiiiiiiS1_IjLj3EES5_S5_.num_agpr, 0
	.set _ZL33flash_attn_stream_k_fixup_uniformILi128ELi8ELi1EEvPfPK15HIP_vector_typeIfLj2EEiiiiiiS1_IjLj3EES5_S5_.numbered_sgpr, 24
	.set _ZL33flash_attn_stream_k_fixup_uniformILi128ELi8ELi1EEvPfPK15HIP_vector_typeIfLj2EEiiiiiiS1_IjLj3EES5_S5_.num_named_barrier, 0
	.set _ZL33flash_attn_stream_k_fixup_uniformILi128ELi8ELi1EEvPfPK15HIP_vector_typeIfLj2EEiiiiiiS1_IjLj3EES5_S5_.private_seg_size, 0
	.set _ZL33flash_attn_stream_k_fixup_uniformILi128ELi8ELi1EEvPfPK15HIP_vector_typeIfLj2EEiiiiiiS1_IjLj3EES5_S5_.uses_vcc, 1
	.set _ZL33flash_attn_stream_k_fixup_uniformILi128ELi8ELi1EEvPfPK15HIP_vector_typeIfLj2EEiiiiiiS1_IjLj3EES5_S5_.uses_flat_scratch, 0
	.set _ZL33flash_attn_stream_k_fixup_uniformILi128ELi8ELi1EEvPfPK15HIP_vector_typeIfLj2EEiiiiiiS1_IjLj3EES5_S5_.has_dyn_sized_stack, 0
	.set _ZL33flash_attn_stream_k_fixup_uniformILi128ELi8ELi1EEvPfPK15HIP_vector_typeIfLj2EEiiiiiiS1_IjLj3EES5_S5_.has_recursion, 0
	.set _ZL33flash_attn_stream_k_fixup_uniformILi128ELi8ELi1EEvPfPK15HIP_vector_typeIfLj2EEiiiiiiS1_IjLj3EES5_S5_.has_indirect_call, 0
	.section	.AMDGPU.csdata,"",@progbits
; Kernel info:
; codeLenInByte = 816
; TotalNumSgprs: 30
; NumVgprs: 17
; NumAgprs: 0
; TotalNumVgprs: 17
; ScratchSize: 0
; MemoryBound: 0
; FloatMode: 240
; IeeeMode: 1
; LDSByteSize: 0 bytes/workgroup (compile time only)
; SGPRBlocks: 3
; VGPRBlocks: 2
; NumSGPRsForWavesPerEU: 30
; NumVGPRsForWavesPerEU: 17
; AccumOffset: 20
; Occupancy: 8
; WaveLimiterHint : 0
; COMPUTE_PGM_RSRC2:SCRATCH_EN: 0
; COMPUTE_PGM_RSRC2:USER_SGPR: 2
; COMPUTE_PGM_RSRC2:TRAP_HANDLER: 0
; COMPUTE_PGM_RSRC2:TGID_X_EN: 1
; COMPUTE_PGM_RSRC2:TGID_Y_EN: 1
; COMPUTE_PGM_RSRC2:TGID_Z_EN: 1
; COMPUTE_PGM_RSRC2:TIDIG_COMP_CNT: 0
; COMPUTE_PGM_RSRC3_GFX90A:ACCUM_OFFSET: 4
; COMPUTE_PGM_RSRC3_GFX90A:TG_SPLIT: 0
	.section	.text._ZL33flash_attn_stream_k_fixup_generalILi128ELi8ELi1EEvPfPK15HIP_vector_typeIfLj2EEiiiiS1_IjLj3EES5_S5_S5_,"axG",@progbits,_ZL33flash_attn_stream_k_fixup_generalILi128ELi8ELi1EEvPfPK15HIP_vector_typeIfLj2EEiiiiS1_IjLj3EES5_S5_S5_,comdat
	.globl	_ZL33flash_attn_stream_k_fixup_generalILi128ELi8ELi1EEvPfPK15HIP_vector_typeIfLj2EEiiiiS1_IjLj3EES5_S5_S5_ ; -- Begin function _ZL33flash_attn_stream_k_fixup_generalILi128ELi8ELi1EEvPfPK15HIP_vector_typeIfLj2EEiiiiS1_IjLj3EES5_S5_S5_
	.p2align	8
	.type	_ZL33flash_attn_stream_k_fixup_generalILi128ELi8ELi1EEvPfPK15HIP_vector_typeIfLj2EEiiiiS1_IjLj3EES5_S5_S5_,@function
_ZL33flash_attn_stream_k_fixup_generalILi128ELi8ELi1EEvPfPK15HIP_vector_typeIfLj2EEiiiiS1_IjLj3EES5_S5_S5_: ; @_ZL33flash_attn_stream_k_fixup_generalILi128ELi8ELi1EEvPfPK15HIP_vector_typeIfLj2EEiiiiS1_IjLj3EES5_S5_S5_
; %bb.0:
	s_load_dwordx4 s[8:11], s[0:1], 0x10
	s_load_dword s22, s[0:1], 0x50
	s_mov_b32 s12, 0
	s_waitcnt lgkmcnt(0)
	s_mul_hi_i32 s13, s11, s2
	s_cmp_lg_u64 s[12:13], 0
	s_mul_i32 s5, s11, s2
	s_cbranch_scc0 .LBB64_20
; %bb.1:
	s_add_u32 s6, s22, 0
	s_addc_u32 s7, 0, 0
	s_xor_b64 s[6:7], s[6:7], 0
	v_cvt_f32_u32_e32 v1, s6
	v_cvt_f32_u32_e32 v2, s7
	s_sub_u32 s12, 0, s6
	s_subb_u32 s18, 0, s7
	v_fmamk_f32 v1, v2, 0x4f800000, v1
	v_rcp_f32_e32 v1, v1
	s_nop 0
	v_mul_f32_e32 v1, 0x5f7ffffc, v1
	v_mul_f32_e32 v2, 0x2f800000, v1
	v_trunc_f32_e32 v2, v2
	v_fmamk_f32 v1, v2, 0xcf800000, v1
	v_cvt_u32_f32_e32 v2, v2
	v_cvt_u32_f32_e32 v1, v1
	v_readfirstlane_b32 s19, v2
	v_readfirstlane_b32 s14, v1
	s_mul_i32 s15, s12, s19
	s_mul_hi_u32 s21, s12, s14
	s_mul_i32 s20, s18, s14
	s_add_i32 s15, s21, s15
	s_add_i32 s15, s15, s20
	s_mul_i32 s23, s12, s14
	s_mul_i32 s21, s14, s15
	s_mul_hi_u32 s24, s14, s23
	s_mul_hi_u32 s20, s14, s15
	s_add_u32 s21, s24, s21
	s_addc_u32 s20, 0, s20
	s_mul_hi_u32 s25, s19, s23
	s_mul_i32 s23, s19, s23
	s_add_u32 s21, s21, s23
	s_mul_hi_u32 s24, s19, s15
	s_addc_u32 s20, s20, s25
	s_addc_u32 s21, s24, 0
	s_mul_i32 s15, s19, s15
	s_add_u32 s15, s20, s15
	s_addc_u32 s20, 0, s21
	s_add_u32 s21, s14, s15
	s_cselect_b64 s[14:15], -1, 0
	s_cmp_lg_u64 s[14:15], 0
	s_addc_u32 s19, s19, s20
	s_mul_i32 s14, s12, s19
	s_mul_hi_u32 s15, s12, s21
	s_add_i32 s14, s15, s14
	s_mul_i32 s18, s18, s21
	s_add_i32 s14, s14, s18
	s_mul_i32 s12, s12, s21
	s_mul_hi_u32 s18, s19, s12
	s_mul_i32 s20, s19, s12
	s_mul_i32 s24, s21, s14
	s_mul_hi_u32 s12, s21, s12
	s_mul_hi_u32 s23, s21, s14
	s_add_u32 s12, s12, s24
	s_addc_u32 s23, 0, s23
	s_add_u32 s12, s12, s20
	s_mul_hi_u32 s15, s19, s14
	s_addc_u32 s12, s23, s18
	s_addc_u32 s15, s15, 0
	s_mul_i32 s14, s19, s14
	s_add_u32 s12, s12, s14
	s_addc_u32 s18, 0, s15
	s_add_u32 s20, s21, s12
	s_cselect_b64 s[14:15], -1, 0
	s_cmp_lg_u64 s[14:15], 0
	s_addc_u32 s18, s19, s18
	s_ashr_i32 s14, s13, 31
	s_add_u32 s12, s5, s14
	s_mov_b32 s15, s14
	s_addc_u32 s13, s13, s14
	s_xor_b64 s[12:13], s[12:13], s[14:15]
	s_mul_i32 s21, s12, s18
	s_mul_hi_u32 s23, s12, s20
	s_mul_hi_u32 s19, s12, s18
	s_add_u32 s21, s23, s21
	s_addc_u32 s19, 0, s19
	s_mul_hi_u32 s24, s13, s20
	s_mul_i32 s20, s13, s20
	s_add_u32 s20, s21, s20
	s_mul_hi_u32 s23, s13, s18
	s_addc_u32 s19, s19, s24
	s_addc_u32 s20, s23, 0
	s_mul_i32 s18, s13, s18
	s_add_u32 s23, s19, s18
	s_addc_u32 s24, 0, s20
	s_mul_i32 s18, s6, s24
	s_mul_hi_u32 s19, s6, s23
	s_add_i32 s18, s19, s18
	s_mul_i32 s19, s7, s23
	s_add_i32 s25, s18, s19
	s_sub_i32 s20, s13, s25
	s_mul_i32 s18, s6, s23
	s_sub_u32 s12, s12, s18
	s_cselect_b64 s[18:19], -1, 0
	s_cmp_lg_u64 s[18:19], 0
	s_subb_u32 s26, s20, s7
	s_sub_u32 s27, s12, s6
	s_cselect_b64 s[20:21], -1, 0
	s_cmp_lg_u64 s[20:21], 0
	s_subb_u32 s20, s26, 0
	s_cmp_ge_u32 s20, s7
	s_cselect_b32 s21, -1, 0
	s_cmp_ge_u32 s27, s6
	s_cselect_b32 s26, -1, 0
	s_cmp_eq_u32 s20, s7
	s_cselect_b32 s20, s26, s21
	s_add_u32 s21, s23, 1
	s_addc_u32 s26, s24, 0
	s_add_u32 s27, s23, 2
	s_addc_u32 s28, s24, 0
	s_cmp_lg_u32 s20, 0
	s_cselect_b32 s20, s27, s21
	s_cselect_b32 s21, s28, s26
	s_cmp_lg_u64 s[18:19], 0
	s_subb_u32 s13, s13, s25
	s_cmp_ge_u32 s13, s7
	s_cselect_b32 s18, -1, 0
	s_cmp_ge_u32 s12, s6
	s_cselect_b32 s6, -1, 0
	s_cmp_eq_u32 s13, s7
	s_cselect_b32 s6, s6, s18
	s_cmp_lg_u32 s6, 0
	s_cselect_b32 s7, s21, s24
	s_cselect_b32 s6, s20, s23
	s_xor_b64 s[12:13], s[14:15], 0
	s_xor_b64 s[6:7], s[6:7], s[12:13]
	s_sub_u32 s6, s6, s12
	s_load_dwordx4 s[12:15], s[0:1], 0x44
	s_cbranch_execnz .LBB64_3
.LBB64_2:
	v_cvt_f32_u32_e32 v1, s22
	s_sub_i32 s6, 0, s22
	v_rcp_iflag_f32_e32 v1, v1
	s_nop 0
	v_mul_f32_e32 v1, 0x4f7ffffe, v1
	v_cvt_u32_f32_e32 v1, v1
	s_nop 0
	v_readfirstlane_b32 s7, v1
	s_mul_i32 s6, s6, s7
	s_mul_hi_u32 s6, s7, s6
	s_add_i32 s7, s7, s6
	s_mul_hi_u32 s6, s5, s7
	s_waitcnt lgkmcnt(0)
	s_mul_i32 s15, s6, s22
	s_sub_i32 s5, s5, s15
	s_add_i32 s7, s6, 1
	s_sub_i32 s15, s5, s22
	s_cmp_ge_u32 s5, s22
	s_cselect_b32 s6, s7, s6
	s_cselect_b32 s5, s15, s5
	s_add_i32 s7, s6, 1
	s_cmp_ge_u32 s5, s22
	s_cselect_b32 s6, s7, s6
.LBB64_3:
	s_add_i32 s5, s2, 1
	s_mul_hi_i32 s21, s11, s5
	s_mov_b32 s20, 0
	s_cmp_lg_u64 s[20:21], 0
	s_mul_i32 s5, s11, s5
	s_cbranch_scc0 .LBB64_21
; %bb.4:
	s_add_u32 s16, s22, 0
	s_addc_u32 s17, 0, 0
	s_xor_b64 s[18:19], s[16:17], 0
	v_cvt_f32_u32_e32 v1, s18
	v_cvt_f32_u32_e32 v2, s19
	s_sub_u32 s7, 0, s18
	s_waitcnt lgkmcnt(0)
	s_subb_u32 s15, 0, s19
	v_fmamk_f32 v1, v2, 0x4f800000, v1
	v_rcp_f32_e32 v1, v1
	s_nop 0
	v_mul_f32_e32 v1, 0x5f7ffffc, v1
	v_mul_f32_e32 v2, 0x2f800000, v1
	v_trunc_f32_e32 v2, v2
	v_fmamk_f32 v1, v2, 0xcf800000, v1
	v_cvt_u32_f32_e32 v2, v2
	v_cvt_u32_f32_e32 v1, v1
	v_readfirstlane_b32 s20, v2
	v_readfirstlane_b32 s23, v1
	s_mul_i32 s24, s7, s20
	s_mul_hi_u32 s26, s7, s23
	s_mul_i32 s25, s15, s23
	s_add_i32 s24, s26, s24
	s_add_i32 s24, s24, s25
	s_mul_i32 s27, s7, s23
	s_mul_i32 s26, s23, s24
	s_mul_hi_u32 s28, s23, s27
	s_mul_hi_u32 s25, s23, s24
	s_add_u32 s26, s28, s26
	s_addc_u32 s25, 0, s25
	s_mul_hi_u32 s29, s20, s27
	s_mul_i32 s27, s20, s27
	s_add_u32 s26, s26, s27
	s_mul_hi_u32 s28, s20, s24
	s_addc_u32 s25, s25, s29
	s_addc_u32 s26, s28, 0
	s_mul_i32 s24, s20, s24
	s_add_u32 s24, s25, s24
	s_addc_u32 s26, 0, s26
	s_add_u32 s23, s23, s24
	s_cselect_b64 s[24:25], -1, 0
	s_cmp_lg_u64 s[24:25], 0
	s_addc_u32 s20, s20, s26
	s_mul_i32 s24, s7, s20
	s_mul_hi_u32 s25, s7, s23
	s_add_i32 s24, s25, s24
	s_mul_i32 s15, s15, s23
	s_add_i32 s24, s24, s15
	s_mul_i32 s7, s7, s23
	s_mul_hi_u32 s25, s20, s7
	s_mul_i32 s26, s20, s7
	s_mul_i32 s28, s23, s24
	s_mul_hi_u32 s7, s23, s7
	s_mul_hi_u32 s27, s23, s24
	s_add_u32 s7, s7, s28
	s_addc_u32 s27, 0, s27
	s_add_u32 s7, s7, s26
	s_mul_hi_u32 s15, s20, s24
	s_addc_u32 s7, s27, s25
	s_addc_u32 s15, s15, 0
	s_mul_i32 s24, s20, s24
	s_add_u32 s7, s7, s24
	s_addc_u32 s15, 0, s15
	s_add_u32 s7, s23, s7
	s_cselect_b64 s[24:25], -1, 0
	s_cmp_lg_u64 s[24:25], 0
	s_addc_u32 s15, s20, s15
	s_ashr_i32 s24, s21, 31
	s_add_u32 s20, s5, s24
	s_mov_b32 s25, s24
	s_addc_u32 s21, s21, s24
	s_xor_b64 s[20:21], s[20:21], s[24:25]
	s_mul_i32 s26, s20, s15
	s_mul_hi_u32 s27, s20, s7
	s_mul_hi_u32 s23, s20, s15
	s_add_u32 s26, s27, s26
	s_addc_u32 s23, 0, s23
	s_mul_hi_u32 s28, s21, s7
	s_mul_i32 s7, s21, s7
	s_add_u32 s7, s26, s7
	s_mul_hi_u32 s27, s21, s15
	s_addc_u32 s7, s23, s28
	s_addc_u32 s23, s27, 0
	s_mul_i32 s15, s21, s15
	s_add_u32 s7, s7, s15
	s_addc_u32 s15, 0, s23
	s_mul_i32 s23, s18, s15
	s_mul_hi_u32 s26, s18, s7
	s_add_i32 s23, s26, s23
	s_mul_i32 s26, s19, s7
	s_add_i32 s23, s23, s26
	s_sub_i32 s28, s21, s23
	s_mul_i32 s26, s18, s7
	s_sub_u32 s20, s20, s26
	s_cselect_b64 s[26:27], -1, 0
	s_cmp_lg_u64 s[26:27], 0
	s_subb_u32 s30, s28, s19
	s_sub_u32 s31, s20, s18
	s_cselect_b64 s[28:29], -1, 0
	s_cmp_lg_u64 s[28:29], 0
	s_subb_u32 s28, s30, 0
	s_cmp_ge_u32 s28, s19
	s_cselect_b32 s29, -1, 0
	s_cmp_ge_u32 s31, s18
	s_cselect_b32 s30, -1, 0
	s_cmp_eq_u32 s28, s19
	s_cselect_b32 s28, s30, s29
	s_add_u32 s29, s7, 1
	s_addc_u32 s30, s15, 0
	s_add_u32 s31, s7, 2
	s_addc_u32 s33, s15, 0
	s_cmp_lg_u32 s28, 0
	s_cselect_b32 s28, s31, s29
	s_cselect_b32 s29, s33, s30
	s_cmp_lg_u64 s[26:27], 0
	s_subb_u32 s21, s21, s23
	s_cmp_ge_u32 s21, s19
	s_cselect_b32 s23, -1, 0
	s_cmp_ge_u32 s20, s18
	s_cselect_b32 s18, -1, 0
	s_cmp_eq_u32 s21, s19
	s_cselect_b32 s18, s18, s23
	s_cmp_lg_u32 s18, 0
	s_cselect_b32 s19, s29, s15
	s_cselect_b32 s18, s28, s7
	s_xor_b64 s[20:21], s[24:25], 0
	s_xor_b64 s[18:19], s[18:19], s[20:21]
	s_sub_u32 s18, s18, s20
	s_cbranch_execnz .LBB64_6
.LBB64_5:
	v_cvt_f32_u32_e32 v1, s22
	s_sub_i32 s7, 0, s22
	v_rcp_iflag_f32_e32 v1, v1
	s_nop 0
	v_mul_f32_e32 v1, 0x4f7ffffe, v1
	v_cvt_u32_f32_e32 v1, v1
	s_waitcnt lgkmcnt(0)
	v_readfirstlane_b32 s15, v1
	s_mul_i32 s7, s7, s15
	s_mul_hi_u32 s7, s15, s7
	s_add_i32 s15, s15, s7
	s_mul_hi_u32 s7, s5, s15
	s_mul_i32 s16, s7, s22
	s_sub_i32 s5, s5, s16
	s_add_i32 s15, s7, 1
	s_sub_i32 s16, s5, s22
	s_cmp_ge_u32 s5, s22
	s_cselect_b32 s7, s15, s7
	s_cselect_b32 s5, s16, s5
	s_add_i32 s15, s7, 1
	s_cmp_ge_u32 s5, s22
	s_cselect_b32 s18, s15, s7
.LBB64_6:
	s_cmp_eq_u32 s6, s18
	s_waitcnt lgkmcnt(0)
	s_mul_hi_u32 s5, s6, s12
	s_cselect_b64 s[16:17], -1, 0
	s_add_i32 s5, s5, s6
	s_lshr_b32 s7, s5, s13
	s_mul_i32 s5, s7, s14
	s_cmp_eq_u32 s5, s6
	s_mul_hi_u32 s5, s18, s12
	s_cselect_b64 s[20:21], -1, 0
	s_add_i32 s5, s5, s18
	s_lshr_b32 s5, s5, s13
	s_cmp_eq_u32 s7, s5
	s_mul_i32 s5, s5, s14
	s_cselect_b64 s[24:25], -1, 0
	s_cmp_lg_u32 s5, s18
	s_cselect_b64 s[18:19], -1, 0
	s_and_b64 s[18:19], s[24:25], s[18:19]
	s_or_b64 s[16:17], s[16:17], s[20:21]
	s_or_b64 s[16:17], s[16:17], s[18:19]
	s_and_b64 vcc, exec, s[16:17]
	s_cbranch_vccnz .LBB64_23
; %bb.7:
	s_load_dwordx8 s[24:31], s[0:1], 0x20
	s_load_dword s15, s[0:1], 0x40
	s_waitcnt lgkmcnt(0)
	s_mul_hi_u32 s5, s6, s24
	s_add_i32 s5, s5, s6
	s_lshr_b32 s5, s5, s25
	s_mul_i32 s16, s5, s26
	s_sub_i32 s16, s6, s16
	s_mul_hi_u32 s17, s16, s27
	s_add_i32 s17, s16, s17
	s_lshr_b32 s21, s17, s28
	s_mul_i32 s17, s21, s29
	s_sub_i32 s16, s16, s17
	s_mul_hi_u32 s17, s16, s30
	s_add_i32 s17, s16, s17
	s_lshr_b32 s20, s17, s31
	s_mul_i32 s15, s20, s15
	s_sub_i32 s15, s16, s15
	s_mul_hi_u32 s16, s15, s12
	s_add_i32 s15, s15, s16
	s_lshr_b32 s23, s15, s13
	s_lshl_b32 s15, s23, 3
	s_add_i32 s15, s15, s3
	s_cmp_lt_i32 s15, s8
	s_cselect_b64 s[16:17], -1, 0
	s_add_i32 s15, s20, s4
	s_cmp_lt_i32 s15, s10
	s_cselect_b64 s[18:19], -1, 0
	s_and_b64 s[16:17], s[16:17], s[18:19]
	s_andn2_b64 vcc, exec, s[16:17]
	s_cbranch_vccnz .LBB64_23
; %bb.8:
	s_load_dwordx4 s[16:19], s[0:1], 0x0
	s_mov_b32 s0, 0
	s_lshl_b32 s24, s22, 5
	s_mov_b32 s25, s0
	s_add_i32 s15, s3, s4
	s_waitcnt lgkmcnt(0)
	v_mov_b32_e32 v2, s16
	v_mov_b32_e32 v3, s17
	s_lshl_b64 s[16:17], s[24:25], 2
	s_add_u32 s16, s18, s16
	s_mul_i32 s1, s5, s8
	s_addc_u32 s17, s19, s17
	s_add_i32 s1, s1, s3
	s_mul_i32 s1, s1, s9
	s_mul_i32 s21, s21, s10
	s_add_i32 s1, s1, s4
	s_add_i32 s1, s1, s21
	s_mul_i32 s5, s9, s23
	s_add_i32 s1, s1, s20
	s_lshl_b32 s5, s5, 10
	s_lshl_b32 s1, s1, 7
	s_add_i32 s5, s5, s1
	v_or_b32_e32 v4, s5, v0
	v_ashrrev_i32_e32 v5, 31, v4
	v_lshl_add_u64 v[2:3], v[4:5], 2, v[2:3]
	global_load_dword v1, v[2:3], off
	v_cvt_f32_u32_e32 v4, s22
	s_lshl_b32 s1, s2, 3
	s_add_i32 s4, s1, s15
	s_ashr_i32 s5, s4, 31
	s_lshl_b64 s[4:5], s[4:5], 3
	v_rcp_iflag_f32_e32 v4, v4
	s_add_u32 s4, s18, s4
	s_addc_u32 s5, s19, s5
	s_load_dwordx2 s[4:5], s[4:5], 0x0
	v_mul_f32_e32 v4, 0x4f7ffffe, v4
	v_cvt_u32_f32_e32 v7, v4
	s_add_i32 s24, s2, -1
	v_lshl_or_b32 v6, s15, 7, v0
	s_waitcnt lgkmcnt(0)
	v_mov_b32_e32 v0, s5
	v_mov_b32_e32 v9, s4
	s_mov_b32 s10, 0x3fb8aa3b
	s_mov_b32 s20, 0xc2ce8ed0
	;; [unrolled: 1-line block ×4, first 2 shown]
	v_mov_b32_e32 v8, 0x7f800000
	s_mul_hi_i32 s1, s24, s11
	s_cmp_lg_u64 s[0:1], 0
	s_mul_i32 s8, s24, s11
	s_cbranch_scc0 .LBB64_19
.LBB64_9:
	s_add_u32 s2, s22, 0
	s_addc_u32 s3, 0, 0
	s_xor_b64 s[2:3], s[2:3], 0
	v_cvt_f32_u32_e32 v4, s2
	v_cvt_f32_u32_e32 v5, s3
	s_sub_u32 s9, 0, s2
	s_subb_u32 s25, 0, s3
	v_fmac_f32_e32 v4, 0x4f800000, v5
	v_rcp_f32_e32 v4, v4
	s_nop 0
	v_mul_f32_e32 v4, 0x5f7ffffc, v4
	v_mul_f32_e32 v5, 0x2f800000, v4
	v_trunc_f32_e32 v5, v5
	v_fmac_f32_e32 v4, 0xcf800000, v5
	v_cvt_u32_f32_e32 v5, v5
	v_cvt_u32_f32_e32 v4, v4
	v_readfirstlane_b32 s26, v5
	v_readfirstlane_b32 s4, v4
	s_mul_i32 s5, s9, s26
	s_mul_hi_u32 s28, s9, s4
	s_mul_i32 s27, s25, s4
	s_add_i32 s5, s28, s5
	s_mul_i32 s29, s9, s4
	s_add_i32 s5, s5, s27
	s_mul_i32 s28, s4, s5
	s_mul_hi_u32 s30, s4, s29
	s_mul_hi_u32 s27, s4, s5
	s_add_u32 s28, s30, s28
	s_addc_u32 s27, 0, s27
	s_mul_hi_u32 s31, s26, s29
	s_mul_i32 s29, s26, s29
	s_add_u32 s28, s28, s29
	s_mul_hi_u32 s30, s26, s5
	s_addc_u32 s27, s27, s31
	s_addc_u32 s28, s30, 0
	s_mul_i32 s5, s26, s5
	s_add_u32 s5, s27, s5
	s_addc_u32 s27, 0, s28
	s_add_u32 s28, s4, s5
	s_cselect_b64 s[4:5], -1, 0
	s_cmp_lg_u64 s[4:5], 0
	s_addc_u32 s26, s26, s27
	s_mul_i32 s4, s9, s26
	s_mul_hi_u32 s5, s9, s28
	s_add_i32 s4, s5, s4
	s_mul_i32 s25, s25, s28
	s_add_i32 s4, s4, s25
	s_mul_i32 s9, s9, s28
	s_mul_hi_u32 s25, s26, s9
	s_mul_i32 s27, s26, s9
	s_mul_i32 s30, s28, s4
	s_mul_hi_u32 s9, s28, s9
	s_mul_hi_u32 s29, s28, s4
	s_add_u32 s9, s9, s30
	s_addc_u32 s29, 0, s29
	s_add_u32 s9, s9, s27
	s_mul_hi_u32 s5, s26, s4
	s_addc_u32 s9, s29, s25
	s_addc_u32 s5, s5, 0
	s_mul_i32 s4, s26, s4
	s_add_u32 s4, s9, s4
	s_addc_u32 s9, 0, s5
	s_add_u32 s25, s28, s4
	s_cselect_b64 s[4:5], -1, 0
	s_cmp_lg_u64 s[4:5], 0
	s_addc_u32 s9, s26, s9
	s_ashr_i32 s4, s1, 31
	s_add_u32 s26, s8, s4
	s_mov_b32 s5, s4
	s_addc_u32 s27, s1, s4
	s_xor_b64 s[26:27], s[26:27], s[4:5]
	s_mul_i32 s28, s26, s9
	s_mul_hi_u32 s29, s26, s25
	s_mul_hi_u32 s1, s26, s9
	s_add_u32 s28, s29, s28
	s_addc_u32 s1, 0, s1
	s_mul_hi_u32 s30, s27, s25
	s_mul_i32 s25, s27, s25
	s_add_u32 s25, s28, s25
	s_mul_hi_u32 s29, s27, s9
	s_addc_u32 s1, s1, s30
	s_addc_u32 s25, s29, 0
	s_mul_i32 s9, s27, s9
	s_add_u32 s1, s1, s9
	s_addc_u32 s9, 0, s25
	s_mul_i32 s25, s2, s9
	s_mul_hi_u32 s28, s2, s1
	s_add_i32 s25, s28, s25
	s_mul_i32 s28, s3, s1
	s_add_i32 s25, s25, s28
	s_sub_i32 s30, s27, s25
	s_mul_i32 s28, s2, s1
	s_sub_u32 s26, s26, s28
	s_cselect_b64 s[28:29], -1, 0
	s_cmp_lg_u64 s[28:29], 0
	s_subb_u32 s33, s30, s3
	s_sub_u32 s34, s26, s2
	s_cselect_b64 s[30:31], -1, 0
	s_cmp_lg_u64 s[30:31], 0
	s_subb_u32 s30, s33, 0
	s_cmp_ge_u32 s30, s3
	s_cselect_b32 s31, -1, 0
	s_cmp_ge_u32 s34, s2
	s_cselect_b32 s33, -1, 0
	s_cmp_eq_u32 s30, s3
	s_cselect_b32 s30, s33, s31
	s_add_u32 s31, s1, 1
	s_addc_u32 s33, s9, 0
	s_add_u32 s34, s1, 2
	s_addc_u32 s35, s9, 0
	s_cmp_lg_u32 s30, 0
	s_cselect_b32 s30, s34, s31
	s_cselect_b32 s31, s35, s33
	s_cmp_lg_u64 s[28:29], 0
	s_subb_u32 s25, s27, s25
	s_cmp_ge_u32 s25, s3
	s_cselect_b32 s27, -1, 0
	s_cmp_ge_u32 s26, s2
	s_cselect_b32 s2, -1, 0
	s_cmp_eq_u32 s25, s3
	s_cselect_b32 s2, s2, s27
	s_cmp_lg_u32 s2, 0
	s_cselect_b32 s3, s31, s9
	s_cselect_b32 s2, s30, s1
	s_xor_b64 s[4:5], s[4:5], 0
	s_xor_b64 s[2:3], s[2:3], s[4:5]
	s_sub_u32 s4, s2, s4
	s_cbranch_execnz .LBB64_11
.LBB64_10:
	s_sub_i32 s1, 0, s22
	v_readfirstlane_b32 s2, v7
	s_mul_i32 s1, s1, s2
	s_mul_hi_u32 s1, s2, s1
	s_add_i32 s2, s2, s1
	s_mul_hi_u32 s1, s8, s2
	s_mul_i32 s3, s1, s22
	s_sub_i32 s3, s8, s3
	s_add_i32 s2, s1, 1
	s_sub_i32 s4, s3, s22
	s_cmp_ge_u32 s3, s22
	s_cselect_b32 s1, s2, s1
	s_cselect_b32 s3, s4, s3
	s_add_i32 s2, s1, 1
	s_cmp_ge_u32 s3, s22
	s_cselect_b32 s4, s2, s1
.LBB64_11:
	s_cmp_lg_u32 s6, s4
	s_cbranch_scc0 .LBB64_15
; %bb.12:
	s_add_i32 s1, s24, s22
	s_lshl_b32 s1, s1, 3
	s_add_i32 s2, s1, s15
	s_mov_b32 s3, s0
	s_lshl_b64 s[2:3], s[2:3], 3
	s_add_u32 s8, s18, s2
	s_mul_hi_u32 s1, s4, s12
	s_addc_u32 s9, s19, s3
	s_add_i32 s1, s1, s4
	s_lshr_b32 s1, s1, s13
	s_mul_i32 s2, s1, s14
	s_cmp_eq_u32 s2, s4
	s_cselect_b64 s[2:3], -1, 0
	s_cmp_lt_u32 s1, s7
	s_cselect_b64 s[26:27], -1, 0
	s_or_b64 s[26:27], s[26:27], s[2:3]
	s_mov_b64 s[2:3], -1
	s_and_b64 vcc, exec, s[26:27]
	s_mov_b32 s1, s24
	s_mov_b32 s25, s6
	s_cbranch_vccnz .LBB64_14
; %bb.13:
	s_add_i32 s1, s24, -1
	s_mov_b64 s[2:3], 0
	s_mov_b32 s25, s4
.LBB64_14:
	v_lshl_add_u32 v4, s24, 10, v6
	v_ashrrev_i32_e32 v5, 31, v4
	v_lshl_add_u64 v[4:5], v[4:5], 2, s[16:17]
	global_load_dword v5, v[4:5], off
	s_load_dwordx2 s[4:5], s[8:9], 0x0
	v_max_f32_e32 v4, v9, v9
	s_waitcnt lgkmcnt(0)
	v_max_f32_e64 v10, s4, s4
	v_max_f32_e32 v10, v4, v10
	v_sub_f32_e32 v11, v9, v10
	v_sub_f32_e32 v13, s4, v10
	v_mul_f32_e32 v4, 0x3fb8aa3b, v11
	v_mul_f32_e32 v12, 0x3fb8aa3b, v13
	v_fma_f32 v14, v11, s10, -v4
	v_rndne_f32_e32 v15, v4
	v_fma_f32 v16, v13, s10, -v12
	v_rndne_f32_e32 v17, v12
	v_fmac_f32_e32 v14, 0x32a5705f, v11
	v_sub_f32_e32 v4, v4, v15
	v_fmac_f32_e32 v16, 0x32a5705f, v13
	v_sub_f32_e32 v12, v12, v17
	v_add_f32_e32 v4, v4, v14
	v_cvt_i32_f32_e32 v15, v15
	v_add_f32_e32 v12, v12, v16
	v_exp_f32_e32 v14, v4
	v_cvt_i32_f32_e32 v17, v17
	v_exp_f32_e32 v12, v12
	v_cmp_ngt_f32_e32 vcc, s20, v11
	v_ldexp_f32 v14, v14, v15
	v_mov_b32_e32 v4, s5
	v_ldexp_f32 v12, v12, v17
	v_cndmask_b32_e32 v14, 0, v14, vcc
	v_cmp_ngt_f32_e32 vcc, s20, v13
	s_nop 1
	v_cndmask_b32_e32 v12, 0, v12, vcc
	v_cmp_nlt_f32_e32 vcc, s21, v11
	s_nop 1
	v_cndmask_b32_e32 v14, v8, v14, vcc
	v_cmp_nlt_f32_e32 vcc, s21, v13
	s_nop 1
	v_cndmask_b32_e32 v15, v8, v12, vcc
	v_cmp_le_f32_e32 vcc, s23, v11
	s_nop 1
	v_cndmask_b32_e32 v12, 0, v14, vcc
	v_cmp_le_f32_e32 vcc, s23, v13
	s_nop 1
	v_cndmask_b32_e32 v14, 0, v15, vcc
	s_waitcnt vmcnt(0)
	v_pk_mul_f32 v[4:5], v[4:5], v[14:15] op_sel_hi:[1,0]
	s_nop 0
	v_pk_fma_f32 v[4:5], v[0:1], v[12:13], v[4:5] op_sel_hi:[1,0,1]
	s_cbranch_execz .LBB64_16
	s_branch .LBB64_17
.LBB64_15:
                                        ; implicit-def: $vgpr4_vgpr5
                                        ; implicit-def: $sgpr2_sgpr3
                                        ; implicit-def: $vgpr10
                                        ; implicit-def: $sgpr1
                                        ; implicit-def: $sgpr25
.LBB64_16:
	s_add_i32 s1, s24, -1
	s_mov_b64 s[2:3], 0
	s_mov_b32 s25, s6
	v_mov_b32_e32 v10, v9
	s_waitcnt vmcnt(0)
	v_mov_b64_e32 v[4:5], v[0:1]
.LBB64_17:
	s_andn2_b64 vcc, exec, s[2:3]
	s_cbranch_vccz .LBB64_22
; %bb.18:
	s_mov_b32 s6, s25
	s_mov_b32 s24, s1
	v_mov_b32_e32 v9, v10
	s_waitcnt vmcnt(0)
	v_mov_b64_e32 v[0:1], v[4:5]
	s_mul_hi_i32 s1, s24, s11
	s_cmp_lg_u64 s[0:1], 0
	s_mul_i32 s8, s24, s11
	s_cbranch_scc1 .LBB64_9
.LBB64_19:
                                        ; implicit-def: $sgpr4_sgpr5
	s_branch .LBB64_10
.LBB64_20:
                                        ; implicit-def: $sgpr6_sgpr7
	s_load_dwordx4 s[12:15], s[0:1], 0x44
	s_branch .LBB64_2
.LBB64_21:
                                        ; implicit-def: $sgpr18_sgpr19
	s_branch .LBB64_5
.LBB64_22:
	v_div_scale_f32 v0, s[0:1], v4, v4, v5
	s_waitcnt vmcnt(0)
	v_rcp_f32_e32 v1, v0
	v_div_scale_f32 v6, vcc, v5, v4, v5
	v_fma_f32 v7, -v0, v1, 1.0
	v_fmac_f32_e32 v1, v7, v1
	v_mul_f32_e32 v7, v6, v1
	v_fma_f32 v8, -v0, v7, v6
	v_fmac_f32_e32 v7, v8, v1
	v_fma_f32 v0, -v0, v7, v6
	v_div_fmas_f32 v0, v0, v1, v7
	v_div_fixup_f32 v0, v0, v4, v5
	global_store_dword v[2:3], v0, off
.LBB64_23:
	s_endpgm
	.section	.rodata,"a",@progbits
	.p2align	6, 0x0
	.amdhsa_kernel _ZL33flash_attn_stream_k_fixup_generalILi128ELi8ELi1EEvPfPK15HIP_vector_typeIfLj2EEiiiiS1_IjLj3EES5_S5_S5_
		.amdhsa_group_segment_fixed_size 0
		.amdhsa_private_segment_fixed_size 0
		.amdhsa_kernarg_size 336
		.amdhsa_user_sgpr_count 2
		.amdhsa_user_sgpr_dispatch_ptr 0
		.amdhsa_user_sgpr_queue_ptr 0
		.amdhsa_user_sgpr_kernarg_segment_ptr 1
		.amdhsa_user_sgpr_dispatch_id 0
		.amdhsa_user_sgpr_kernarg_preload_length 0
		.amdhsa_user_sgpr_kernarg_preload_offset 0
		.amdhsa_user_sgpr_private_segment_size 0
		.amdhsa_uses_dynamic_stack 0
		.amdhsa_enable_private_segment 0
		.amdhsa_system_sgpr_workgroup_id_x 1
		.amdhsa_system_sgpr_workgroup_id_y 1
		.amdhsa_system_sgpr_workgroup_id_z 1
		.amdhsa_system_sgpr_workgroup_info 0
		.amdhsa_system_vgpr_workitem_id 0
		.amdhsa_next_free_vgpr 18
		.amdhsa_next_free_sgpr 36
		.amdhsa_accum_offset 20
		.amdhsa_reserve_vcc 1
		.amdhsa_float_round_mode_32 0
		.amdhsa_float_round_mode_16_64 0
		.amdhsa_float_denorm_mode_32 3
		.amdhsa_float_denorm_mode_16_64 3
		.amdhsa_dx10_clamp 1
		.amdhsa_ieee_mode 1
		.amdhsa_fp16_overflow 0
		.amdhsa_tg_split 0
		.amdhsa_exception_fp_ieee_invalid_op 0
		.amdhsa_exception_fp_denorm_src 0
		.amdhsa_exception_fp_ieee_div_zero 0
		.amdhsa_exception_fp_ieee_overflow 0
		.amdhsa_exception_fp_ieee_underflow 0
		.amdhsa_exception_fp_ieee_inexact 0
		.amdhsa_exception_int_div_zero 0
	.end_amdhsa_kernel
	.section	.text._ZL33flash_attn_stream_k_fixup_generalILi128ELi8ELi1EEvPfPK15HIP_vector_typeIfLj2EEiiiiS1_IjLj3EES5_S5_S5_,"axG",@progbits,_ZL33flash_attn_stream_k_fixup_generalILi128ELi8ELi1EEvPfPK15HIP_vector_typeIfLj2EEiiiiS1_IjLj3EES5_S5_S5_,comdat
.Lfunc_end64:
	.size	_ZL33flash_attn_stream_k_fixup_generalILi128ELi8ELi1EEvPfPK15HIP_vector_typeIfLj2EEiiiiS1_IjLj3EES5_S5_S5_, .Lfunc_end64-_ZL33flash_attn_stream_k_fixup_generalILi128ELi8ELi1EEvPfPK15HIP_vector_typeIfLj2EEiiiiS1_IjLj3EES5_S5_S5_
                                        ; -- End function
	.set _ZL33flash_attn_stream_k_fixup_generalILi128ELi8ELi1EEvPfPK15HIP_vector_typeIfLj2EEiiiiS1_IjLj3EES5_S5_S5_.num_vgpr, 18
	.set _ZL33flash_attn_stream_k_fixup_generalILi128ELi8ELi1EEvPfPK15HIP_vector_typeIfLj2EEiiiiS1_IjLj3EES5_S5_S5_.num_agpr, 0
	.set _ZL33flash_attn_stream_k_fixup_generalILi128ELi8ELi1EEvPfPK15HIP_vector_typeIfLj2EEiiiiS1_IjLj3EES5_S5_S5_.numbered_sgpr, 36
	.set _ZL33flash_attn_stream_k_fixup_generalILi128ELi8ELi1EEvPfPK15HIP_vector_typeIfLj2EEiiiiS1_IjLj3EES5_S5_S5_.num_named_barrier, 0
	.set _ZL33flash_attn_stream_k_fixup_generalILi128ELi8ELi1EEvPfPK15HIP_vector_typeIfLj2EEiiiiS1_IjLj3EES5_S5_S5_.private_seg_size, 0
	.set _ZL33flash_attn_stream_k_fixup_generalILi128ELi8ELi1EEvPfPK15HIP_vector_typeIfLj2EEiiiiS1_IjLj3EES5_S5_S5_.uses_vcc, 1
	.set _ZL33flash_attn_stream_k_fixup_generalILi128ELi8ELi1EEvPfPK15HIP_vector_typeIfLj2EEiiiiS1_IjLj3EES5_S5_S5_.uses_flat_scratch, 0
	.set _ZL33flash_attn_stream_k_fixup_generalILi128ELi8ELi1EEvPfPK15HIP_vector_typeIfLj2EEiiiiS1_IjLj3EES5_S5_S5_.has_dyn_sized_stack, 0
	.set _ZL33flash_attn_stream_k_fixup_generalILi128ELi8ELi1EEvPfPK15HIP_vector_typeIfLj2EEiiiiS1_IjLj3EES5_S5_S5_.has_recursion, 0
	.set _ZL33flash_attn_stream_k_fixup_generalILi128ELi8ELi1EEvPfPK15HIP_vector_typeIfLj2EEiiiiS1_IjLj3EES5_S5_S5_.has_indirect_call, 0
	.section	.AMDGPU.csdata,"",@progbits
; Kernel info:
; codeLenInByte = 2932
; TotalNumSgprs: 42
; NumVgprs: 18
; NumAgprs: 0
; TotalNumVgprs: 18
; ScratchSize: 0
; MemoryBound: 0
; FloatMode: 240
; IeeeMode: 1
; LDSByteSize: 0 bytes/workgroup (compile time only)
; SGPRBlocks: 5
; VGPRBlocks: 2
; NumSGPRsForWavesPerEU: 42
; NumVGPRsForWavesPerEU: 18
; AccumOffset: 20
; Occupancy: 8
; WaveLimiterHint : 0
; COMPUTE_PGM_RSRC2:SCRATCH_EN: 0
; COMPUTE_PGM_RSRC2:USER_SGPR: 2
; COMPUTE_PGM_RSRC2:TRAP_HANDLER: 0
; COMPUTE_PGM_RSRC2:TGID_X_EN: 1
; COMPUTE_PGM_RSRC2:TGID_Y_EN: 1
; COMPUTE_PGM_RSRC2:TGID_Z_EN: 1
; COMPUTE_PGM_RSRC2:TIDIG_COMP_CNT: 0
; COMPUTE_PGM_RSRC3_GFX90A:ACCUM_OFFSET: 4
; COMPUTE_PGM_RSRC3_GFX90A:TG_SPLIT: 0
	.section	.text._ZL15flash_attn_tileILi128ELi128ELi4ELi1ELb0EEvPKcS1_S1_S1_S1_PKiPfP15HIP_vector_typeIfLj2EEffffjfiS5_IjLj3EEiiiiiiiiiiiliiliiiiil,"axG",@progbits,_ZL15flash_attn_tileILi128ELi128ELi4ELi1ELb0EEvPKcS1_S1_S1_S1_PKiPfP15HIP_vector_typeIfLj2EEffffjfiS5_IjLj3EEiiiiiiiiiiiliiliiiiil,comdat
	.globl	_ZL15flash_attn_tileILi128ELi128ELi4ELi1ELb0EEvPKcS1_S1_S1_S1_PKiPfP15HIP_vector_typeIfLj2EEffffjfiS5_IjLj3EEiiiiiiiiiiiliiliiiiil ; -- Begin function _ZL15flash_attn_tileILi128ELi128ELi4ELi1ELb0EEvPKcS1_S1_S1_S1_PKiPfP15HIP_vector_typeIfLj2EEffffjfiS5_IjLj3EEiiiiiiiiiiiliiliiiiil
	.p2align	8
	.type	_ZL15flash_attn_tileILi128ELi128ELi4ELi1ELb0EEvPKcS1_S1_S1_S1_PKiPfP15HIP_vector_typeIfLj2EEffffjfiS5_IjLj3EEiiiiiiiiiiiliiliiiiil,@function
_ZL15flash_attn_tileILi128ELi128ELi4ELi1ELb0EEvPKcS1_S1_S1_S1_PKiPfP15HIP_vector_typeIfLj2EEffffjfiS5_IjLj3EEiiiiiiiiiiiliiliiiiil: ; @_ZL15flash_attn_tileILi128ELi128ELi4ELi1ELb0EEvPKcS1_S1_S1_S1_PKiPfP15HIP_vector_typeIfLj2EEffffjfiS5_IjLj3EEiiiiiiiiiiiliiliiiiil
; %bb.0:
	s_load_dwordx4 s[36:39], s[0:1], 0x5c
	s_load_dwordx2 s[12:13], s[0:1], 0x80
	s_load_dwordx16 s[16:31], s[0:1], 0x0
	s_load_dwordx2 s[14:15], s[0:1], 0xb8
	s_mov_b64 s[40:41], 0
	s_waitcnt lgkmcnt(0)
	v_cvt_f32_u32_e32 v1, s39
	s_sub_i32 s5, 0, s39
	v_rcp_iflag_f32_e32 v1, v1
	s_nop 0
	v_mul_f32_e32 v1, 0x4f7ffffe, v1
	v_cvt_u32_f32_e32 v1, v1
	s_nop 0
	v_readfirstlane_b32 s6, v1
	s_mul_i32 s5, s5, s6
	s_mul_hi_u32 s5, s6, s5
	s_add_i32 s6, s6, s5
	s_mul_hi_u32 s5, s4, s6
	s_mul_i32 s6, s5, s39
	s_sub_i32 s6, s4, s6
	s_add_i32 s7, s5, 1
	s_sub_i32 s8, s6, s39
	s_cmp_ge_u32 s6, s39
	s_cselect_b32 s5, s7, s5
	s_cselect_b32 s6, s8, s6
	s_add_i32 s7, s5, 1
	s_cmp_ge_u32 s6, s39
	s_cselect_b32 s33, s7, s5
	s_abs_i32 s5, s13
	v_cvt_f32_u32_e32 v1, s5
	s_sub_i32 s8, 0, s5
	s_abs_i32 s7, s39
	s_xor_b32 s6, s39, s13
	v_rcp_iflag_f32_e32 v1, v1
	s_ashr_i32 s6, s6, 31
	v_mul_f32_e32 v1, 0x4f7ffffe, v1
	v_cvt_u32_f32_e32 v1, v1
	v_mul_lo_u32 v2, s8, v1
	v_mul_hi_u32 v2, v1, v2
	v_add_u32_e32 v1, v1, v2
	v_mul_hi_u32 v1, s7, v1
	v_mul_lo_u32 v2, v1, s5
	v_sub_u32_e32 v2, s7, v2
	v_add_u32_e32 v3, 1, v1
	v_subrev_u32_e32 v4, s5, v2
	v_cmp_le_u32_e32 vcc, s5, v2
	s_nop 1
	v_cndmask_b32_e32 v1, v1, v3, vcc
	v_cndmask_b32_e32 v2, v2, v4, vcc
	v_add_u32_e32 v3, 1, v1
	v_cmp_le_u32_e32 vcc, s5, v2
	s_mul_i32 s5, s33, s39
	s_sub_i32 s34, s4, s5
	v_cndmask_b32_e32 v1, v1, v3, vcc
	v_xor_b32_e32 v1, s6, v1
	v_subrev_u32_e32 v3, s6, v1
	v_sub_u32_e32 v1, 0, v3
	v_max_i32_e32 v1, v3, v1
	v_cvt_f32_u32_e32 v2, v1
	v_sub_u32_e32 v4, 0, v1
	s_abs_i32 s13, s34
	s_cmp_eq_u64 s[22:23], 0
	v_rcp_iflag_f32_e32 v2, v2
	s_nop 0
	v_mul_f32_e32 v2, 0x4f7ffffe, v2
	v_cvt_u32_f32_e32 v2, v2
	v_mul_lo_u32 v4, v4, v2
	v_mul_hi_u32 v4, v2, v4
	v_add_u32_e32 v2, v2, v4
	s_cbranch_scc1 .LBB65_2
; %bb.1:
	s_abs_i32 s6, s14
	v_cvt_f32_u32_e32 v4, s6
	s_sub_i32 s9, 0, s6
	s_abs_i32 s8, s33
	s_ashr_i32 s7, s33, 31
	v_rcp_iflag_f32_e32 v4, v4
	s_load_dwordx2 s[4:5], s[0:1], 0xc8
	v_mul_f32_e32 v4, 0x4f7ffffe, v4
	v_cvt_u32_f32_e32 v4, v4
	s_nop 0
	v_readfirstlane_b32 s10, v4
	s_mul_i32 s9, s9, s10
	s_mul_hi_u32 s9, s10, s9
	s_add_i32 s10, s10, s9
	s_mul_hi_u32 s9, s8, s10
	s_mul_i32 s9, s9, s6
	s_sub_i32 s8, s8, s9
	s_sub_i32 s9, s8, s6
	s_cmp_ge_u32 s8, s6
	s_cselect_b32 s8, s9, s8
	s_sub_i32 s9, s8, s6
	s_cmp_ge_u32 s8, s6
	s_cselect_b32 s6, s9, s8
	s_xor_b32 s6, s6, s7
	s_sub_i32 s6, s6, s7
	s_ashr_i32 s7, s6, 31
	s_waitcnt lgkmcnt(0)
	s_mul_hi_u32 s8, s4, s6
	s_mul_i32 s7, s4, s7
	s_mul_i32 s5, s5, s6
	s_add_i32 s7, s8, s7
	s_add_i32 s7, s7, s5
	s_mul_i32 s4, s4, s6
	s_add_u32 s40, s22, s4
	s_addc_u32 s41, s23, s7
.LBB65_2:
	s_load_dwordx4 s[8:11], s[0:1], 0x40
	s_load_dword s4, s[0:1], 0x50
	v_mul_hi_u32 v2, s13, v2
	v_mov_b32_e32 v51, 1.0
	s_waitcnt lgkmcnt(0)
	v_cmp_le_f32_e64 s[6:7], s9, 0
	s_and_b64 vcc, exec, s[6:7]
	s_cbranch_vccnz .LBB65_4
; %bb.3:
	v_mov_b32_e32 v4, s4
	v_sub_co_u32_e32 v4, vcc, s34, v4
	v_mov_b32_e32 v5, s11
	v_mov_b32_e32 v6, s10
	s_add_i32 s4, s34, 1
	v_lshlrev_b32_e32 v4, 1, v4
	v_cndmask_b32_e32 v5, v5, v6, vcc
	v_or_b32_e32 v4, 1, v4
	v_mov_b32_e32 v6, s4
	v_cndmask_b32_e32 v4, v4, v6, vcc
	v_cvt_f32_i32_e32 v4, v4
	v_cmp_neq_f32_e32 vcc, 1.0, v5
	s_mov_b32 s4, 0x3f2aaaab
	s_movk_i32 s6, 0x204
	v_cndmask_b32_e32 v20, 1.0, v4, vcc
	v_cmp_neq_f32_e32 vcc, 0, v20
	s_mov_b32 s5, 0x42b17218
	s_mov_b32 s7, 0x3fb8aa3b
	v_cndmask_b32_e32 v21, 1.0, v5, vcc
	v_frexp_mant_f32_e64 v4, |v21|
	v_cmp_gt_f32_e32 vcc, s4, v4
	s_mov_b32 s4, 0x3f317218
	s_brev_b32 s14, -2
	v_cndmask_b32_e64 v5, 1.0, 2.0, vcc
	v_mul_f32_e32 v4, v4, v5
	v_add_f32_e32 v7, 1.0, v4
	v_rcp_f32_e32 v12, v7
	v_add_f32_e32 v5, -1.0, v7
	v_sub_f32_e32 v9, v4, v5
	v_add_f32_e32 v5, -1.0, v4
	v_mul_f32_e32 v13, v5, v12
	v_mul_f32_e32 v6, v7, v13
	v_fma_f32 v8, v13, v7, -v6
	v_fmac_f32_e32 v8, v13, v9
	v_add_f32_e32 v4, v6, v8
	v_sub_f32_e32 v7, v5, v4
	v_pk_add_f32 v[10:11], v[4:5], v[6:7] neg_lo:[0,1] neg_hi:[0,1]
	v_mov_b32_e32 v9, v4
	v_pk_add_f32 v[4:5], v[10:11], v[8:9] neg_lo:[0,1] neg_hi:[0,1]
	v_mov_b32_e32 v8, 0x3e91f4c4
	v_add_f32_e32 v4, v4, v5
	v_add_f32_e32 v4, v7, v4
	v_mul_f32_e32 v5, v12, v4
	v_add_f32_e32 v4, v13, v5
	v_sub_f32_e32 v6, v4, v13
	v_sub_f32_e32 v14, v5, v6
	v_mul_f32_e32 v5, v4, v4
	v_fma_f32 v7, v4, v4, -v5
	v_add_f32_e32 v6, v14, v14
	v_fmac_f32_e32 v7, v4, v6
	v_add_f32_e32 v6, v5, v7
	v_fmac_f32_e32 v8, 0x3e76c4e1, v6
	v_fmaak_f32 v8, v6, v8, 0x3ecccdef
	v_sub_f32_e32 v5, v6, v5
	v_sub_f32_e32 v15, v7, v5
	v_mul_f32_e32 v5, v6, v8
	v_fma_f32 v7, v6, v8, -v5
	v_fmac_f32_e32 v7, v15, v8
	v_add_f32_e32 v8, v5, v7
	v_add_f32_e32 v9, 0x3f2aaaaa, v8
	v_sub_f32_e32 v5, v8, v5
	v_sub_f32_e32 v5, v7, v5
	v_add_f32_e32 v7, 0xbf2aaaaa, v9
	v_add_f32_e32 v5, 0x31739010, v5
	v_sub_f32_e32 v7, v8, v7
	v_pk_mul_f32 v[10:11], v[4:5], v[6:7]
	v_pk_add_f32 v[12:13], v[4:5], v[6:7]
	v_fma_f32 v8, v6, v4, -v10
	v_fmac_f32_e32 v8, v6, v14
	v_mov_b32_e32 v11, v13
	v_fmac_f32_e32 v8, v15, v4
	v_pk_add_f32 v[6:7], v[10:11], v[8:9]
	v_ldexp_f32 v16, v14, 1
	v_sub_f32_e32 v5, v6, v10
	v_sub_f32_e32 v5, v8, v5
	;; [unrolled: 1-line block ×3, first 2 shown]
	v_add_f32_e32 v11, v13, v8
	v_pk_mul_f32 v[8:9], v[6:7], v[6:7] op_sel:[0,1] op_sel_hi:[1,0]
	v_cvt_f64_f32_e64 v[12:13], |v21|
	v_frexp_exp_i32_f64_e32 v9, v[12:13]
	v_subbrev_co_u32_e32 v9, vcc, 0, v9, vcc
	v_cvt_f32_i32_e32 v9, v9
	v_fma_f32 v10, v6, v7, -v8
	v_fmac_f32_e32 v10, v6, v11
	v_fmac_f32_e32 v10, v5, v7
	v_mul_f32_e32 v6, 0x3f317218, v9
	v_fma_f32 v5, v9, s4, -v6
	v_fmamk_f32 v12, v9, 0xb102e308, v5
	v_ldexp_f32 v13, v4, 1
	v_add_f32_e32 v7, v8, v10
	v_pk_add_f32 v[4:5], v[6:7], v[12:13]
	v_mov_b32_e32 v14, v7
	v_mov_b32_e32 v15, v5
	;; [unrolled: 1-line block ×3, first 2 shown]
	v_pk_add_f32 v[8:9], v[14:15], v[8:9] neg_lo:[0,1] neg_hi:[0,1]
	v_mov_b32_e32 v11, v7
	v_pk_add_f32 v[8:9], v[10:11], v[8:9] neg_lo:[0,1] neg_hi:[0,1]
	v_mov_b32_e32 v13, v4
	v_add_f32_e32 v7, v16, v8
	v_add_f32_e32 v7, v7, v9
	v_pk_add_f32 v[8:9], v[4:5], v[6:7] neg_lo:[0,1] neg_hi:[0,1]
	v_pk_add_f32 v[10:11], v[4:5], v[6:7]
	v_mov_b32_e32 v18, v5
	v_mov_b32_e32 v9, v11
	v_pk_add_f32 v[14:15], v[12:13], v[8:9] neg_lo:[0,1] neg_hi:[0,1]
	v_pk_add_f32 v[8:9], v[12:13], v[8:9]
	v_mov_b32_e32 v6, v7
	v_pk_add_f32 v[12:13], v[8:9], v[4:5] op_sel:[1,0] op_sel_hi:[0,1] neg_lo:[0,1] neg_hi:[0,1]
	v_pk_add_f32 v[16:17], v[10:11], v[12:13] op_sel_hi:[1,0] neg_lo:[0,1] neg_hi:[0,1]
	v_mov_b32_e32 v10, v11
	v_mov_b32_e32 v11, v9
	;; [unrolled: 1-line block ×3, first 2 shown]
	v_pk_add_f32 v[10:11], v[10:11], v[18:19] neg_lo:[0,1] neg_hi:[0,1]
	v_mov_b32_e32 v7, v4
	v_pk_add_f32 v[4:5], v[6:7], v[10:11] neg_lo:[0,1] neg_hi:[0,1]
	v_mov_b32_e32 v16, v14
	v_pk_add_f32 v[6:7], v[16:17], v[4:5]
	v_mov_b32_e32 v15, v9
	v_pk_add_f32 v[10:11], v[6:7], v[6:7] op_sel:[0,1] op_sel_hi:[1,0]
	s_mov_b32 s4, 0x7f800000
	v_pk_add_f32 v[8:9], v[8:9], v[10:11] op_sel:[1,0] op_sel_hi:[0,1]
	v_mov_b32_e32 v7, v8
	v_pk_add_f32 v[12:13], v[6:7], v[14:15] neg_lo:[0,1] neg_hi:[0,1]
	v_mov_b32_e32 v5, v10
	v_sub_f32_e32 v6, v6, v12
	v_pk_add_f32 v[4:5], v[4:5], v[12:13] neg_lo:[0,1] neg_hi:[0,1]
	v_sub_f32_e32 v6, v14, v6
	v_add_f32_e32 v4, v4, v6
	v_add_f32_e32 v4, v4, v5
	;; [unrolled: 1-line block ×3, first 2 shown]
	v_sub_f32_e32 v6, v5, v8
	v_sub_f32_e32 v4, v4, v6
	v_mul_f32_e32 v6, v20, v5
	v_fma_f32 v5, v20, v5, -v6
	v_fmac_f32_e32 v5, v20, v4
	v_add_f32_e32 v4, v6, v5
	v_cmp_class_f32_e64 vcc, v6, s6
	v_sub_f32_e32 v7, v4, v6
	v_sub_f32_e32 v5, v5, v7
	v_cndmask_b32_e32 v4, v4, v6, vcc
	v_mov_b32_e32 v6, 0x37000000
	v_cmp_eq_f32_e32 vcc, s5, v4
	v_cmp_class_f32_e64 s[10:11], v21, s6
	s_nop 0
	v_cndmask_b32_e32 v6, 0, v6, vcc
	v_sub_f32_e32 v7, v4, v6
	v_mul_f32_e32 v8, 0x3fb8aa3b, v7
	v_fma_f32 v9, v7, s7, -v8
	v_rndne_f32_e32 v10, v8
	v_fmamk_f32 v9, v7, 0x32a5705f, v9
	v_sub_f32_e32 v8, v8, v10
	v_add_f32_e32 v8, v8, v9
	v_exp_f32_e32 v8, v8
	v_cvt_i32_f32_e32 v9, v10
	v_cmp_neq_f32_e64 vcc, |v4|, s4
	s_mov_b32 s4, 0xc2ce8ed0
	s_nop 0
	v_cndmask_b32_e32 v4, 0, v5, vcc
	v_ldexp_f32 v5, v8, v9
	v_cmp_ngt_f32_e32 vcc, s4, v7
	v_add_f32_e32 v4, v6, v4
	v_mov_b32_e32 v6, 0x7f800000
	v_cndmask_b32_e32 v5, 0, v5, vcc
	v_cmp_nlt_f32_e32 vcc, s5, v7
	v_mov_b32_e32 v7, 0x7fc00000
	s_nop 0
	v_cndmask_b32_e32 v5, v6, v5, vcc
	v_fma_f32 v4, v5, v4, v5
	v_cmp_class_f32_e64 vcc, v5, s6
	v_cmp_gt_f32_e64 s[6:7], 0, v20
	s_nop 0
	v_cndmask_b32_e32 v4, v4, v5, vcc
	v_trunc_f32_e32 v5, v20
	v_cmp_eq_f32_e32 vcc, v5, v20
	v_mul_f32_e32 v5, 0.5, v20
	v_trunc_f32_e32 v8, v5
	v_cmp_neq_f32_e64 s[4:5], v8, v5
	s_and_b64 s[4:5], vcc, s[4:5]
	s_nop 0
	v_cndmask_b32_e64 v5, 1.0, v21, s[4:5]
	v_bfi_b32 v4, s14, v4, v5
	v_cndmask_b32_e32 v5, v7, v4, vcc
	v_cmp_gt_f32_e32 vcc, 0, v21
	s_nop 1
	v_cndmask_b32_e32 v4, v4, v5, vcc
	v_cmp_eq_f32_e32 vcc, 0, v21
	s_xor_b64 s[6:7], s[6:7], vcc
	v_cndmask_b32_e64 v5, v6, 0, s[6:7]
	v_cndmask_b32_e64 v6, 0, v21, s[4:5]
	v_bfi_b32 v5, s14, v5, v6
	s_or_b64 vcc, vcc, s[10:11]
	v_cndmask_b32_e32 v4, v4, v5, vcc
	v_cmp_o_f32_e32 vcc, v21, v21
	s_nop 1
	v_cndmask_b32_e32 v51, v7, v4, vcc
.LBB65_4:
	s_load_dwordx4 s[4:7], s[0:1], 0x70
	v_bfe_u32 v50, v0, 10, 10
	s_ashr_i32 s35, s34, 31
	v_lshl_add_u32 v46, s2, 2, v50
	v_mul_hi_u32 v4, s36, v46
	s_waitcnt lgkmcnt(0)
	s_mul_i32 s6, s33, s6
	s_ashr_i32 s7, s6, 31
	s_mul_i32 s5, s34, s5
	s_add_u32 s6, s16, s6
	s_addc_u32 s7, s17, s7
	s_ashr_i32 s10, s5, 31
	v_add_u32_e32 v4, v46, v4
	s_add_u32 s6, s6, s5
	v_lshrrev_b32_e32 v4, s37, v4
	s_addc_u32 s7, s7, s10
	v_mul_lo_u32 v4, v4, s38
	s_ashr_i32 s5, s4, 31
	v_sub_u32_e32 v5, v46, v4
	s_lshr_b64 s[10:11], s[4:5], 2
	v_mad_u64_u32 v[6:7], s[10:11], s10, v5, 0
	v_mov_b32_e32 v4, v7
	s_lshr_b32 s4, s5, 2
	v_mad_u64_u32 v[8:9], s[4:5], s4, v5, v[4:5]
	v_mov_b32_e32 v7, v8
	v_and_b32_e32 v4, 0x3ff, v0
	v_lshl_add_u64 v[8:9], v[6:7], 2, s[6:7]
	v_lshlrev_b32_e32 v6, 4, v4
	v_mov_b32_e32 v7, 0
	v_lshl_add_u64 v[8:9], v[8:9], 0, v[6:7]
	global_load_dwordx4 v[8:11], v[8:9], off
	v_ashrrev_i32_e32 v0, 31, v3
	v_mov_b32_e32 v3, 0x4400
	v_lshlrev_b32_e32 v48, 3, v4
	v_lshl_add_u32 v52, v50, 8, v3
	v_add_u32_e32 v3, v52, v48
	s_cmp_eq_u64 s[26:27], 0
	s_waitcnt vmcnt(0)
	v_fma_mixlo_f16 v6, s8, v8, 0
	v_mov_b32_e32 v8, v11
	v_pk_mul_f32 v[8:9], s[8:9], v[8:9] op_sel_hi:[0,1]
	v_cvt_pk_f16_f32 v8, v8, v9
	v_fma_mixlo_f16 v10, s8, v10, 0
	v_and_b32_e32 v6, 0xffff, v6
	v_lshlrev_b32_e32 v9, 16, v8
	v_and_b32_e32 v8, 0xffff0000, v8
	v_and_b32_e32 v10, 0xffff, v10
	v_or_b32_e32 v6, v8, v6
	v_or3_b32 v9, v9, v10, 0
	v_or3_b32 v8, 0, 0, v6
	ds_write_b64 v3, v[8:9]
	s_waitcnt lgkmcnt(0)
	s_barrier
	s_cbranch_scc1 .LBB65_6
; %bb.5:
	s_load_dword s4, s[0:1], 0xd0
	s_mov_b32 s5, 0
	s_waitcnt lgkmcnt(0)
	s_mul_i32 s4, s4, s33
	s_add_i32 s4, s4, s2
	s_lshl_b64 s[4:5], s[4:5], 2
	s_add_u32 s4, s26, s4
	s_addc_u32 s5, s27, s5
	s_load_dword s12, s[4:5], 0x0
.LBB65_6:
	s_load_dwordx2 s[8:9], s[0:1], 0x8c
	s_nop 0
	s_load_dwordx4 s[4:7], s[0:1], 0x98
	v_mul_lo_u32 v3, v2, v1
	v_sub_u32_e32 v3, s13, v3
	v_add_u32_e32 v6, 1, v2
	v_sub_u32_e32 v8, v3, v1
	v_cmp_ge_u32_e32 vcc, v3, v1
	s_waitcnt lgkmcnt(0)
	s_ashr_i32 s2, s6, 2
	s_ashr_i32 s6, s33, 31
	v_cndmask_b32_e32 v2, v2, v6, vcc
	v_cndmask_b32_e32 v3, v3, v8, vcc
	v_add_u32_e32 v6, 1, v2
	v_cmp_ge_u32_e32 vcc, v3, v1
	s_load_dwordx2 s[10:11], s[0:1], 0xa8
	s_ashr_i32 s22, s15, 1
	s_mul_hi_u32 s14, s4, s33
	s_mul_i32 s15, s4, s6
	v_xor_b32_e32 v0, s35, v0
	v_cndmask_b32_e32 v1, v2, v6, vcc
	s_add_i32 s14, s14, s15
	s_mul_i32 s5, s5, s33
	v_xor_b32_e32 v1, v1, v0
	s_ashr_i32 s8, s8, 2
	s_add_i32 s14, s14, s5
	s_mul_i32 s4, s4, s33
	v_sub_u32_e32 v6, v1, v0
	s_add_u32 s4, s18, s4
	v_mul_lo_u32 v0, v6, s9
	s_addc_u32 s5, s19, s14
	v_ashrrev_i32_e32 v1, 31, v0
	v_lshl_add_u64 v[2:3], s[4:5], 0, v[0:1]
	s_waitcnt lgkmcnt(0)
	s_mul_hi_u32 s4, s10, s33
	s_mul_i32 s5, s10, s6
	s_add_i32 s4, s4, s5
	s_mul_i32 s5, s11, s33
	s_add_i32 s5, s4, s5
	s_mul_i32 s4, s10, s33
	s_add_u32 s4, s20, s4
	v_mul_lo_u32 v0, v6, s7
	v_lshlrev_b32_e32 v47, 2, v4
	s_addc_u32 s5, s21, s5
	v_ashrrev_i32_e32 v1, 31, v0
	s_lshl_b32 s26, s3, 6
	s_sub_i32 s9, s12, 64
	v_lshl_add_u64 v[0:1], s[4:5], 0, v[0:1]
	s_cmp_ge_i32 s26, s9
	v_lshrrev_b32_e32 v9, 4, v4
	v_and_b32_e32 v8, 60, v47
	v_mbcnt_lo_u32_b32 v53, -1, 0
	s_cbranch_scc1 .LBB65_15
; %bb.7:
	v_lshl_add_u32 v6, v50, 1, v9
	v_lshlrev_b32_e32 v7, 2, v8
	s_movk_i32 s4, 0x110
	v_mad_u32_u24 v54, v6, s4, v7
	v_mul_lo_u32 v12, s8, v6
	s_lshl_b32 s4, s8, 3
	v_add_u32_e32 v14, s4, v12
	v_add_u32_e32 v16, s4, v14
	;; [unrolled: 1-line block ×6, first 2 shown]
	s_cmp_lg_u64 s[40:41], 0
	v_mad_u64_u32 v[28:29], s[6:7], v5, s22, v[4:5]
	v_add_u32_e32 v26, s4, v24
	s_cselect_b64 s[4:5], -1, 0
	v_mul_lo_u32 v30, s2, v6
	s_lshl_b32 s6, s2, 3
	v_add_u32_e32 v32, s6, v30
	v_add_u32_e32 v34, s6, v32
	;; [unrolled: 1-line block ×5, first 2 shown]
	v_mov_b32_e32 v10, 0x4800
	v_add_u32_e32 v42, s6, v40
	v_mov_b32_e32 v11, 0
	v_lshl_add_u32 v63, v50, 7, v10
	v_lshl_or_b32 v65, v6, 8, v7
	v_add_u32_e32 v44, s6, v42
	s_add_u32 s6, s0, 0xd0
	v_cndmask_b32_e64 v6, 0, 1, s[4:5]
	v_ashrrev_i32_e32 v13, 31, v12
	v_add_u32_e32 v55, 0x880, v54
	v_ashrrev_i32_e32 v15, 31, v14
	v_add_u32_e32 v56, 0x1100, v54
	;; [unrolled: 2-line block ×7, first 2 shown]
	v_ashrrev_i32_e32 v27, 31, v26
	v_mul_u32_u24_e32 v62, 0x110, v4
	v_lshl_add_u32 v64, v4, 1, v63
	v_ashrrev_i32_e32 v31, 31, v30
	v_add_u32_e32 v66, 0x800, v65
	v_ashrrev_i32_e32 v33, 31, v32
	v_add_u32_e32 v67, 0x1000, v65
	;; [unrolled: 2-line block ×7, first 2 shown]
	v_ashrrev_i32_e32 v45, 31, v44
	s_addc_u32 s7, s1, 0
	v_mov_b32_e32 v76, 0xfeffffff
	v_lshlrev_b32_e32 v10, 2, v8
	v_cmp_ne_u32_e64 s[4:5], 1, v6
	s_mov_b32 s10, 0x3fb8aa3b
	s_mov_b32 s11, 0xc2ce8ed0
	;; [unrolled: 1-line block ×4, first 2 shown]
	v_mbcnt_hi_u32_b32 v73, -1, v53
	v_mov_b32_e32 v74, 0x7f800000
	v_mov_b32_e32 v49, v11
	v_mov_b32_e32 v29, v11
	v_mov_b32_e32 v75, v11
.LBB65_8:                               ; =>This Inner Loop Header: Depth=1
	s_mul_hi_i32 s17, s26, s8
	s_mul_i32 s16, s26, s8
	s_lshl_b64 s[16:17], s[16:17], 2
	v_lshl_add_u64 v[6:7], v[2:3], 0, s[16:17]
	v_lshl_add_u64 v[78:79], v[12:13], 2, v[6:7]
	v_lshl_add_u64 v[86:87], v[78:79], 0, v[10:11]
	v_lshl_add_u64 v[78:79], v[14:15], 2, v[6:7]
	v_lshl_add_u64 v[88:89], v[78:79], 0, v[10:11]
	global_load_dwordx4 v[78:81], v[86:87], off
	global_load_dwordx4 v[82:85], v[88:89], off
	v_lshl_add_u64 v[86:87], v[16:17], 2, v[6:7]
	v_lshl_add_u64 v[94:95], v[86:87], 0, v[10:11]
	v_lshl_add_u64 v[86:87], v[18:19], 2, v[6:7]
	v_lshl_add_u64 v[96:97], v[86:87], 0, v[10:11]
	global_load_dwordx4 v[86:89], v[94:95], off
	global_load_dwordx4 v[90:93], v[96:97], off
	v_lshl_add_u64 v[94:95], v[20:21], 2, v[6:7]
	v_lshl_add_u64 v[102:103], v[94:95], 0, v[10:11]
	v_lshl_add_u64 v[94:95], v[22:23], 2, v[6:7]
	v_lshl_add_u64 v[104:105], v[94:95], 0, v[10:11]
	;; [unrolled: 6-line block ×3, first 2 shown]
	global_load_dwordx4 v[102:105], v[110:111], off
	global_load_dwordx4 v[106:109], v[6:7], off
	v_mov_b32_e32 v77, 0
	v_add_u32_e32 v6, s26, v28
	s_and_b64 vcc, exec, s[4:5]
	v_ashrrev_i32_e32 v7, 31, v6
	s_waitcnt vmcnt(7)
	ds_write_b128 v54, v[78:81]
	s_waitcnt vmcnt(6)
	ds_write_b128 v55, v[82:85]
	;; [unrolled: 2-line block ×8, first 2 shown]
	s_waitcnt lgkmcnt(0)
	s_barrier
	ds_read_b128 v[80:83], v62
	ds_read_b128 v[84:87], v52
	v_mov_b32_e32 v78, 0
	ds_read_b128 v[88:91], v62 offset:8704
	s_waitcnt lgkmcnt(1)
	;;#ASMSTART
	v_dot2_f32_f16 v78, v80, v84, v78
	;;#ASMEND
	s_nop 0
	;;#ASMSTART
	v_dot2_f32_f16 v78, v81, v85, v78
	;;#ASMEND
	v_mov_b32_e32 v79, 0
	;;#ASMSTART
	v_dot2_f32_f16 v78, v82, v86, v78
	;;#ASMEND
	s_nop 0
	;;#ASMSTART
	v_dot2_f32_f16 v78, v83, v87, v78
	;;#ASMEND
	s_waitcnt lgkmcnt(0)
	;;#ASMSTART
	v_dot2_f32_f16 v77, v88, v84, v77
	;;#ASMEND
	s_nop 0
	;;#ASMSTART
	v_dot2_f32_f16 v77, v89, v85, v77
	;;#ASMEND
	s_nop 0
	;;#ASMSTART
	v_dot2_f32_f16 v77, v90, v86, v77
	;;#ASMEND
	s_nop 0
	;;#ASMSTART
	v_dot2_f32_f16 v77, v91, v87, v77
	;;#ASMEND
	ds_read_b128 v[80:83], v62 offset:16
	ds_read_b128 v[84:87], v52 offset:16
	ds_read_b128 v[88:91], v62 offset:8720
	s_waitcnt lgkmcnt(1)
	;;#ASMSTART
	v_dot2_f32_f16 v78, v80, v84, v78
	;;#ASMEND
	s_nop 0
	;;#ASMSTART
	v_dot2_f32_f16 v78, v81, v85, v78
	;;#ASMEND
	s_nop 0
	;;#ASMSTART
	v_dot2_f32_f16 v78, v82, v86, v78
	;;#ASMEND
	s_nop 0
	;;#ASMSTART
	v_dot2_f32_f16 v78, v83, v87, v78
	;;#ASMEND
	s_waitcnt lgkmcnt(0)
	;;#ASMSTART
	v_dot2_f32_f16 v77, v88, v84, v77
	;;#ASMEND
	s_nop 0
	;;#ASMSTART
	v_dot2_f32_f16 v77, v89, v85, v77
	;;#ASMEND
	s_nop 0
	;;#ASMSTART
	v_dot2_f32_f16 v77, v90, v86, v77
	;;#ASMEND
	s_nop 0
	;;#ASMSTART
	v_dot2_f32_f16 v77, v91, v87, v77
	;;#ASMEND
	ds_read_b128 v[80:83], v62 offset:32
	ds_read_b128 v[84:87], v52 offset:32
	ds_read_b128 v[88:91], v62 offset:8736
	s_waitcnt lgkmcnt(1)
	;;#ASMSTART
	v_dot2_f32_f16 v78, v80, v84, v78
	;;#ASMEND
	s_nop 0
	;;#ASMSTART
	v_dot2_f32_f16 v78, v81, v85, v78
	;;#ASMEND
	s_nop 0
	;; [unrolled: 35-line block ×15, first 2 shown]
	;;#ASMSTART
	v_dot2_f32_f16 v78, v82, v86, v78
	;;#ASMEND
	s_nop 0
	;;#ASMSTART
	v_dot2_f32_f16 v78, v83, v87, v78
	;;#ASMEND
	s_waitcnt lgkmcnt(0)
	;;#ASMSTART
	v_dot2_f32_f16 v77, v88, v84, v77
	;;#ASMEND
	s_nop 0
	;;#ASMSTART
	v_dot2_f32_f16 v77, v89, v85, v77
	;;#ASMEND
	s_nop 0
	;; [unrolled: 4-line block ×3, first 2 shown]
	;;#ASMSTART
	v_dot2_f32_f16 v77, v91, v87, v77
	;;#ASMEND
	s_cbranch_vccnz .LBB65_10
; %bb.9:                                ;   in Loop: Header=BB65_8 Depth=1
	v_lshl_add_u64 v[80:81], v[6:7], 1, s[40:41]
	global_load_ushort v79, v[80:81], off
	s_waitcnt vmcnt(0)
	v_cvt_f32_f16_e32 v79, v79
	v_mul_f32_e32 v79, v51, v79
.LBB65_10:                              ;   in Loop: Header=BB65_8 Depth=1
	s_and_b64 vcc, exec, s[4:5]
	s_cbranch_vccnz .LBB65_12
; %bb.11:                               ;   in Loop: Header=BB65_8 Depth=1
	v_lshl_add_u64 v[6:7], v[6:7], 1, s[40:41]
	global_load_ushort v6, v[6:7], off offset:64
	s_waitcnt vmcnt(0)
	v_cvt_f32_f16_e32 v6, v6
	v_mul_f32_e32 v6, v51, v6
	s_branch .LBB65_13
.LBB65_12:                              ;   in Loop: Header=BB65_8 Depth=1
	v_mov_b32_e32 v6, 0
.LBB65_13:                              ;   in Loop: Header=BB65_8 Depth=1
	v_add_f32_e32 v124, v78, v79
	v_and_b32_e32 v78, 0x60, v73
	v_add_u32_e32 v125, 32, v78
	v_xor_b32_e32 v78, 16, v73
	v_cmp_lt_i32_e32 vcc, v78, v125
	v_add_f32_e32 v77, v77, v6
	v_add_f32_e32 v7, 0x40051340, v124
	v_cndmask_b32_e32 v78, v73, v78, vcc
	v_add_f32_e32 v6, 0x40051340, v77
	v_max3_f32 v6, v76, v7, v6
	v_lshlrev_b32_e32 v7, 2, v78
	ds_bpermute_b32 v7, v7, v6
	v_xor_b32_e32 v78, 8, v73
	v_cmp_lt_i32_e32 vcc, v78, v125
	s_mul_hi_i32 s17, s26, s2
	s_mul_i32 s16, s26, s2
	v_cndmask_b32_e32 v78, v73, v78, vcc
	s_waitcnt lgkmcnt(0)
	v_max_f32_e32 v7, v7, v7
	v_lshlrev_b32_e32 v78, 2, v78
	v_max_f32_e32 v6, v6, v7
	ds_bpermute_b32 v7, v78, v6
	v_xor_b32_e32 v78, 4, v73
	v_cmp_lt_i32_e32 vcc, v78, v125
	s_lshl_b64 s[16:17], s[16:17], 2
	s_waitcnt lgkmcnt(0)
	v_cndmask_b32_e32 v78, v73, v78, vcc
	v_max_f32_e32 v7, v7, v7
	v_lshlrev_b32_e32 v78, 2, v78
	v_max_f32_e32 v126, v6, v7
	v_lshl_add_u64 v[6:7], v[0:1], 0, s[16:17]
	ds_bpermute_b32 v127, v78, v126
	v_lshl_add_u64 v[78:79], v[30:31], 2, v[6:7]
	v_lshl_add_u64 v[110:111], v[78:79], 0, v[10:11]
	;; [unrolled: 1-line block ×14, first 2 shown]
	s_barrier
	s_waitcnt lgkmcnt(0)
	v_lshl_add_u64 v[122:123], v[78:79], 0, v[10:11]
	v_lshl_add_u64 v[6:7], v[6:7], 0, v[10:11]
	global_load_dwordx4 v[78:81], v[110:111], off
	global_load_dwordx4 v[82:85], v[112:113], off
	;; [unrolled: 1-line block ×8, first 2 shown]
	v_xor_b32_e32 v6, 2, v73
	v_cmp_lt_i32_e32 vcc, v6, v125
	v_max_f32_e32 v7, v127, v127
	v_max_f32_e32 v7, v126, v7
	v_cndmask_b32_e32 v6, v73, v6, vcc
	v_lshlrev_b32_e32 v6, 2, v6
	ds_bpermute_b32 v6, v6, v7
	v_xor_b32_e32 v110, 1, v73
	v_cmp_lt_i32_e32 vcc, v110, v125
	s_waitcnt lgkmcnt(0)
	v_max_f32_e32 v6, v6, v6
	v_cndmask_b32_e32 v110, v73, v110, vcc
	v_lshlrev_b32_e32 v110, 2, v110
	v_max_f32_e32 v6, v7, v6
	ds_bpermute_b32 v7, v110, v6
	s_waitcnt lgkmcnt(0)
	v_max_f32_e32 v7, v7, v7
	v_max_f32_e32 v6, v6, v7
	v_sub_f32_e32 v7, v124, v6
	v_mul_f32_e32 v110, 0x3fb8aa3b, v7
	v_fma_f32 v111, v7, s10, -v110
	v_rndne_f32_e32 v112, v110
	v_fmac_f32_e32 v111, 0x32a5705f, v7
	v_sub_f32_e32 v110, v110, v112
	v_add_f32_e32 v110, v110, v111
	v_exp_f32_e32 v110, v110
	v_cvt_i32_f32_e32 v111, v112
	v_sub_f32_e32 v77, v77, v6
	v_sub_f32_e32 v76, v76, v6
	v_cmp_ngt_f32_e32 vcc, s11, v7
	v_ldexp_f32 v110, v110, v111
	v_mul_f32_e32 v111, 0x3fb8aa3b, v77
	v_fma_f32 v112, v77, s10, -v111
	v_rndne_f32_e32 v113, v111
	v_fmac_f32_e32 v112, 0x32a5705f, v77
	v_sub_f32_e32 v111, v111, v113
	v_add_f32_e32 v111, v111, v112
	v_exp_f32_e32 v111, v111
	v_cvt_i32_f32_e32 v112, v113
	v_cndmask_b32_e32 v110, 0, v110, vcc
	v_cmp_nlt_f32_e32 vcc, s13, v7
	v_ldexp_f32 v111, v111, v112
	v_mul_f32_e32 v112, 0x3fb8aa3b, v76
	v_fma_f32 v113, v76, s10, -v112
	v_rndne_f32_e32 v114, v112
	v_fmac_f32_e32 v113, 0x32a5705f, v76
	v_sub_f32_e32 v112, v112, v114
	v_add_f32_e32 v112, v112, v113
	v_exp_f32_e32 v112, v112
	v_cvt_i32_f32_e32 v113, v114
	v_cndmask_b32_e32 v7, v74, v110, vcc
	v_cmp_ngt_f32_e32 vcc, s11, v77
	v_cvt_f16_f32_e32 v110, v7
	s_nop 0
	v_cndmask_b32_e32 v111, 0, v111, vcc
	v_cmp_nlt_f32_e32 vcc, s13, v77
	s_nop 1
	v_cndmask_b32_e32 v77, v74, v111, vcc
	v_ldexp_f32 v111, v112, v113
	v_cmp_ngt_f32_e32 vcc, s11, v76
	v_add_f32_e32 v7, v7, v77
	v_cvt_f16_f32_e32 v77, v77
	v_cndmask_b32_e32 v111, 0, v111, vcc
	v_cmp_nlt_f32_e32 vcc, s13, v76
	ds_write_b16 v64, v110
	ds_write_b16 v64, v77 offset:64
	s_waitcnt vmcnt(7)
	ds_write_b128 v65, v[78:81]
	s_waitcnt vmcnt(6)
	ds_write_b128 v66, v[82:85]
	;; [unrolled: 2-line block ×8, first 2 shown]
	v_cndmask_b32_e32 v76, v74, v111, vcc
	v_cvt_f16_f32_e32 v111, v76
	v_fmac_f32_e32 v7, v75, v76
	s_waitcnt lgkmcnt(0)
	s_barrier
	ds_read_b128 v[76:79], v63
	ds_read2_b64 v[80:83], v48 offset1:32
	ds_read_b128 v[84:87], v63 offset:16
	ds_read_b128 v[88:91], v63 offset:32
	;; [unrolled: 1-line block ×3, first 2 shown]
	s_waitcnt lgkmcnt(4)
	v_mul_u32_u24_sdwa v96, v76, s14 dst_sel:DWORD dst_unused:UNUSED_PAD src0_sel:WORD_0 src1_sel:DWORD
	v_mul_u32_u24_e32 v75, 0x10001, v111
	s_waitcnt lgkmcnt(3)
	v_pk_mul_f16 v80, v80, v96
	s_nop 0
	v_pk_fma_f16 v49, v49, v75, v80
	v_pk_mul_f16 v80, v81, v96
	ds_read2_b64 v[96:99], v48 offset0:64 offset1:96
	v_pk_fma_f16 v29, v29, v75, v80
	v_mul_u32_u24_sdwa v75, v76, s14 dst_sel:DWORD dst_unused:UNUSED_PAD src0_sel:WORD_1 src1_sel:DWORD
	v_pk_fma_f16 v49, v82, v75, v49
	v_pk_fma_f16 v29, v83, v75, v29
	v_mul_u32_u24_sdwa v75, v77, s14 dst_sel:DWORD dst_unused:UNUSED_PAD src0_sel:WORD_0 src1_sel:DWORD
	ds_read2_b64 v[80:83], v48 offset0:128 offset1:160
	s_waitcnt lgkmcnt(1)
	v_pk_fma_f16 v49, v96, v75, v49
	v_pk_fma_f16 v29, v97, v75, v29
	v_mul_u32_u24_sdwa v75, v77, s14 dst_sel:DWORD dst_unused:UNUSED_PAD src0_sel:WORD_1 src1_sel:DWORD
	v_pk_fma_f16 v49, v98, v75, v49
	v_pk_fma_f16 v29, v99, v75, v29
	ds_read2_b64 v[96:99], v48 offset0:192 offset1:224
	v_mul_u32_u24_sdwa v75, v78, s14 dst_sel:DWORD dst_unused:UNUSED_PAD src0_sel:WORD_0 src1_sel:DWORD
	s_waitcnt lgkmcnt(1)
	v_pk_fma_f16 v49, v80, v75, v49
	v_pk_fma_f16 v29, v81, v75, v29
	v_mul_u32_u24_sdwa v75, v78, s14 dst_sel:DWORD dst_unused:UNUSED_PAD src0_sel:WORD_1 src1_sel:DWORD
	v_pk_fma_f16 v49, v82, v75, v49
	v_pk_fma_f16 v29, v83, v75, v29
	v_mul_u32_u24_sdwa v75, v79, s14 dst_sel:DWORD dst_unused:UNUSED_PAD src0_sel:WORD_0 src1_sel:DWORD
	s_waitcnt lgkmcnt(0)
	v_pk_fma_f16 v49, v96, v75, v49
	v_pk_fma_f16 v29, v97, v75, v29
	v_add_u32_e32 v75, 0x800, v48
	ds_read2_b64 v[80:83], v75 offset1:32
	v_mul_u32_u24_sdwa v76, v79, s14 dst_sel:DWORD dst_unused:UNUSED_PAD src0_sel:WORD_1 src1_sel:DWORD
	v_pk_fma_f16 v49, v98, v76, v49
	v_pk_fma_f16 v29, v99, v76, v29
	v_mul_u32_u24_sdwa v76, v84, s14 dst_sel:DWORD dst_unused:UNUSED_PAD src0_sel:WORD_0 src1_sel:DWORD
	s_waitcnt lgkmcnt(0)
	v_pk_fma_f16 v49, v80, v76, v49
	v_pk_fma_f16 v29, v81, v76, v29
	ds_read2_b64 v[76:79], v75 offset0:64 offset1:96
	v_mul_u32_u24_sdwa v80, v84, s14 dst_sel:DWORD dst_unused:UNUSED_PAD src0_sel:WORD_1 src1_sel:DWORD
	v_pk_fma_f16 v49, v82, v80, v49
	v_pk_fma_f16 v29, v83, v80, v29
	v_mul_u32_u24_sdwa v80, v85, s14 dst_sel:DWORD dst_unused:UNUSED_PAD src0_sel:WORD_0 src1_sel:DWORD
	s_waitcnt lgkmcnt(0)
	v_pk_fma_f16 v49, v76, v80, v49
	v_pk_fma_f16 v29, v77, v80, v29
	ds_read2_b64 v[80:83], v75 offset0:128 offset1:160
	v_mul_u32_u24_sdwa v76, v85, s14 dst_sel:DWORD dst_unused:UNUSED_PAD src0_sel:WORD_1 src1_sel:DWORD
	v_pk_fma_f16 v49, v78, v76, v49
	v_pk_fma_f16 v29, v79, v76, v29
	v_mul_u32_u24_sdwa v76, v86, s14 dst_sel:DWORD dst_unused:UNUSED_PAD src0_sel:WORD_0 src1_sel:DWORD
	s_waitcnt lgkmcnt(0)
	v_pk_fma_f16 v49, v80, v76, v49
	v_pk_fma_f16 v29, v81, v76, v29
	ds_read2_b64 v[76:79], v75 offset0:192 offset1:224
	v_mul_u32_u24_sdwa v75, v86, s14 dst_sel:DWORD dst_unused:UNUSED_PAD src0_sel:WORD_1 src1_sel:DWORD
	v_pk_fma_f16 v49, v82, v75, v49
	v_pk_fma_f16 v29, v83, v75, v29
	v_mul_u32_u24_sdwa v75, v87, s14 dst_sel:DWORD dst_unused:UNUSED_PAD src0_sel:WORD_0 src1_sel:DWORD
	s_waitcnt lgkmcnt(0)
	v_pk_fma_f16 v49, v76, v75, v49
	v_pk_fma_f16 v29, v77, v75, v29
	v_add_u32_e32 v75, 0x1000, v48
	ds_read2_b64 v[80:83], v75 offset1:32
	v_mul_u32_u24_sdwa v76, v87, s14 dst_sel:DWORD dst_unused:UNUSED_PAD src0_sel:WORD_1 src1_sel:DWORD
	v_pk_fma_f16 v49, v78, v76, v49
	v_pk_fma_f16 v29, v79, v76, v29
	v_mul_u32_u24_sdwa v76, v88, s14 dst_sel:DWORD dst_unused:UNUSED_PAD src0_sel:WORD_0 src1_sel:DWORD
	s_waitcnt lgkmcnt(0)
	v_pk_fma_f16 v49, v80, v76, v49
	v_pk_fma_f16 v29, v81, v76, v29
	ds_read2_b64 v[76:79], v75 offset0:64 offset1:96
	v_mul_u32_u24_sdwa v80, v88, s14 dst_sel:DWORD dst_unused:UNUSED_PAD src0_sel:WORD_1 src1_sel:DWORD
	v_pk_fma_f16 v49, v82, v80, v49
	v_pk_fma_f16 v29, v83, v80, v29
	v_mul_u32_u24_sdwa v80, v89, s14 dst_sel:DWORD dst_unused:UNUSED_PAD src0_sel:WORD_0 src1_sel:DWORD
	s_waitcnt lgkmcnt(0)
	v_pk_fma_f16 v49, v76, v80, v49
	v_pk_fma_f16 v29, v77, v80, v29
	ds_read2_b64 v[80:83], v75 offset0:128 offset1:160
	v_mul_u32_u24_sdwa v76, v89, s14 dst_sel:DWORD dst_unused:UNUSED_PAD src0_sel:WORD_1 src1_sel:DWORD
	v_pk_fma_f16 v49, v78, v76, v49
	v_pk_fma_f16 v29, v79, v76, v29
	v_mul_u32_u24_sdwa v76, v90, s14 dst_sel:DWORD dst_unused:UNUSED_PAD src0_sel:WORD_0 src1_sel:DWORD
	s_waitcnt lgkmcnt(0)
	v_pk_fma_f16 v49, v80, v76, v49
	v_pk_fma_f16 v29, v81, v76, v29
	ds_read2_b64 v[76:79], v75 offset0:192 offset1:224
	;; [unrolled: 33-line block ×3, first 2 shown]
	v_mul_u32_u24_sdwa v75, v94, s14 dst_sel:DWORD dst_unused:UNUSED_PAD src0_sel:WORD_1 src1_sel:DWORD
	v_pk_fma_f16 v49, v82, v75, v49
	v_pk_fma_f16 v29, v83, v75, v29
	v_add_u32_e32 v92, 0x2000, v48
	ds_read_b128 v[80:83], v63 offset:64
	ds_read2_b64 v[84:87], v92 offset1:32
	v_mul_u32_u24_sdwa v75, v95, s14 dst_sel:DWORD dst_unused:UNUSED_PAD src0_sel:WORD_0 src1_sel:DWORD
	ds_read2_b64 v[88:91], v92 offset0:64 offset1:96
	s_waitcnt lgkmcnt(3)
	v_pk_fma_f16 v49, v76, v75, v49
	v_pk_fma_f16 v29, v77, v75, v29
	v_mul_u32_u24_sdwa v75, v95, s14 dst_sel:DWORD dst_unused:UNUSED_PAD src0_sel:WORD_1 src1_sel:DWORD
	v_pk_fma_f16 v49, v78, v75, v49
	v_pk_fma_f16 v29, v79, v75, v29
	s_waitcnt lgkmcnt(2)
	v_mul_u32_u24_sdwa v75, v80, s14 dst_sel:DWORD dst_unused:UNUSED_PAD src0_sel:WORD_0 src1_sel:DWORD
	s_waitcnt lgkmcnt(1)
	v_pk_fma_f16 v49, v84, v75, v49
	v_pk_fma_f16 v29, v85, v75, v29
	v_mul_u32_u24_sdwa v75, v80, s14 dst_sel:DWORD dst_unused:UNUSED_PAD src0_sel:WORD_1 src1_sel:DWORD
	v_pk_fma_f16 v49, v86, v75, v49
	v_pk_fma_f16 v29, v87, v75, v29
	v_mul_u32_u24_sdwa v75, v81, s14 dst_sel:DWORD dst_unused:UNUSED_PAD src0_sel:WORD_0 src1_sel:DWORD
	ds_read2_b64 v[84:87], v92 offset0:128 offset1:160
	s_waitcnt lgkmcnt(1)
	v_pk_fma_f16 v49, v88, v75, v49
	v_pk_fma_f16 v29, v89, v75, v29
	v_mul_u32_u24_sdwa v75, v81, s14 dst_sel:DWORD dst_unused:UNUSED_PAD src0_sel:WORD_1 src1_sel:DWORD
	v_pk_fma_f16 v49, v90, v75, v49
	v_pk_fma_f16 v29, v91, v75, v29
	ds_read2_b64 v[88:91], v92 offset0:192 offset1:224
	v_mul_u32_u24_sdwa v75, v82, s14 dst_sel:DWORD dst_unused:UNUSED_PAD src0_sel:WORD_0 src1_sel:DWORD
	s_waitcnt lgkmcnt(1)
	v_pk_fma_f16 v49, v84, v75, v49
	v_pk_fma_f16 v29, v85, v75, v29
	v_mul_u32_u24_sdwa v75, v82, s14 dst_sel:DWORD dst_unused:UNUSED_PAD src0_sel:WORD_1 src1_sel:DWORD
	v_pk_fma_f16 v49, v86, v75, v49
	v_pk_fma_f16 v29, v87, v75, v29
	v_mul_u32_u24_sdwa v75, v83, s14 dst_sel:DWORD dst_unused:UNUSED_PAD src0_sel:WORD_0 src1_sel:DWORD
	ds_read_b128 v[76:79], v63 offset:80
	s_waitcnt lgkmcnt(1)
	v_pk_fma_f16 v49, v88, v75, v49
	v_pk_fma_f16 v29, v89, v75, v29
	v_add_u32_e32 v75, 0x2800, v48
	ds_read2_b64 v[84:87], v75 offset1:32
	v_mul_u32_u24_sdwa v80, v83, s14 dst_sel:DWORD dst_unused:UNUSED_PAD src0_sel:WORD_1 src1_sel:DWORD
	v_pk_fma_f16 v49, v90, v80, v49
	v_pk_fma_f16 v29, v91, v80, v29
	s_waitcnt lgkmcnt(1)
	v_mul_u32_u24_sdwa v80, v76, s14 dst_sel:DWORD dst_unused:UNUSED_PAD src0_sel:WORD_0 src1_sel:DWORD
	s_waitcnt lgkmcnt(0)
	v_pk_fma_f16 v49, v84, v80, v49
	v_pk_fma_f16 v29, v85, v80, v29
	ds_read2_b64 v[80:83], v75 offset0:64 offset1:96
	v_mul_u32_u24_sdwa v76, v76, s14 dst_sel:DWORD dst_unused:UNUSED_PAD src0_sel:WORD_1 src1_sel:DWORD
	v_pk_fma_f16 v49, v86, v76, v49
	v_pk_fma_f16 v29, v87, v76, v29
	v_mul_u32_u24_sdwa v76, v77, s14 dst_sel:DWORD dst_unused:UNUSED_PAD src0_sel:WORD_0 src1_sel:DWORD
	ds_read2_b64 v[84:87], v75 offset0:128 offset1:160
	s_waitcnt lgkmcnt(1)
	v_pk_fma_f16 v49, v80, v76, v49
	v_pk_fma_f16 v29, v81, v76, v29
	v_mul_u32_u24_sdwa v76, v77, s14 dst_sel:DWORD dst_unused:UNUSED_PAD src0_sel:WORD_1 src1_sel:DWORD
	v_pk_fma_f16 v49, v82, v76, v49
	v_pk_fma_f16 v29, v83, v76, v29
	ds_read2_b64 v[80:83], v75 offset0:192 offset1:224
	v_mul_u32_u24_sdwa v76, v78, s14 dst_sel:DWORD dst_unused:UNUSED_PAD src0_sel:WORD_0 src1_sel:DWORD
	s_waitcnt lgkmcnt(1)
	v_pk_fma_f16 v49, v84, v76, v49
	v_pk_fma_f16 v29, v85, v76, v29
	v_mul_u32_u24_sdwa v75, v78, s14 dst_sel:DWORD dst_unused:UNUSED_PAD src0_sel:WORD_1 src1_sel:DWORD
	v_pk_fma_f16 v49, v86, v75, v49
	v_pk_fma_f16 v29, v87, v75, v29
	v_mul_u32_u24_sdwa v75, v79, s14 dst_sel:DWORD dst_unused:UNUSED_PAD src0_sel:WORD_0 src1_sel:DWORD
	s_waitcnt lgkmcnt(0)
	v_pk_fma_f16 v49, v80, v75, v49
	v_pk_fma_f16 v29, v81, v75, v29
	v_mul_u32_u24_sdwa v75, v79, s14 dst_sel:DWORD dst_unused:UNUSED_PAD src0_sel:WORD_1 src1_sel:DWORD
	v_add_u32_e32 v92, 0x3000, v48
	ds_read_b128 v[76:79], v63 offset:96
	ds_read2_b64 v[84:87], v92 offset1:32
	ds_read2_b64 v[88:91], v92 offset0:64 offset1:96
	v_pk_fma_f16 v49, v82, v75, v49
	v_pk_fma_f16 v29, v83, v75, v29
	s_waitcnt lgkmcnt(2)
	v_mul_u32_u24_sdwa v75, v76, s14 dst_sel:DWORD dst_unused:UNUSED_PAD src0_sel:WORD_0 src1_sel:DWORD
	s_waitcnt lgkmcnt(1)
	v_pk_fma_f16 v49, v84, v75, v49
	v_pk_fma_f16 v29, v85, v75, v29
	v_mul_u32_u24_sdwa v75, v76, s14 dst_sel:DWORD dst_unused:UNUSED_PAD src0_sel:WORD_1 src1_sel:DWORD
	v_pk_fma_f16 v49, v86, v75, v49
	v_pk_fma_f16 v29, v87, v75, v29
	v_mul_u32_u24_sdwa v75, v77, s14 dst_sel:DWORD dst_unused:UNUSED_PAD src0_sel:WORD_0 src1_sel:DWORD
	ds_read2_b64 v[84:87], v92 offset0:128 offset1:160
	s_waitcnt lgkmcnt(1)
	v_pk_fma_f16 v49, v88, v75, v49
	v_pk_fma_f16 v29, v89, v75, v29
	v_mul_u32_u24_sdwa v75, v77, s14 dst_sel:DWORD dst_unused:UNUSED_PAD src0_sel:WORD_1 src1_sel:DWORD
	v_pk_fma_f16 v49, v90, v75, v49
	v_pk_fma_f16 v29, v91, v75, v29
	ds_read2_b64 v[88:91], v92 offset0:192 offset1:224
	v_mul_u32_u24_sdwa v75, v78, s14 dst_sel:DWORD dst_unused:UNUSED_PAD src0_sel:WORD_0 src1_sel:DWORD
	s_waitcnt lgkmcnt(1)
	v_pk_fma_f16 v49, v84, v75, v49
	v_pk_fma_f16 v29, v85, v75, v29
	v_mul_u32_u24_sdwa v75, v78, s14 dst_sel:DWORD dst_unused:UNUSED_PAD src0_sel:WORD_1 src1_sel:DWORD
	v_pk_fma_f16 v49, v86, v75, v49
	v_pk_fma_f16 v29, v87, v75, v29
	v_mul_u32_u24_sdwa v75, v79, s14 dst_sel:DWORD dst_unused:UNUSED_PAD src0_sel:WORD_0 src1_sel:DWORD
	ds_read_b128 v[80:83], v63 offset:112
	s_waitcnt lgkmcnt(1)
	v_pk_fma_f16 v49, v88, v75, v49
	v_pk_fma_f16 v29, v89, v75, v29
	v_add_u32_e32 v75, 0x3800, v48
	ds_read2_b64 v[84:87], v75 offset1:32
	v_mul_u32_u24_sdwa v76, v79, s14 dst_sel:DWORD dst_unused:UNUSED_PAD src0_sel:WORD_1 src1_sel:DWORD
	v_pk_fma_f16 v49, v90, v76, v49
	v_pk_fma_f16 v29, v91, v76, v29
	s_waitcnt lgkmcnt(1)
	v_mul_u32_u24_sdwa v76, v80, s14 dst_sel:DWORD dst_unused:UNUSED_PAD src0_sel:WORD_0 src1_sel:DWORD
	s_waitcnt lgkmcnt(0)
	v_pk_fma_f16 v49, v84, v76, v49
	v_pk_fma_f16 v29, v85, v76, v29
	ds_read2_b64 v[76:79], v75 offset0:64 offset1:96
	v_mul_u32_u24_sdwa v80, v80, s14 dst_sel:DWORD dst_unused:UNUSED_PAD src0_sel:WORD_1 src1_sel:DWORD
	v_pk_fma_f16 v49, v86, v80, v49
	v_pk_fma_f16 v29, v87, v80, v29
	ds_read2_b64 v[84:87], v75 offset0:128 offset1:160
	v_mul_u32_u24_sdwa v80, v81, s14 dst_sel:DWORD dst_unused:UNUSED_PAD src0_sel:WORD_0 src1_sel:DWORD
	s_waitcnt lgkmcnt(1)
	v_pk_fma_f16 v49, v76, v80, v49
	v_pk_fma_f16 v29, v77, v80, v29
	v_mul_u32_u24_sdwa v76, v81, s14 dst_sel:DWORD dst_unused:UNUSED_PAD src0_sel:WORD_1 src1_sel:DWORD
	v_pk_fma_f16 v49, v78, v76, v49
	v_pk_fma_f16 v29, v79, v76, v29
	v_mul_u32_u24_sdwa v76, v82, s14 dst_sel:DWORD dst_unused:UNUSED_PAD src0_sel:WORD_0 src1_sel:DWORD
	s_waitcnt lgkmcnt(0)
	v_pk_fma_f16 v49, v84, v76, v49
	v_pk_fma_f16 v29, v85, v76, v29
	v_mul_u32_u24_sdwa v76, v82, s14 dst_sel:DWORD dst_unused:UNUSED_PAD src0_sel:WORD_1 src1_sel:DWORD
	v_pk_fma_f16 v49, v86, v76, v49
	v_pk_fma_f16 v29, v87, v76, v29
	ds_read2_b64 v[76:79], v75 offset0:192 offset1:224
	s_waitcnt lgkmcnt(0)
	s_barrier
	s_load_dword s15, s[6:7], 0x4
	v_mul_u32_u24_sdwa v75, v83, s14 dst_sel:DWORD dst_unused:UNUSED_PAD src0_sel:WORD_0 src1_sel:DWORD
	v_pk_fma_f16 v49, v76, v75, v49
	v_pk_fma_f16 v29, v77, v75, v29
	v_mul_u32_u24_sdwa v75, v83, s14 dst_sel:DWORD dst_unused:UNUSED_PAD src0_sel:WORD_1 src1_sel:DWORD
	s_waitcnt lgkmcnt(0)
	s_lshl_b32 s15, s15, 6
	s_add_i32 s26, s15, s26
	v_pk_fma_f16 v49, v78, v75, v49
	s_cmp_lt_i32 s26, s9
	v_pk_fma_f16 v29, v79, v75, v29
	s_cbranch_scc0 .LBB65_16
; %bb.14:                               ;   in Loop: Header=BB65_8 Depth=1
	v_mov_b32_e32 v76, v6
	v_mov_b32_e32 v75, v7
	s_branch .LBB65_8
.LBB65_15:
	v_mov_b32_e32 v29, 0
	v_mov_b32_e32 v6, 0xfeffffff
	;; [unrolled: 1-line block ×3, first 2 shown]
.LBB65_16:
	s_cmp_gt_i32 s12, s26
	s_cbranch_scc1 .LBB65_18
; %bb.17:
	v_mbcnt_hi_u32_b32 v10, -1, v53
	v_and_b32_e32 v11, 0x60, v10
	v_add_u32_e32 v11, 32, v11
	v_xor_b32_e32 v21, 16, v10
	v_xor_b32_e32 v20, 8, v10
	;; [unrolled: 1-line block ×5, first 2 shown]
	s_cbranch_execz .LBB65_19
	s_branch .LBB65_29
.LBB65_18:
                                        ; implicit-def: $vgpr10
                                        ; implicit-def: $vgpr11
                                        ; implicit-def: $vgpr21
                                        ; implicit-def: $vgpr20
                                        ; implicit-def: $vgpr22
                                        ; implicit-def: $vgpr23
                                        ; implicit-def: $vgpr24
.LBB65_19:
	s_mul_hi_i32 s5, s26, s8
	s_mul_i32 s4, s26, s8
	s_lshl_b64 s[4:5], s[4:5], 2
	v_lshl_add_u32 v12, v50, 1, v9
	s_mov_b64 s[6:7], src_private_base
	v_lshl_add_u64 v[2:3], v[2:3], 0, s[4:5]
	v_mul_lo_u32 v10, s8, v12
	s_mov_b32 s4, 0
	v_ashrrev_i32_e32 v11, 31, v10
	s_mov_b32 s6, s4
	s_sub_i32 s27, s12, s26
	v_mov_b32_e32 v9, 0
	v_lshlrev_b32_e32 v8, 2, v8
	s_mov_b32 s5, s4
	v_mov_b32_e32 v32, s6
	v_lshl_add_u64 v[14:15], v[10:11], 2, v[2:3]
	v_mov_b32_e32 v31, s5
	v_mov_b32_e32 v30, s4
	v_lshl_add_u64 v[14:15], v[14:15], 0, v[8:9]
	v_mov_b32_e32 v26, s7
	v_cmp_gt_i32_e64 s[20:21], s27, v12
	v_mov_b32_e32 v27, 0
	scratch_store_dword off, v9, off
	scratch_store_dwordx3 off, v[30:32], off offset:4
	v_cndmask_b32_e64 v15, v26, v15, s[20:21]
	v_cndmask_b32_e64 v14, v27, v14, s[20:21]
	flat_load_dwordx4 v[14:17], v[14:15]
	s_lshl_b32 s16, s8, 3
	v_add_u32_e32 v10, s16, v10
	v_ashrrev_i32_e32 v11, 31, v10
	s_movk_i32 s4, 0x110
	v_add_u32_e32 v13, 8, v12
	v_lshl_add_u64 v[18:19], v[10:11], 2, v[2:3]
	v_mad_u32_u24 v28, v12, s4, v8
	v_lshl_add_u64 v[18:19], v[18:19], 0, v[8:9]
	v_cmp_gt_i32_e64 s[6:7], s27, v13
	scratch_store_dword off, v9, off
	scratch_store_dwordx3 off, v[30:32], off offset:4
	v_cndmask_b32_e64 v19, v26, v19, s[6:7]
	v_cndmask_b32_e64 v18, v27, v18, s[6:7]
	v_add_u32_e32 v10, s16, v10
	v_ashrrev_i32_e32 v11, 31, v10
	v_lshl_add_u64 v[20:21], v[10:11], 2, v[2:3]
	v_lshl_add_u64 v[20:21], v[20:21], 0, v[8:9]
	v_add_u32_e32 v10, s16, v10
	v_ashrrev_i32_e32 v11, 31, v10
	s_cmp_lg_u64 s[40:41], 0
	v_mul_lo_u32 v5, v5, s22
	s_cselect_b64 s[18:19], -1, 0
	v_cmp_gt_i32_e32 vcc, s27, v4
	s_waitcnt vmcnt(0) lgkmcnt(0)
	ds_write_b128 v28, v[14:17]
	flat_load_dwordx4 v[16:19], v[18:19]
	v_add_u32_e32 v14, 16, v12
	v_cmp_gt_i32_e64 s[4:5], s27, v14
	scratch_store_dword off, v9, off
	scratch_store_dwordx3 off, v[30:32], off offset:4
	v_cndmask_b32_e64 v21, v26, v21, s[4:5]
	v_cndmask_b32_e64 v20, v27, v20, s[4:5]
	v_add_u32_e32 v15, 24, v12
	v_cmp_gt_i32_e64 s[8:9], s27, v15
	s_waitcnt vmcnt(0) lgkmcnt(0)
	ds_write_b128 v28, v[16:19] offset:2176
	flat_load_dwordx4 v[16:19], v[20:21]
	v_lshl_add_u64 v[20:21], v[10:11], 2, v[2:3]
	v_lshl_add_u64 v[20:21], v[20:21], 0, v[8:9]
	v_cndmask_b32_e64 v21, v26, v21, s[8:9]
	v_cndmask_b32_e64 v20, v27, v20, s[8:9]
	scratch_store_dword off, v9, off
	scratch_store_dwordx3 off, v[30:32], off offset:4
	v_add_u32_e32 v10, s16, v10
	v_ashrrev_i32_e32 v11, 31, v10
	v_lshl_add_u64 v[22:23], v[10:11], 2, v[2:3]
	v_lshl_add_u64 v[22:23], v[22:23], 0, v[8:9]
	v_add_u32_e32 v10, s16, v10
	v_ashrrev_i32_e32 v11, 31, v10
	s_waitcnt vmcnt(0) lgkmcnt(0)
	ds_write_b128 v28, v[16:19] offset:4352
	flat_load_dwordx4 v[18:21], v[20:21]
	v_add_u32_e32 v16, 32, v12
	v_cmp_gt_i32_e64 s[10:11], s27, v16
	scratch_store_dword off, v9, off
	scratch_store_dwordx3 off, v[30:32], off offset:4
	v_cndmask_b32_e64 v23, v26, v23, s[10:11]
	v_cndmask_b32_e64 v22, v27, v22, s[10:11]
	v_add_u32_e32 v17, 40, v12
	v_cmp_gt_i32_e64 s[12:13], s27, v17
	s_waitcnt vmcnt(0) lgkmcnt(0)
	ds_write_b128 v28, v[18:21] offset:6528
	flat_load_dwordx4 v[18:21], v[22:23]
	v_lshl_add_u64 v[22:23], v[10:11], 2, v[2:3]
	v_lshl_add_u64 v[22:23], v[22:23], 0, v[8:9]
	v_cndmask_b32_e64 v23, v26, v23, s[12:13]
	v_cndmask_b32_e64 v22, v27, v22, s[12:13]
	scratch_store_dword off, v9, off
	scratch_store_dwordx3 off, v[30:32], off offset:4
	v_add_u32_e32 v10, s16, v10
	v_ashrrev_i32_e32 v11, 31, v10
	v_lshl_add_u64 v[24:25], v[10:11], 2, v[2:3]
	v_lshl_add_u64 v[24:25], v[24:25], 0, v[8:9]
	v_add_u32_e32 v10, s16, v10
	v_ashrrev_i32_e32 v11, 31, v10
	v_lshl_add_u64 v[2:3], v[10:11], 2, v[2:3]
	v_lshl_add_u64 v[2:3], v[2:3], 0, v[8:9]
	v_mul_u32_u24_e32 v11, 0x110, v4
	v_add_u32_e32 v10, s26, v5
	v_cndmask_b32_e64 v5, 0, 1, s[18:19]
	v_cmp_ne_u32_e64 s[18:19], 1, v5
	s_waitcnt vmcnt(0) lgkmcnt(0)
	ds_write_b128 v28, v[18:21] offset:8704
	flat_load_dwordx4 v[20:23], v[22:23]
	v_add_u32_e32 v18, 48, v12
	v_cmp_gt_i32_e64 s[14:15], s27, v18
	scratch_store_dword off, v9, off
	scratch_store_dwordx3 off, v[30:32], off offset:4
	v_cndmask_b32_e64 v25, v26, v25, s[14:15]
	v_cndmask_b32_e64 v24, v27, v24, s[14:15]
	v_add_u32_e32 v19, 56, v12
	v_cmp_gt_i32_e64 s[16:17], s27, v19
	s_waitcnt vmcnt(0) lgkmcnt(0)
	ds_write_b128 v28, v[20:23] offset:10880
	flat_load_dwordx4 v[20:23], v[24:25]
	v_cndmask_b32_e64 v3, v26, v3, s[16:17]
	v_cndmask_b32_e64 v2, v27, v2, s[16:17]
	scratch_store_dword off, v9, off
	scratch_store_dwordx3 off, v[30:32], off offset:4
	s_waitcnt vmcnt(0) lgkmcnt(0)
	ds_write_b128 v28, v[20:23] offset:13056
	flat_load_dwordx4 v[20:23], v[2:3]
	v_mov_b32_e32 v2, v9
	v_mov_b32_e32 v3, v9
	s_waitcnt vmcnt(0) lgkmcnt(0)
	ds_write_b128 v28, v[20:23] offset:15232
	s_waitcnt lgkmcnt(0)
	s_barrier
	ds_read_b128 v[20:23], v11
	ds_read_b128 v[24:27], v52
	ds_read_b128 v[30:33], v11 offset:8704
	s_waitcnt lgkmcnt(1)
	;;#ASMSTART
	v_dot2_f32_f16 v2, v20, v24, v2
	;;#ASMEND
	s_nop 0
	;;#ASMSTART
	v_dot2_f32_f16 v2, v21, v25, v2
	;;#ASMEND
	s_nop 0
	;;#ASMSTART
	v_dot2_f32_f16 v2, v22, v26, v2
	;;#ASMEND
	s_nop 0
	;;#ASMSTART
	v_dot2_f32_f16 v2, v23, v27, v2
	;;#ASMEND
	s_waitcnt lgkmcnt(0)
	;;#ASMSTART
	v_dot2_f32_f16 v3, v30, v24, v3
	;;#ASMEND
	s_nop 0
	;;#ASMSTART
	v_dot2_f32_f16 v3, v31, v25, v3
	;;#ASMEND
	s_nop 0
	;;#ASMSTART
	v_dot2_f32_f16 v3, v32, v26, v3
	;;#ASMEND
	s_nop 0
	;;#ASMSTART
	v_dot2_f32_f16 v3, v33, v27, v3
	;;#ASMEND
	ds_read_b128 v[20:23], v11 offset:16
	ds_read_b128 v[24:27], v52 offset:16
	ds_read_b128 v[30:33], v11 offset:8720
	s_waitcnt lgkmcnt(1)
	;;#ASMSTART
	v_dot2_f32_f16 v2, v20, v24, v2
	;;#ASMEND
	s_nop 0
	;;#ASMSTART
	v_dot2_f32_f16 v2, v21, v25, v2
	;;#ASMEND
	s_nop 0
	;;#ASMSTART
	v_dot2_f32_f16 v2, v22, v26, v2
	;;#ASMEND
	s_nop 0
	;;#ASMSTART
	v_dot2_f32_f16 v2, v23, v27, v2
	;;#ASMEND
	s_waitcnt lgkmcnt(0)
	;;#ASMSTART
	v_dot2_f32_f16 v3, v30, v24, v3
	;;#ASMEND
	s_nop 0
	;;#ASMSTART
	v_dot2_f32_f16 v3, v31, v25, v3
	;;#ASMEND
	s_nop 0
	;;#ASMSTART
	v_dot2_f32_f16 v3, v32, v26, v3
	;;#ASMEND
	s_nop 0
	;;#ASMSTART
	v_dot2_f32_f16 v3, v33, v27, v3
	;;#ASMEND
	ds_read_b128 v[20:23], v11 offset:32
	ds_read_b128 v[24:27], v52 offset:32
	;; [unrolled: 35-line block ×15, first 2 shown]
	ds_read_b128 v[30:33], v11 offset:8944
	s_waitcnt lgkmcnt(1)
	;;#ASMSTART
	v_dot2_f32_f16 v2, v20, v24, v2
	;;#ASMEND
	s_nop 0
	;;#ASMSTART
	v_dot2_f32_f16 v2, v21, v25, v2
	;;#ASMEND
	s_nop 0
	;;#ASMSTART
	v_dot2_f32_f16 v2, v22, v26, v2
	;;#ASMEND
	v_mov_b32_e32 v22, v6
	;;#ASMSTART
	v_dot2_f32_f16 v2, v23, v27, v2
	;;#ASMEND
	s_waitcnt lgkmcnt(0)
	;;#ASMSTART
	v_dot2_f32_f16 v3, v30, v24, v3
	;;#ASMEND
	s_nop 0
	;;#ASMSTART
	v_dot2_f32_f16 v3, v31, v25, v3
	;;#ASMEND
	s_nop 0
	;; [unrolled: 4-line block ×3, first 2 shown]
	;;#ASMSTART
	v_dot2_f32_f16 v3, v33, v27, v3
	;;#ASMEND
	s_and_saveexec_b64 s[22:23], vcc
	s_cbranch_execz .LBB65_23
; %bb.20:
	s_and_b64 vcc, exec, s[18:19]
	s_cbranch_vccnz .LBB65_22
; %bb.21:
	v_add_u32_e32 v20, v10, v4
	v_ashrrev_i32_e32 v21, 31, v20
	v_lshl_add_u64 v[20:21], v[20:21], 1, s[40:41]
	global_load_ushort v5, v[20:21], off
	s_waitcnt vmcnt(0)
	v_cvt_f32_f16_e32 v5, v5
	v_mul_f32_e32 v9, v51, v5
.LBB65_22:
	v_add_f32_e32 v2, v2, v9
	v_add_f32_e32 v5, 0x40051340, v2
	v_max_f32_e32 v9, v6, v6
	v_max_f32_e32 v22, v9, v5
.LBB65_23:
	s_or_b64 exec, exec, s[22:23]
	v_add_u32_e32 v9, 32, v4
	v_cmp_gt_i32_e32 vcc, s27, v9
	s_and_saveexec_b64 s[22:23], vcc
	s_cbranch_execz .LBB65_28
; %bb.24:
	s_and_b64 vcc, exec, s[18:19]
	s_cbranch_vccnz .LBB65_26
; %bb.25:
	v_ashrrev_i32_e32 v11, 31, v10
	v_mov_b32_e32 v5, 0
	v_lshl_add_u64 v[10:11], v[10:11], 0, v[4:5]
	v_lshl_add_u64 v[10:11], v[10:11], 1, s[40:41]
	global_load_ushort v5, v[10:11], off offset:64
	s_waitcnt vmcnt(0)
	v_cvt_f32_f16_e32 v5, v5
	v_mul_f32_e32 v5, v51, v5
	s_branch .LBB65_27
.LBB65_26:
	v_mov_b32_e32 v5, 0
.LBB65_27:
	v_add_f32_e32 v3, v3, v5
	v_add_f32_e32 v5, 0x40051340, v3
	v_max_f32_e32 v10, v22, v22
	v_max_f32_e32 v22, v10, v5
.LBB65_28:
	s_or_b64 exec, exec, s[22:23]
	v_mbcnt_hi_u32_b32 v10, -1, v53
	v_and_b32_e32 v5, 0x60, v10
	v_add_u32_e32 v11, 32, v5
	v_xor_b32_e32 v21, 16, v10
	v_cmp_lt_i32_e32 vcc, v21, v11
	v_xor_b32_e32 v20, 8, v10
	s_mov_b32 s23, 0x3fb8aa3b
	v_cndmask_b32_e32 v5, v10, v21, vcc
	v_lshlrev_b32_e32 v5, 2, v5
	ds_bpermute_b32 v5, v5, v22
	v_cmp_lt_i32_e32 vcc, v20, v11
	v_max_f32_e32 v22, v22, v22
	s_mov_b64 s[18:19], src_private_base
	v_cndmask_b32_e32 v23, v10, v20, vcc
	s_waitcnt lgkmcnt(0)
	v_max_f32_e32 v5, v5, v5
	v_lshlrev_b32_e32 v23, 2, v23
	v_max_f32_e32 v5, v22, v5
	ds_bpermute_b32 v23, v23, v5
	v_xor_b32_e32 v22, 4, v10
	v_cmp_lt_i32_e32 vcc, v22, v11
	s_mov_b32 s18, 0xc2ce8ed0
	s_mov_b32 s22, 0x42b17218
	v_cndmask_b32_e32 v24, v10, v22, vcc
	s_waitcnt lgkmcnt(0)
	v_max_f32_e32 v23, v23, v23
	v_lshlrev_b32_e32 v24, 2, v24
	v_max_f32_e32 v5, v5, v23
	ds_bpermute_b32 v24, v24, v5
	v_xor_b32_e32 v23, 2, v10
	v_cmp_lt_i32_e32 vcc, v23, v11
	v_mov_b32_e32 v28, 0x7f800000
	v_mul_lo_u32 v32, s2, v12
	v_cndmask_b32_e32 v25, v10, v23, vcc
	s_waitcnt lgkmcnt(0)
	v_max_f32_e32 v24, v24, v24
	v_lshlrev_b32_e32 v25, 2, v25
	v_max_f32_e32 v5, v5, v24
	ds_bpermute_b32 v25, v25, v5
	v_xor_b32_e32 v24, 1, v10
	v_cmp_lt_i32_e32 vcc, v24, v11
	s_mov_b32 s40, 0
	v_ashrrev_i32_e32 v33, 31, v32
	v_cndmask_b32_e32 v26, v10, v24, vcc
	s_waitcnt lgkmcnt(0)
	v_max_f32_e32 v25, v25, v25
	v_lshlrev_b32_e32 v26, 2, v26
	v_max_f32_e32 v5, v5, v25
	ds_bpermute_b32 v25, v26, v5
	s_waitcnt lgkmcnt(0)
	s_barrier
	s_mov_b32 s41, s40
	v_max_f32_e32 v25, v25, v25
	v_max_f32_e32 v25, v5, v25
	v_sub_f32_e32 v2, v2, v25
	v_mul_f32_e32 v5, 0x3fb8aa3b, v2
	v_fma_f32 v26, v2, s23, -v5
	v_rndne_f32_e32 v27, v5
	v_fmac_f32_e32 v26, 0x32a5705f, v2
	v_sub_f32_e32 v5, v5, v27
	v_add_f32_e32 v5, v5, v26
	v_exp_f32_e32 v26, v5
	v_cvt_i32_f32_e32 v27, v27
	v_cmp_ngt_f32_e32 vcc, s18, v2
	v_sub_f32_e32 v3, v3, v25
	v_lshlrev_b32_e32 v5, 7, v50
	v_ldexp_f32 v26, v26, v27
	v_cndmask_b32_e32 v26, 0, v26, vcc
	v_cmp_nlt_f32_e32 vcc, s22, v2
	s_mov_b32 s42, s40
	v_mov_b32_e32 v38, s40
	v_cndmask_b32_e32 v2, v28, v26, vcc
	v_mul_f32_e32 v26, 0x3fb8aa3b, v3
	v_fma_f32 v27, v3, s23, -v26
	v_rndne_f32_e32 v30, v26
	v_fmac_f32_e32 v27, 0x32a5705f, v3
	v_sub_f32_e32 v26, v26, v30
	v_add_f32_e32 v26, v26, v27
	v_exp_f32_e32 v27, v26
	v_cvt_i32_f32_e32 v30, v30
	v_cmp_gt_u32_e32 vcc, s27, v4
	v_mov_b32_e32 v39, s41
	v_mov_b32_e32 v40, s42
	v_cndmask_b32_e32 v26, 0, v2, vcc
	v_ldexp_f32 v27, v27, v30
	v_cmp_ngt_f32_e32 vcc, s18, v3
	v_cvt_f16_f32_e32 v2, v26
	v_mov_b32_e32 v36, s19
	v_cndmask_b32_e32 v27, 0, v27, vcc
	v_cmp_nlt_f32_e32 vcc, s22, v3
	v_mov_b32_e32 v37, 0
	v_lshl_or_b32 v12, v12, 8, v8
	v_cndmask_b32_e32 v3, v28, v27, vcc
	v_cmp_gt_u32_e32 vcc, s27, v9
	v_lshlrev_b32_e32 v9, 1, v4
	s_movk_i32 s27, 0x4800
	v_cndmask_b32_e32 v27, 0, v3, vcc
	v_cvt_f16_f32_e32 v3, v27
	v_add3_u32 v9, v5, s27, v9
	s_mul_hi_i32 s27, s26, s2
	s_mul_i32 s26, s26, s2
	s_lshl_b64 s[26:27], s[26:27], 2
	v_lshl_add_u64 v[30:31], v[0:1], 0, s[26:27]
	ds_write_b16 v9, v2
	ds_write_b16 v9, v3 offset:64
	v_lshl_add_u64 v[0:1], v[32:33], 2, v[30:31]
	v_mov_b32_e32 v9, 0
	v_lshl_add_u64 v[0:1], v[0:1], 0, v[8:9]
	scratch_store_dword off, v9, off
	scratch_store_dwordx3 off, v[38:40], off offset:4
	v_cndmask_b32_e64 v1, v36, v1, s[20:21]
	v_cndmask_b32_e64 v0, v37, v0, s[20:21]
	flat_load_dwordx4 v[0:3], v[0:1]
	s_lshl_b32 s2, s2, 3
	v_add_u32_e32 v32, s2, v32
	v_ashrrev_i32_e32 v33, 31, v32
	v_lshl_add_u64 v[34:35], v[32:33], 2, v[30:31]
	v_lshl_add_u64 v[34:35], v[34:35], 0, v[8:9]
	v_cndmask_b32_e64 v35, v36, v35, s[6:7]
	v_cndmask_b32_e64 v34, v37, v34, s[6:7]
	scratch_store_dword off, v9, off
	scratch_store_dwordx3 off, v[38:40], off offset:4
	v_lshl_or_b32 v14, v14, 8, v8
	v_lshl_or_b32 v16, v16, 8, v8
	v_sub_f32_e32 v6, v6, v25
	v_cmp_ngt_f32_e32 vcc, s18, v6
	v_add_u32_e32 v82, 0x1000, v48
	v_add_u32_e32 v98, 0x1800, v48
	;; [unrolled: 1-line block ×6, first 2 shown]
	s_waitcnt vmcnt(0) lgkmcnt(0)
	ds_write_b128 v12, v[0:3]
	flat_load_dwordx4 v[0:3], v[34:35]
	v_add_u32_e32 v12, s2, v32
	v_lshl_or_b32 v34, v13, 8, v8
	v_ashrrev_i32_e32 v13, 31, v12
	v_lshl_add_u64 v[32:33], v[12:13], 2, v[30:31]
	v_lshl_add_u64 v[32:33], v[32:33], 0, v[8:9]
	v_cndmask_b32_e64 v33, v36, v33, s[4:5]
	v_cndmask_b32_e64 v32, v37, v32, s[4:5]
	scratch_store_dword off, v9, off
	scratch_store_dwordx3 off, v[38:40], off offset:4
	v_add_u32_e32 v12, s2, v12
	v_ashrrev_i32_e32 v13, 31, v12
	s_waitcnt vmcnt(0) lgkmcnt(0)
	ds_write_b128 v34, v[0:3]
	flat_load_dwordx4 v[0:3], v[32:33]
	v_lshl_add_u64 v[32:33], v[12:13], 2, v[30:31]
	v_lshl_add_u64 v[32:33], v[32:33], 0, v[8:9]
	v_cndmask_b32_e64 v33, v36, v33, s[8:9]
	v_cndmask_b32_e64 v32, v37, v32, s[8:9]
	scratch_store_dword off, v9, off
	scratch_store_dwordx3 off, v[38:40], off offset:4
	v_add_u32_e32 v12, s2, v12
	v_ashrrev_i32_e32 v13, 31, v12
	s_waitcnt vmcnt(0) lgkmcnt(0)
	ds_write_b128 v14, v[0:3]
	flat_load_dwordx4 v[0:3], v[32:33]
	v_lshl_or_b32 v32, v15, 8, v8
	v_lshl_add_u64 v[14:15], v[12:13], 2, v[30:31]
	v_lshl_add_u64 v[14:15], v[14:15], 0, v[8:9]
	v_cndmask_b32_e64 v15, v36, v15, s[10:11]
	v_cndmask_b32_e64 v14, v37, v14, s[10:11]
	scratch_store_dword off, v9, off
	scratch_store_dwordx3 off, v[38:40], off offset:4
	v_add_u32_e32 v12, s2, v12
	v_ashrrev_i32_e32 v13, 31, v12
	s_waitcnt vmcnt(0) lgkmcnt(0)
	ds_write_b128 v32, v[0:3]
	flat_load_dwordx4 v[0:3], v[14:15]
	v_lshl_add_u64 v[14:15], v[12:13], 2, v[30:31]
	v_lshl_add_u64 v[14:15], v[14:15], 0, v[8:9]
	v_cndmask_b32_e64 v15, v36, v15, s[12:13]
	v_cndmask_b32_e64 v14, v37, v14, s[12:13]
	scratch_store_dword off, v9, off
	scratch_store_dwordx3 off, v[38:40], off offset:4
	v_add_u32_e32 v12, s2, v12
	v_ashrrev_i32_e32 v13, 31, v12
	s_waitcnt vmcnt(0) lgkmcnt(0)
	ds_write_b128 v16, v[0:3]
	flat_load_dwordx4 v[0:3], v[14:15]
	v_lshl_add_u64 v[14:15], v[12:13], 2, v[30:31]
	v_lshl_or_b32 v16, v17, 8, v8
	v_lshl_add_u64 v[14:15], v[14:15], 0, v[8:9]
	v_cndmask_b32_e64 v15, v36, v15, s[14:15]
	v_cndmask_b32_e64 v14, v37, v14, s[14:15]
	scratch_store_dword off, v9, off
	scratch_store_dwordx3 off, v[38:40], off offset:4
	v_add_u32_e32 v12, s2, v12
	v_ashrrev_i32_e32 v13, 31, v12
	v_lshl_add_u64 v[12:13], v[12:13], 2, v[30:31]
	v_lshl_add_u64 v[12:13], v[12:13], 0, v[8:9]
	v_cndmask_b32_e64 v13, v36, v13, s[16:17]
	v_cndmask_b32_e64 v12, v37, v12, s[16:17]
	s_mov_b32 s2, 0x10001
	s_waitcnt vmcnt(0) lgkmcnt(0)
	ds_write_b128 v16, v[0:3]
	flat_load_dwordx4 v[0:3], v[14:15]
	v_lshl_or_b32 v14, v18, 8, v8
	scratch_store_dword off, v9, off
	scratch_store_dwordx3 off, v[38:40], off offset:4
	v_lshl_or_b32 v8, v19, 8, v8
	v_add_u32_e32 v9, 0x800, v48
	s_waitcnt vmcnt(0) lgkmcnt(0)
	ds_write_b128 v14, v[0:3]
	flat_load_dwordx4 v[0:3], v[12:13]
	v_mul_f32_e32 v12, 0x3fb8aa3b, v6
	v_fma_f32 v13, v6, s23, -v12
	v_rndne_f32_e32 v14, v12
	v_fmac_f32_e32 v13, 0x32a5705f, v6
	v_sub_f32_e32 v12, v12, v14
	v_add_f32_e32 v12, v12, v13
	v_cvt_i32_f32_e32 v14, v14
	v_exp_f32_e32 v12, v12
	s_waitcnt vmcnt(0) lgkmcnt(0)
	ds_write_b128 v8, v[0:3]
	v_ldexp_f32 v12, v12, v14
	v_cndmask_b32_e32 v12, 0, v12, vcc
	v_cmp_nlt_f32_e32 vcc, s22, v6
	v_mov_b32_e32 v6, v25
	v_add_f32_e32 v25, v26, v27
	v_cndmask_b32_e32 v12, v28, v12, vcc
	v_cvt_f16_f32_e32 v13, v12
	v_fmac_f32_e32 v25, v7, v12
	s_waitcnt lgkmcnt(0)
	s_barrier
	v_mul_u32_u24_e32 v7, 0x10001, v13
	ds_read2_b64 v[0:3], v48 offset1:32
	ds_read_b128 v[12:15], v5 offset:18432
	ds_read_b128 v[16:19], v5 offset:18448
	;; [unrolled: 1-line block ×4, first 2 shown]
	ds_read2_b64 v[38:41], v48 offset0:64 offset1:96
	ds_read2_b64 v[42:45], v48 offset0:128 offset1:160
	ds_read2_b64 v[50:53], v48 offset0:192 offset1:224
	ds_read2_b64 v[54:57], v9 offset1:32
	ds_read2_b64 v[58:61], v9 offset0:64 offset1:96
	ds_read2_b64 v[62:65], v9 offset0:128 offset1:160
	ds_read2_b64 v[66:69], v9 offset0:192 offset1:224
	ds_read2_b64 v[70:73], v82 offset1:32
	;; [unrolled: 4-line block ×4, first 2 shown]
	ds_read2_b64 v[106:109], v114 offset0:64 offset1:96
	ds_read2_b64 v[110:113], v114 offset0:128 offset1:160
	;; [unrolled: 1-line block ×3, first 2 shown]
	s_waitcnt lgkmcnt(14)
	v_mul_u32_u24_sdwa v8, v12, s2 dst_sel:DWORD dst_unused:UNUSED_PAD src0_sel:WORD_0 src1_sel:DWORD
	v_pk_mul_f16 v0, v0, v8
	v_pk_mul_f16 v1, v1, v8
	v_mul_u32_u24_sdwa v9, v12, s2 dst_sel:DWORD dst_unused:UNUSED_PAD src0_sel:WORD_1 src1_sel:DWORD
	v_pk_fma_f16 v0, v49, v7, v0
	v_pk_fma_f16 v1, v29, v7, v1
	v_mul_u32_u24_sdwa v26, v13, s2 dst_sel:DWORD dst_unused:UNUSED_PAD src0_sel:WORD_0 src1_sel:DWORD
	v_pk_fma_f16 v0, v2, v9, v0
	v_pk_fma_f16 v1, v3, v9, v1
	v_mul_u32_u24_sdwa v27, v13, s2 dst_sel:DWORD dst_unused:UNUSED_PAD src0_sel:WORD_1 src1_sel:DWORD
	v_pk_fma_f16 v0, v38, v26, v0
	v_pk_fma_f16 v1, v39, v26, v1
	v_mul_u32_u24_sdwa v28, v14, s2 dst_sel:DWORD dst_unused:UNUSED_PAD src0_sel:WORD_0 src1_sel:DWORD
	v_pk_fma_f16 v26, v40, v27, v0
	v_pk_fma_f16 v27, v41, v27, v1
	v_mul_u32_u24_sdwa v48, v14, s2 dst_sel:DWORD dst_unused:UNUSED_PAD src0_sel:WORD_1 src1_sel:DWORD
	v_pk_fma_f16 v26, v42, v28, v26
	v_pk_fma_f16 v27, v43, v28, v27
	v_mul_u32_u24_sdwa v121, v15, s2 dst_sel:DWORD dst_unused:UNUSED_PAD src0_sel:WORD_0 src1_sel:DWORD
	v_mul_u32_u24_sdwa v127, v30, s2 dst_sel:DWORD dst_unused:UNUSED_PAD src0_sel:WORD_0 src1_sel:DWORD
	v_mul_u32_u24_sdwa v128, v30, s2 dst_sel:DWORD dst_unused:UNUSED_PAD src0_sel:WORD_1 src1_sel:DWORD
	v_pk_fma_f16 v30, v44, v48, v26
	v_pk_fma_f16 v38, v45, v48, v27
	v_mul_u32_u24_sdwa v122, v15, s2 dst_sel:DWORD dst_unused:UNUSED_PAD src0_sel:WORD_1 src1_sel:DWORD
	v_mul_u32_u24_sdwa v129, v31, s2 dst_sel:DWORD dst_unused:UNUSED_PAD src0_sel:WORD_0 src1_sel:DWORD
	v_mul_u32_u24_sdwa v130, v31, s2 dst_sel:DWORD dst_unused:UNUSED_PAD src0_sel:WORD_1 src1_sel:DWORD
	v_pk_fma_f16 v30, v50, v121, v30
	v_pk_fma_f16 v31, v51, v121, v38
	v_mul_u32_u24_sdwa v49, v16, s2 dst_sel:DWORD dst_unused:UNUSED_PAD src0_sel:WORD_0 src1_sel:DWORD
	v_pk_fma_f16 v38, v52, v122, v30
	v_pk_fma_f16 v39, v53, v122, v31
	v_mul_u32_u24_sdwa v7, v16, s2 dst_sel:DWORD dst_unused:UNUSED_PAD src0_sel:WORD_1 src1_sel:DWORD
	v_pk_fma_f16 v42, v54, v49, v38
	v_pk_fma_f16 v43, v55, v49, v39
	v_mul_u32_u24_sdwa v8, v17, s2 dst_sel:DWORD dst_unused:UNUSED_PAD src0_sel:WORD_0 src1_sel:DWORD
	v_pk_fma_f16 v48, v56, v7, v42
	v_pk_fma_f16 v7, v57, v7, v43
	v_mul_u32_u24_sdwa v9, v17, s2 dst_sel:DWORD dst_unused:UNUSED_PAD src0_sel:WORD_1 src1_sel:DWORD
	v_pk_fma_f16 v48, v58, v8, v48
	v_pk_fma_f16 v7, v59, v8, v7
	ds_read2_b64 v[12:15], v118 offset1:32
	v_mul_u32_u24_sdwa v123, v18, s2 dst_sel:DWORD dst_unused:UNUSED_PAD src0_sel:WORD_0 src1_sel:DWORD
	v_mul_u32_u24_sdwa v124, v18, s2 dst_sel:DWORD dst_unused:UNUSED_PAD src0_sel:WORD_1 src1_sel:DWORD
	v_mul_u32_u24_sdwa v125, v19, s2 dst_sel:DWORD dst_unused:UNUSED_PAD src0_sel:WORD_0 src1_sel:DWORD
	v_mul_u32_u24_sdwa v126, v19, s2 dst_sel:DWORD dst_unused:UNUSED_PAD src0_sel:WORD_1 src1_sel:DWORD
	ds_read_b128 v[0:3], v5 offset:18496
	ds_read_b128 v[16:19], v5 offset:18512
	v_mul_u32_u24_sdwa v131, v32, s2 dst_sel:DWORD dst_unused:UNUSED_PAD src0_sel:WORD_0 src1_sel:DWORD
	v_mul_u32_u24_sdwa v132, v32, s2 dst_sel:DWORD dst_unused:UNUSED_PAD src0_sel:WORD_1 src1_sel:DWORD
	v_mul_u32_u24_sdwa v133, v33, s2 dst_sel:DWORD dst_unused:UNUSED_PAD src0_sel:WORD_0 src1_sel:DWORD
	v_mul_u32_u24_sdwa v134, v33, s2 dst_sel:DWORD dst_unused:UNUSED_PAD src0_sel:WORD_1 src1_sel:DWORD
	ds_read2_b64 v[26:29], v118 offset0:64 offset1:96
	ds_read2_b64 v[30:33], v118 offset0:128 offset1:160
	;; [unrolled: 1-line block ×3, first 2 shown]
	v_mul_u32_u24_sdwa v118, v34, s2 dst_sel:DWORD dst_unused:UNUSED_PAD src0_sel:WORD_0 src1_sel:DWORD
	v_mul_u32_u24_sdwa v8, v34, s2 dst_sel:DWORD dst_unused:UNUSED_PAD src0_sel:WORD_1 src1_sel:DWORD
	v_pk_fma_f16 v34, v60, v9, v48
	v_pk_fma_f16 v7, v61, v9, v7
	s_waitcnt lgkmcnt(14)
	v_pk_fma_f16 v48, v62, v123, v34
	v_pk_fma_f16 v7, v63, v123, v7
	v_pk_fma_f16 v52, v64, v124, v48
	v_pk_fma_f16 v7, v65, v124, v7
	v_pk_fma_f16 v52, v66, v125, v52
	v_pk_fma_f16 v7, v67, v125, v7
	s_waitcnt lgkmcnt(4)
	v_mul_u32_u24_sdwa v64, v0, s2 dst_sel:DWORD dst_unused:UNUSED_PAD src0_sel:WORD_0 src1_sel:DWORD
	v_mul_u32_u24_sdwa v65, v0, s2 dst_sel:DWORD dst_unused:UNUSED_PAD src0_sel:WORD_1 src1_sel:DWORD
	v_pk_fma_f16 v0, v68, v126, v52
	v_pk_fma_f16 v7, v69, v126, v7
	v_mul_u32_u24_sdwa v9, v35, s2 dst_sel:DWORD dst_unused:UNUSED_PAD src0_sel:WORD_0 src1_sel:DWORD
	v_mul_u32_u24_sdwa v60, v35, s2 dst_sel:DWORD dst_unused:UNUSED_PAD src0_sel:WORD_1 src1_sel:DWORD
	v_mul_u32_u24_sdwa v121, v36, s2 dst_sel:DWORD dst_unused:UNUSED_PAD src0_sel:WORD_0 src1_sel:DWORD
	v_mul_u32_u24_sdwa v122, v36, s2 dst_sel:DWORD dst_unused:UNUSED_PAD src0_sel:WORD_1 src1_sel:DWORD
	v_mul_u32_u24_sdwa v135, v37, s2 dst_sel:DWORD dst_unused:UNUSED_PAD src0_sel:WORD_0 src1_sel:DWORD
	v_mul_u32_u24_sdwa v136, v37, s2 dst_sel:DWORD dst_unused:UNUSED_PAD src0_sel:WORD_1 src1_sel:DWORD
	ds_read_b128 v[34:37], v5 offset:18528
	v_pk_fma_f16 v52, v70, v127, v0
	v_pk_fma_f16 v7, v71, v127, v7
	;; [unrolled: 1-line block ×4, first 2 shown]
	s_waitcnt lgkmcnt(4)
	v_mul_u32_u24_sdwa v70, v16, s2 dst_sel:DWORD dst_unused:UNUSED_PAD src0_sel:WORD_0 src1_sel:DWORD
	v_mul_u32_u24_sdwa v71, v16, s2 dst_sel:DWORD dst_unused:UNUSED_PAD src0_sel:WORD_1 src1_sel:DWORD
	v_pk_fma_f16 v16, v74, v129, v56
	v_pk_fma_f16 v7, v75, v129, v7
	;; [unrolled: 1-line block ×4, first 2 shown]
	v_mul_u32_u24_sdwa v72, v17, s2 dst_sel:DWORD dst_unused:UNUSED_PAD src0_sel:WORD_0 src1_sel:DWORD
	v_mul_u32_u24_sdwa v73, v17, s2 dst_sel:DWORD dst_unused:UNUSED_PAD src0_sel:WORD_1 src1_sel:DWORD
	v_mul_u32_u24_sdwa v74, v18, s2 dst_sel:DWORD dst_unused:UNUSED_PAD src0_sel:WORD_0 src1_sel:DWORD
	v_mul_u32_u24_sdwa v75, v18, s2 dst_sel:DWORD dst_unused:UNUSED_PAD src0_sel:WORD_1 src1_sel:DWORD
	;; [unrolled: 2-line block ×3, first 2 shown]
	ds_read_b128 v[16:19], v5 offset:18544
	v_pk_fma_f16 v56, v78, v131, v56
	v_pk_fma_f16 v7, v79, v131, v7
	s_waitcnt lgkmcnt(1)
	v_mul_u32_u24_sdwa v5, v34, s2 dst_sel:DWORD dst_unused:UNUSED_PAD src0_sel:WORD_0 src1_sel:DWORD
	v_mul_u32_u24_sdwa v78, v34, s2 dst_sel:DWORD dst_unused:UNUSED_PAD src0_sel:WORD_1 src1_sel:DWORD
	v_pk_fma_f16 v34, v80, v132, v56
	v_pk_fma_f16 v7, v81, v132, v7
	v_pk_fma_f16 v56, v82, v133, v34
	v_pk_fma_f16 v7, v83, v133, v7
	v_pk_fma_f16 v61, v84, v134, v56
	v_pk_fma_f16 v7, v85, v134, v7
	v_pk_fma_f16 v61, v86, v118, v61
	v_pk_fma_f16 v7, v87, v118, v7
	s_waitcnt lgkmcnt(0)
	v_mul_u32_u24_sdwa v82, v16, s2 dst_sel:DWORD dst_unused:UNUSED_PAD src0_sel:WORD_0 src1_sel:DWORD
	v_mul_u32_u24_sdwa v83, v16, s2 dst_sel:DWORD dst_unused:UNUSED_PAD src0_sel:WORD_1 src1_sel:DWORD
	v_pk_fma_f16 v16, v88, v8, v61
	v_pk_fma_f16 v7, v89, v8, v7
	;; [unrolled: 1-line block ×16, first 2 shown]
	v_mul_u32_u24_sdwa v66, v1, s2 dst_sel:DWORD dst_unused:UNUSED_PAD src0_sel:WORD_0 src1_sel:DWORD
	v_pk_fma_f16 v9, v104, v65, v9
	v_pk_fma_f16 v7, v105, v65, v7
	v_mul_u32_u24_sdwa v67, v1, s2 dst_sel:DWORD dst_unused:UNUSED_PAD src0_sel:WORD_1 src1_sel:DWORD
	v_pk_fma_f16 v9, v106, v66, v9
	v_pk_fma_f16 v7, v107, v66, v7
	v_mul_u32_u24_sdwa v68, v2, s2 dst_sel:DWORD dst_unused:UNUSED_PAD src0_sel:WORD_0 src1_sel:DWORD
	v_pk_fma_f16 v9, v108, v67, v9
	v_pk_fma_f16 v7, v109, v67, v7
	v_mul_u32_u24_sdwa v69, v2, s2 dst_sel:DWORD dst_unused:UNUSED_PAD src0_sel:WORD_1 src1_sel:DWORD
	v_pk_fma_f16 v9, v110, v68, v9
	v_pk_fma_f16 v7, v111, v68, v7
	;; [unrolled: 6-line block ×3, first 2 shown]
	v_pk_fma_f16 v9, v116, v124, v9
	v_pk_fma_f16 v7, v117, v124, v7
	;; [unrolled: 1-line block ×8, first 2 shown]
	ds_read2_b64 v[42:45], v119 offset1:32
	v_pk_fma_f16 v9, v28, v73, v9
	v_pk_fma_f16 v7, v29, v73, v7
	;; [unrolled: 1-line block ×4, first 2 shown]
	ds_read2_b64 v[48:51], v119 offset0:64 offset1:96
	v_pk_fma_f16 v9, v32, v75, v9
	v_pk_fma_f16 v7, v33, v75, v7
	;; [unrolled: 1-line block ×4, first 2 shown]
	ds_read2_b64 v[0:3], v119 offset0:128 offset1:160
	v_pk_fma_f16 v9, v40, v77, v9
	v_pk_fma_f16 v7, v41, v77, v7
	s_waitcnt lgkmcnt(2)
	v_pk_fma_f16 v9, v42, v5, v9
	v_pk_fma_f16 v5, v43, v5, v7
	ds_read2_b64 v[52:55], v119 offset0:192 offset1:224
	v_mul_u32_u24_sdwa v79, v35, s2 dst_sel:DWORD dst_unused:UNUSED_PAD src0_sel:WORD_0 src1_sel:DWORD
	v_pk_fma_f16 v7, v44, v78, v9
	v_pk_fma_f16 v5, v45, v78, v5
	v_mul_u32_u24_sdwa v80, v35, s2 dst_sel:DWORD dst_unused:UNUSED_PAD src0_sel:WORD_1 src1_sel:DWORD
	s_waitcnt lgkmcnt(2)
	v_pk_fma_f16 v7, v48, v79, v7
	v_pk_fma_f16 v5, v49, v79, v5
	v_mul_u32_u24_sdwa v81, v36, s2 dst_sel:DWORD dst_unused:UNUSED_PAD src0_sel:WORD_0 src1_sel:DWORD
	v_mul_u32_u24_sdwa v119, v36, s2 dst_sel:DWORD dst_unused:UNUSED_PAD src0_sel:WORD_1 src1_sel:DWORD
	v_mul_u32_u24_sdwa v125, v37, s2 dst_sel:DWORD dst_unused:UNUSED_PAD src0_sel:WORD_0 src1_sel:DWORD
	v_mul_u32_u24_sdwa v126, v37, s2 dst_sel:DWORD dst_unused:UNUSED_PAD src0_sel:WORD_1 src1_sel:DWORD
	ds_read2_b64 v[34:37], v120 offset1:32
	v_pk_fma_f16 v7, v50, v80, v7
	v_pk_fma_f16 v5, v51, v80, v5
	s_waitcnt lgkmcnt(2)
	v_pk_fma_f16 v0, v0, v81, v7
	v_pk_fma_f16 v1, v1, v81, v5
	ds_read2_b64 v[56:59], v120 offset0:64 offset1:96
	v_pk_fma_f16 v0, v2, v119, v0
	v_pk_fma_f16 v1, v3, v119, v1
	s_waitcnt lgkmcnt(2)
	v_pk_fma_f16 v0, v52, v125, v0
	v_pk_fma_f16 v1, v53, v125, v1
	v_mul_u32_u24_sdwa v8, v17, s2 dst_sel:DWORD dst_unused:UNUSED_PAD src0_sel:WORD_0 src1_sel:DWORD
	v_mul_u32_u24_sdwa v84, v17, s2 dst_sel:DWORD dst_unused:UNUSED_PAD src0_sel:WORD_1 src1_sel:DWORD
	v_mul_u32_u24_sdwa v85, v18, s2 dst_sel:DWORD dst_unused:UNUSED_PAD src0_sel:WORD_0 src1_sel:DWORD
	v_mul_u32_u24_sdwa v86, v18, s2 dst_sel:DWORD dst_unused:UNUSED_PAD src0_sel:WORD_1 src1_sel:DWORD
	;; [unrolled: 2-line block ×3, first 2 shown]
	ds_read2_b64 v[16:19], v120 offset0:128 offset1:160
	v_pk_fma_f16 v0, v54, v126, v0
	v_pk_fma_f16 v1, v55, v126, v1
	s_waitcnt lgkmcnt(2)
	v_pk_fma_f16 v0, v34, v82, v0
	v_pk_fma_f16 v1, v35, v82, v1
	ds_read2_b64 v[60:63], v120 offset0:192 offset1:224
	v_pk_fma_f16 v0, v36, v83, v0
	v_pk_fma_f16 v1, v37, v83, v1
	s_waitcnt lgkmcnt(2)
	v_pk_fma_f16 v0, v56, v8, v0
	v_pk_fma_f16 v1, v57, v8, v1
	v_pk_fma_f16 v0, v58, v84, v0
	v_pk_fma_f16 v1, v59, v84, v1
	s_waitcnt lgkmcnt(1)
	v_pk_fma_f16 v0, v16, v85, v0
	v_pk_fma_f16 v1, v17, v85, v1
	;; [unrolled: 5-line block ×3, first 2 shown]
	v_pk_fma_f16 v49, v62, v88, v0
	v_pk_fma_f16 v29, v63, v88, v1
	v_mov_b32_e32 v7, v25
	s_barrier
.LBB65_29:
	v_cmp_lt_i32_e32 vcc, v21, v11
	s_cmp_eq_u64 s[24:25], 0
	s_cselect_b64 s[4:5], -1, 0
	v_cndmask_b32_e32 v0, v10, v21, vcc
	v_lshlrev_b32_e32 v0, 2, v0
	ds_bpermute_b32 v0, v0, v7
	v_cmp_lt_i32_e32 vcc, v20, v11
	s_cmp_lg_u32 s3, 0
	s_cselect_b64 s[6:7], -1, 0
	v_cndmask_b32_e32 v1, v10, v20, vcc
	v_lshlrev_b32_e32 v1, 2, v1
	s_waitcnt lgkmcnt(0)
	v_add_f32_e32 v0, v7, v0
	ds_bpermute_b32 v1, v1, v0
	v_cmp_lt_i32_e32 vcc, v22, v11
	s_or_b64 s[4:5], s[6:7], s[4:5]
	s_waitcnt lgkmcnt(0)
	v_add_f32_e32 v0, v0, v1
	v_cndmask_b32_e32 v2, v10, v22, vcc
	v_lshlrev_b32_e32 v2, 2, v2
	ds_bpermute_b32 v1, v2, v0
	v_cmp_lt_i32_e32 vcc, v23, v11
	s_waitcnt lgkmcnt(0)
	v_add_f32_e32 v0, v0, v1
	v_cndmask_b32_e32 v2, v10, v23, vcc
	v_lshlrev_b32_e32 v2, 2, v2
	ds_bpermute_b32 v1, v2, v0
	v_cmp_lt_i32_e32 vcc, v24, v11
	s_waitcnt lgkmcnt(0)
	v_add_f32_e32 v0, v0, v1
	v_cndmask_b32_e32 v2, v10, v24, vcc
	v_lshlrev_b32_e32 v2, 2, v2
	ds_bpermute_b32 v1, v2, v0
	s_and_b64 vcc, exec, s[4:5]
	s_waitcnt lgkmcnt(0)
	v_add_f32_e32 v7, v0, v1
	s_cbranch_vccnz .LBB65_32
; %bb.30:
	s_lshl_b64 s[4:5], s[34:35], 2
	s_add_u32 s4, s24, s4
	s_addc_u32 s5, s25, s5
	v_mov_b32_e32 v0, 0
	global_load_dword v1, v0, s[4:5]
	v_max_f32_e32 v0, v6, v6
	s_mov_b32 s2, 0x3fb8aa3b
	s_mov_b32 s4, 0xc2ce8ed0
	s_waitcnt vmcnt(0)
	v_max_f32_e32 v2, v1, v1
	v_max_f32_e32 v0, v0, v2
	v_sub_f32_e32 v2, v6, v0
	v_sub_f32_e32 v1, v1, v0
	v_mul_f32_e32 v3, 0x3fb8aa3b, v2
	v_mul_f32_e32 v5, 0x3fb8aa3b, v1
	v_fma_f32 v6, v2, s2, -v3
	v_rndne_f32_e32 v8, v3
	v_fma_f32 v9, v1, s2, -v5
	v_rndne_f32_e32 v10, v5
	v_fmac_f32_e32 v6, 0x32a5705f, v2
	v_sub_f32_e32 v3, v3, v8
	v_fmac_f32_e32 v9, 0x32a5705f, v1
	v_sub_f32_e32 v5, v5, v10
	v_add_f32_e32 v3, v3, v6
	v_cvt_i32_f32_e32 v8, v8
	v_add_f32_e32 v5, v5, v9
	v_exp_f32_e32 v3, v3
	v_cvt_i32_f32_e32 v10, v10
	v_exp_f32_e32 v5, v5
	v_cmp_ngt_f32_e32 vcc, s4, v2
	v_ldexp_f32 v3, v3, v8
	s_mov_b32 s2, 0x42b17218
	v_ldexp_f32 v5, v5, v10
	v_cndmask_b32_e32 v3, 0, v3, vcc
	v_cmp_ngt_f32_e32 vcc, s4, v1
	v_mov_b32_e32 v6, 0x7f800000
	s_nop 0
	v_cndmask_b32_e32 v5, 0, v5, vcc
	v_cmp_nlt_f32_e32 vcc, s2, v2
	s_nop 1
	v_cndmask_b32_e32 v2, v6, v3, vcc
	v_cvt_f16_f32_e32 v3, v2
	v_cmp_nlt_f32_e32 vcc, s2, v1
	s_nop 1
	v_cndmask_b32_e32 v1, v6, v5, vcc
	v_fmac_f32_e32 v1, v7, v2
	v_mul_u32_u24_e32 v2, 0x10001, v3
	v_pk_mul_f16 v49, v49, v2
	v_pk_mul_f16 v29, v29, v2
	v_mov_b64_e32 v[6:7], v[0:1]
	v_cmp_gt_i32_e32 vcc, s38, v46
	s_and_saveexec_b64 s[4:5], vcc
	s_cbranch_execnz .LBB65_33
.LBB65_31:
	s_endpgm
.LBB65_32:
	v_mov_b32_e32 v1, v7
	v_cmp_gt_i32_e32 vcc, s38, v46
	s_and_saveexec_b64 s[4:5], vcc
	s_cbranch_execz .LBB65_31
.LBB65_33:
	s_load_dword s2, s[0:1], 0xd4
	v_div_scale_f32 v0, s[0:1], v1, v1, 1.0
	v_rcp_f32_e32 v5, v0
	s_mul_i32 s33, s33, s38
	s_waitcnt lgkmcnt(0)
	s_cmp_lg_u32 s2, 1
	s_cselect_b64 s[0:1], -1, 0
	v_fma_f32 v8, -v0, v5, 1.0
	v_fmac_f32_e32 v5, v8, v5
	v_div_scale_f32 v8, vcc, 1.0, v1, 1.0
	v_mul_f32_e32 v9, v8, v5
	v_fma_f32 v10, -v0, v9, v8
	v_fmac_f32_e32 v9, v10, v5
	v_fma_f32 v0, -v0, v9, v8
	v_div_fmas_f32 v0, v0, v5, v9
	v_div_fixup_f32 v0, v0, v1, 1.0
	v_cndmask_b32_e64 v8, v0, 1.0, s[0:1]
	v_add_u32_e32 v0, s33, v46
	v_mul_lo_u32 v0, v0, s39
	v_add_u32_e32 v0, s34, v0
	v_mul_lo_u32 v0, s2, v0
	v_add_u32_e32 v0, s3, v0
	v_mov_b32_e32 v2, s28
	v_mov_b32_e32 v3, s29
	v_lshl_add_u32 v10, v0, 7, v47
	v_mov_b32_e32 v11, 0
	v_lshl_add_u64 v[10:11], v[10:11], 2, v[2:3]
	v_cvt_f32_f16_sdwa v3, v49 dst_sel:DWORD dst_unused:UNUSED_PAD src0_sel:WORD_1
	v_cvt_f32_f16_e32 v2, v49
	v_cvt_f32_f16_sdwa v13, v29 dst_sel:DWORD dst_unused:UNUSED_PAD src0_sel:WORD_1
	v_cvt_f32_f16_e32 v12, v29
	v_cmp_eq_u32_e32 vcc, 0, v4
	s_and_b64 s[0:1], vcc, s[0:1]
	v_pk_mul_f32 v[2:3], v[8:9], v[2:3] op_sel_hi:[0,1]
	v_pk_mul_f32 v[4:5], v[8:9], v[12:13] op_sel_hi:[0,1]
	global_store_dwordx4 v[10:11], v[2:5], off
	s_and_b64 exec, exec, s[0:1]
	s_cbranch_execz .LBB65_31
; %bb.34:
	v_mov_b32_e32 v2, s30
	v_mov_b32_e32 v3, s31
	v_ashrrev_i32_e32 v1, 31, v0
	v_lshl_add_u64 v[0:1], v[0:1], 3, v[2:3]
	global_store_dwordx2 v[0:1], v[6:7], off
	s_endpgm
	.section	.rodata,"a",@progbits
	.p2align	6, 0x0
	.amdhsa_kernel _ZL15flash_attn_tileILi128ELi128ELi4ELi1ELb0EEvPKcS1_S1_S1_S1_PKiPfP15HIP_vector_typeIfLj2EEffffjfiS5_IjLj3EEiiiiiiiiiiiliiliiiiil
		.amdhsa_group_segment_fixed_size 18944
		.amdhsa_private_segment_fixed_size 32
		.amdhsa_kernarg_size 464
		.amdhsa_user_sgpr_count 2
		.amdhsa_user_sgpr_dispatch_ptr 0
		.amdhsa_user_sgpr_queue_ptr 0
		.amdhsa_user_sgpr_kernarg_segment_ptr 1
		.amdhsa_user_sgpr_dispatch_id 0
		.amdhsa_user_sgpr_kernarg_preload_length 0
		.amdhsa_user_sgpr_kernarg_preload_offset 0
		.amdhsa_user_sgpr_private_segment_size 0
		.amdhsa_uses_dynamic_stack 0
		.amdhsa_enable_private_segment 1
		.amdhsa_system_sgpr_workgroup_id_x 1
		.amdhsa_system_sgpr_workgroup_id_y 1
		.amdhsa_system_sgpr_workgroup_id_z 1
		.amdhsa_system_sgpr_workgroup_info 0
		.amdhsa_system_vgpr_workitem_id 1
		.amdhsa_next_free_vgpr 137
		.amdhsa_next_free_sgpr 96
		.amdhsa_accum_offset 140
		.amdhsa_reserve_vcc 1
		.amdhsa_float_round_mode_32 0
		.amdhsa_float_round_mode_16_64 0
		.amdhsa_float_denorm_mode_32 3
		.amdhsa_float_denorm_mode_16_64 3
		.amdhsa_dx10_clamp 1
		.amdhsa_ieee_mode 1
		.amdhsa_fp16_overflow 0
		.amdhsa_tg_split 0
		.amdhsa_exception_fp_ieee_invalid_op 0
		.amdhsa_exception_fp_denorm_src 0
		.amdhsa_exception_fp_ieee_div_zero 0
		.amdhsa_exception_fp_ieee_overflow 0
		.amdhsa_exception_fp_ieee_underflow 0
		.amdhsa_exception_fp_ieee_inexact 0
		.amdhsa_exception_int_div_zero 0
	.end_amdhsa_kernel
	.section	.text._ZL15flash_attn_tileILi128ELi128ELi4ELi1ELb0EEvPKcS1_S1_S1_S1_PKiPfP15HIP_vector_typeIfLj2EEffffjfiS5_IjLj3EEiiiiiiiiiiiliiliiiiil,"axG",@progbits,_ZL15flash_attn_tileILi128ELi128ELi4ELi1ELb0EEvPKcS1_S1_S1_S1_PKiPfP15HIP_vector_typeIfLj2EEffffjfiS5_IjLj3EEiiiiiiiiiiiliiliiiiil,comdat
.Lfunc_end65:
	.size	_ZL15flash_attn_tileILi128ELi128ELi4ELi1ELb0EEvPKcS1_S1_S1_S1_PKiPfP15HIP_vector_typeIfLj2EEffffjfiS5_IjLj3EEiiiiiiiiiiiliiliiiiil, .Lfunc_end65-_ZL15flash_attn_tileILi128ELi128ELi4ELi1ELb0EEvPKcS1_S1_S1_S1_PKiPfP15HIP_vector_typeIfLj2EEffffjfiS5_IjLj3EEiiiiiiiiiiiliiliiiiil
                                        ; -- End function
	.set _ZL15flash_attn_tileILi128ELi128ELi4ELi1ELb0EEvPKcS1_S1_S1_S1_PKiPfP15HIP_vector_typeIfLj2EEffffjfiS5_IjLj3EEiiiiiiiiiiiliiliiiiil.num_vgpr, 137
	.set _ZL15flash_attn_tileILi128ELi128ELi4ELi1ELb0EEvPKcS1_S1_S1_S1_PKiPfP15HIP_vector_typeIfLj2EEffffjfiS5_IjLj3EEiiiiiiiiiiiliiliiiiil.num_agpr, 0
	.set _ZL15flash_attn_tileILi128ELi128ELi4ELi1ELb0EEvPKcS1_S1_S1_S1_PKiPfP15HIP_vector_typeIfLj2EEffffjfiS5_IjLj3EEiiiiiiiiiiiliiliiiiil.numbered_sgpr, 43
	.set _ZL15flash_attn_tileILi128ELi128ELi4ELi1ELb0EEvPKcS1_S1_S1_S1_PKiPfP15HIP_vector_typeIfLj2EEffffjfiS5_IjLj3EEiiiiiiiiiiiliiliiiiil.num_named_barrier, 0
	.set _ZL15flash_attn_tileILi128ELi128ELi4ELi1ELb0EEvPKcS1_S1_S1_S1_PKiPfP15HIP_vector_typeIfLj2EEffffjfiS5_IjLj3EEiiiiiiiiiiiliiliiiiil.private_seg_size, 32
	.set _ZL15flash_attn_tileILi128ELi128ELi4ELi1ELb0EEvPKcS1_S1_S1_S1_PKiPfP15HIP_vector_typeIfLj2EEffffjfiS5_IjLj3EEiiiiiiiiiiiliiliiiiil.uses_vcc, 1
	.set _ZL15flash_attn_tileILi128ELi128ELi4ELi1ELb0EEvPKcS1_S1_S1_S1_PKiPfP15HIP_vector_typeIfLj2EEffffjfiS5_IjLj3EEiiiiiiiiiiiliiliiiiil.uses_flat_scratch, 0
	.set _ZL15flash_attn_tileILi128ELi128ELi4ELi1ELb0EEvPKcS1_S1_S1_S1_PKiPfP15HIP_vector_typeIfLj2EEffffjfiS5_IjLj3EEiiiiiiiiiiiliiliiiiil.has_dyn_sized_stack, 0
	.set _ZL15flash_attn_tileILi128ELi128ELi4ELi1ELb0EEvPKcS1_S1_S1_S1_PKiPfP15HIP_vector_typeIfLj2EEffffjfiS5_IjLj3EEiiiiiiiiiiiliiliiiiil.has_recursion, 0
	.set _ZL15flash_attn_tileILi128ELi128ELi4ELi1ELb0EEvPKcS1_S1_S1_S1_PKiPfP15HIP_vector_typeIfLj2EEffffjfiS5_IjLj3EEiiiiiiiiiiiliiliiiiil.has_indirect_call, 0
	.section	.AMDGPU.csdata,"",@progbits
; Kernel info:
; codeLenInByte = 16968
; TotalNumSgprs: 49
; NumVgprs: 137
; NumAgprs: 0
; TotalNumVgprs: 137
; ScratchSize: 32
; MemoryBound: 0
; FloatMode: 240
; IeeeMode: 1
; LDSByteSize: 18944 bytes/workgroup (compile time only)
; SGPRBlocks: 12
; VGPRBlocks: 17
; NumSGPRsForWavesPerEU: 102
; NumVGPRsForWavesPerEU: 137
; AccumOffset: 140
; Occupancy: 3
; WaveLimiterHint : 1
; COMPUTE_PGM_RSRC2:SCRATCH_EN: 1
; COMPUTE_PGM_RSRC2:USER_SGPR: 2
; COMPUTE_PGM_RSRC2:TRAP_HANDLER: 0
; COMPUTE_PGM_RSRC2:TGID_X_EN: 1
; COMPUTE_PGM_RSRC2:TGID_Y_EN: 1
; COMPUTE_PGM_RSRC2:TGID_Z_EN: 1
; COMPUTE_PGM_RSRC2:TIDIG_COMP_CNT: 1
; COMPUTE_PGM_RSRC3_GFX90A:ACCUM_OFFSET: 34
; COMPUTE_PGM_RSRC3_GFX90A:TG_SPLIT: 0
	.section	.text._ZL33flash_attn_stream_k_fixup_uniformILi128ELi4ELi1EEvPfPK15HIP_vector_typeIfLj2EEiiiiiiS1_IjLj3EES5_S5_,"axG",@progbits,_ZL33flash_attn_stream_k_fixup_uniformILi128ELi4ELi1EEvPfPK15HIP_vector_typeIfLj2EEiiiiiiS1_IjLj3EES5_S5_,comdat
	.globl	_ZL33flash_attn_stream_k_fixup_uniformILi128ELi4ELi1EEvPfPK15HIP_vector_typeIfLj2EEiiiiiiS1_IjLj3EES5_S5_ ; -- Begin function _ZL33flash_attn_stream_k_fixup_uniformILi128ELi4ELi1EEvPfPK15HIP_vector_typeIfLj2EEiiiiiiS1_IjLj3EES5_S5_
	.p2align	8
	.type	_ZL33flash_attn_stream_k_fixup_uniformILi128ELi4ELi1EEvPfPK15HIP_vector_typeIfLj2EEiiiiiiS1_IjLj3EES5_S5_,@function
_ZL33flash_attn_stream_k_fixup_uniformILi128ELi4ELi1EEvPfPK15HIP_vector_typeIfLj2EEiiiiiiS1_IjLj3EES5_S5_: ; @_ZL33flash_attn_stream_k_fixup_uniformILi128ELi4ELi1EEvPfPK15HIP_vector_typeIfLj2EEiiiiiiS1_IjLj3EES5_S5_
; %bb.0:
	s_load_dwordx8 s[8:15], s[0:1], 0x1c
	s_load_dwordx2 s[6:7], s[0:1], 0x10
	s_load_dwordx4 s[20:23], s[0:1], 0x3c
	s_waitcnt lgkmcnt(0)
	s_mul_hi_u32 s5, s11, s2
	s_add_i32 s5, s2, s5
	s_lshr_b32 s5, s5, s12
	s_mul_i32 s11, s5, s13
	s_sub_i32 s11, s2, s11
	s_mul_hi_u32 s12, s11, s14
	s_add_i32 s12, s11, s12
	s_lshr_b32 s16, s12, s15
	s_mul_i32 s12, s16, s20
	s_sub_i32 s12, s11, s12
	;; [unrolled: 5-line block ×3, first 2 shown]
	s_lshl_b32 s12, s17, 2
	s_add_i32 s12, s12, s3
	s_cmp_lt_i32 s12, s6
	s_cselect_b64 s[12:13], -1, 0
	s_add_i32 s14, s11, s4
	s_cmp_lt_i32 s14, s9
	s_cselect_b64 s[14:15], -1, 0
	s_and_b64 s[12:13], s[12:13], s[14:15]
	s_andn2_b64 vcc, exec, s[12:13]
	s_cbranch_vccnz .LBB66_6
; %bb.1:
	s_load_dwordx4 s[12:15], s[0:1], 0x0
	s_mul_i32 s0, s5, s6
	s_add_i32 s0, s0, s3
	s_mul_i32 s0, s0, s7
	s_mul_i32 s16, s16, s9
	s_add_i32 s0, s0, s4
	s_add_i32 s0, s0, s16
	s_mul_i32 s1, s7, s17
	s_add_i32 s0, s0, s11
	s_lshl_b32 s1, s1, 9
	s_lshl_b32 s0, s0, 7
	s_add_i32 s1, s1, s0
	v_or_b32_e32 v4, s1, v0
	s_waitcnt lgkmcnt(0)
	v_mov_b32_e32 v2, s12
	v_mov_b32_e32 v3, s13
	v_ashrrev_i32_e32 v5, 31, v4
	v_lshl_add_u64 v[2:3], v[4:5], 2, v[2:3]
	global_load_dword v5, v[2:3], off
	s_mul_i32 s6, s10, s2
	s_add_i32 s7, s6, s10
	s_add_i32 s3, s3, s4
	s_lshl_b32 s0, s7, 2
	s_add_i32 s0, s3, s0
	s_add_i32 s0, s0, -4
	s_ashr_i32 s1, s0, 31
	s_lshl_b64 s[0:1], s[0:1], 3
	s_add_u32 s0, s14, s0
	s_addc_u32 s1, s15, s1
	s_load_dword s9, s[0:1], 0x4
	s_add_i32 s4, s7, -2
	s_cmp_lt_i32 s4, s6
	s_cbranch_scc1 .LBB66_4
; %bb.2:
	s_lshl_b32 s4, s8, 4
	s_ashr_i32 s5, s4, 31
	s_lshl_b64 s[4:5], s[4:5], 2
	s_add_u32 s4, s14, s4
	s_addc_u32 s5, s15, s5
	s_add_i32 s2, s2, 1
	s_mul_i32 s2, s10, s2
	s_load_dword s0, s[0:1], 0x0
	s_lshl_b32 s1, s3, 7
	s_lshl_b32 s10, s2, 9
	s_add_i32 s1, s1, s10
	v_or_b32_e32 v0, s1, v0
	s_lshl_b32 s1, s2, 2
	s_add_i32 s1, s3, s1
	s_lshl_b32 s2, s8, 2
	s_add_i32 s1, s1, s2
	s_add_i32 s7, s7, -1
	v_add_u32_e32 v0, 0xfffffc00, v0
	s_add_i32 s2, s1, -8
	s_waitcnt lgkmcnt(0)
	v_mov_b32_e32 v7, s0
	v_mov_b32_e32 v4, s9
	s_mov_b32 s8, 0x3fb8aa3b
	s_mov_b32 s9, 0xc2ce8ed0
	;; [unrolled: 1-line block ×3, first 2 shown]
	v_mov_b32_e32 v6, 0x7f800000
	s_mov_b32 s11, 0xc1a00000
.LBB66_3:                               ; =>This Inner Loop Header: Depth=1
	v_ashrrev_i32_e32 v1, 31, v0
	v_lshl_add_u64 v[8:9], v[0:1], 2, s[4:5]
	global_load_dword v9, v[8:9], off
	s_ashr_i32 s3, s2, 31
	s_lshl_b64 s[0:1], s[2:3], 3
	s_add_u32 s0, s14, s0
	s_addc_u32 s1, s15, s1
	s_load_dwordx2 s[0:1], s[0:1], 0x0
	v_max_f32_e32 v1, v7, v7
	s_add_i32 s7, s7, -1
	s_add_i32 s2, s2, -4
	v_add_u32_e32 v0, 0xfffffe00, v0
	s_waitcnt lgkmcnt(0)
	v_max_f32_e64 v10, s0, s0
	v_max_f32_e32 v1, v1, v10
	v_sub_f32_e32 v11, s0, v1
	v_sub_f32_e32 v10, v7, v1
	v_mul_f32_e32 v12, 0x3fb8aa3b, v11
	v_mov_b32_e32 v7, v1
	v_mul_f32_e32 v1, 0x3fb8aa3b, v10
	v_fma_f32 v15, v11, s8, -v12
	v_rndne_f32_e32 v16, v12
	v_fma_f32 v13, v10, s8, -v1
	v_rndne_f32_e32 v14, v1
	v_fmac_f32_e32 v15, 0x32a5705f, v11
	v_sub_f32_e32 v12, v12, v16
	v_fmac_f32_e32 v13, 0x32a5705f, v10
	v_sub_f32_e32 v1, v1, v14
	v_add_f32_e32 v12, v12, v15
	v_cvt_i32_f32_e32 v16, v16
	v_add_f32_e32 v1, v1, v13
	v_exp_f32_e32 v12, v12
	v_cvt_i32_f32_e32 v14, v14
	v_exp_f32_e32 v1, v1
	v_cmp_ngt_f32_e32 vcc, s9, v11
	v_ldexp_f32 v12, v12, v16
	v_mov_b32_e32 v8, s1
	v_ldexp_f32 v1, v1, v14
	v_cmp_ngt_f32_e64 s[0:1], s9, v10
	v_cndmask_b32_e32 v12, 0, v12, vcc
	v_cmp_nlt_f32_e32 vcc, s10, v11
	v_cndmask_b32_e64 v1, 0, v1, s[0:1]
	v_cmp_nlt_f32_e64 s[0:1], s10, v10
	v_cndmask_b32_e32 v12, v6, v12, vcc
	v_cmp_le_f32_e32 vcc, s11, v11
	v_cndmask_b32_e64 v1, v6, v1, s[0:1]
	v_cmp_le_f32_e64 s[0:1], s11, v10
	v_cndmask_b32_e32 v12, 0, v12, vcc
	s_cmp_le_i32 s7, s6
	v_cndmask_b32_e64 v10, 0, v1, s[0:1]
	s_waitcnt vmcnt(0)
	v_pk_mul_f32 v[8:9], v[8:9], v[12:13] op_sel_hi:[1,0]
	s_nop 0
	v_pk_fma_f32 v[4:5], v[4:5], v[10:11], v[8:9] op_sel_hi:[1,0,1]
	s_cbranch_scc0 .LBB66_3
	s_branch .LBB66_5
.LBB66_4:
	s_waitcnt lgkmcnt(0)
	v_mov_b32_e32 v4, s9
.LBB66_5:
	s_waitcnt vmcnt(0)
	v_div_scale_f32 v0, s[0:1], v4, v4, v5
	v_rcp_f32_e32 v1, v0
	v_div_scale_f32 v6, vcc, v5, v4, v5
	v_fma_f32 v7, -v0, v1, 1.0
	v_fmac_f32_e32 v1, v7, v1
	v_mul_f32_e32 v7, v6, v1
	v_fma_f32 v8, -v0, v7, v6
	v_fmac_f32_e32 v7, v8, v1
	v_fma_f32 v0, -v0, v7, v6
	v_div_fmas_f32 v0, v0, v1, v7
	v_div_fixup_f32 v0, v0, v4, v5
	global_store_dword v[2:3], v0, off
.LBB66_6:
	s_endpgm
	.section	.rodata,"a",@progbits
	.p2align	6, 0x0
	.amdhsa_kernel _ZL33flash_attn_stream_k_fixup_uniformILi128ELi4ELi1EEvPfPK15HIP_vector_typeIfLj2EEiiiiiiS1_IjLj3EES5_S5_
		.amdhsa_group_segment_fixed_size 0
		.amdhsa_private_segment_fixed_size 0
		.amdhsa_kernarg_size 76
		.amdhsa_user_sgpr_count 2
		.amdhsa_user_sgpr_dispatch_ptr 0
		.amdhsa_user_sgpr_queue_ptr 0
		.amdhsa_user_sgpr_kernarg_segment_ptr 1
		.amdhsa_user_sgpr_dispatch_id 0
		.amdhsa_user_sgpr_kernarg_preload_length 0
		.amdhsa_user_sgpr_kernarg_preload_offset 0
		.amdhsa_user_sgpr_private_segment_size 0
		.amdhsa_uses_dynamic_stack 0
		.amdhsa_enable_private_segment 0
		.amdhsa_system_sgpr_workgroup_id_x 1
		.amdhsa_system_sgpr_workgroup_id_y 1
		.amdhsa_system_sgpr_workgroup_id_z 1
		.amdhsa_system_sgpr_workgroup_info 0
		.amdhsa_system_vgpr_workitem_id 0
		.amdhsa_next_free_vgpr 17
		.amdhsa_next_free_sgpr 24
		.amdhsa_accum_offset 20
		.amdhsa_reserve_vcc 1
		.amdhsa_float_round_mode_32 0
		.amdhsa_float_round_mode_16_64 0
		.amdhsa_float_denorm_mode_32 3
		.amdhsa_float_denorm_mode_16_64 3
		.amdhsa_dx10_clamp 1
		.amdhsa_ieee_mode 1
		.amdhsa_fp16_overflow 0
		.amdhsa_tg_split 0
		.amdhsa_exception_fp_ieee_invalid_op 0
		.amdhsa_exception_fp_denorm_src 0
		.amdhsa_exception_fp_ieee_div_zero 0
		.amdhsa_exception_fp_ieee_overflow 0
		.amdhsa_exception_fp_ieee_underflow 0
		.amdhsa_exception_fp_ieee_inexact 0
		.amdhsa_exception_int_div_zero 0
	.end_amdhsa_kernel
	.section	.text._ZL33flash_attn_stream_k_fixup_uniformILi128ELi4ELi1EEvPfPK15HIP_vector_typeIfLj2EEiiiiiiS1_IjLj3EES5_S5_,"axG",@progbits,_ZL33flash_attn_stream_k_fixup_uniformILi128ELi4ELi1EEvPfPK15HIP_vector_typeIfLj2EEiiiiiiS1_IjLj3EES5_S5_,comdat
.Lfunc_end66:
	.size	_ZL33flash_attn_stream_k_fixup_uniformILi128ELi4ELi1EEvPfPK15HIP_vector_typeIfLj2EEiiiiiiS1_IjLj3EES5_S5_, .Lfunc_end66-_ZL33flash_attn_stream_k_fixup_uniformILi128ELi4ELi1EEvPfPK15HIP_vector_typeIfLj2EEiiiiiiS1_IjLj3EES5_S5_
                                        ; -- End function
	.set _ZL33flash_attn_stream_k_fixup_uniformILi128ELi4ELi1EEvPfPK15HIP_vector_typeIfLj2EEiiiiiiS1_IjLj3EES5_S5_.num_vgpr, 17
	.set _ZL33flash_attn_stream_k_fixup_uniformILi128ELi4ELi1EEvPfPK15HIP_vector_typeIfLj2EEiiiiiiS1_IjLj3EES5_S5_.num_agpr, 0
	.set _ZL33flash_attn_stream_k_fixup_uniformILi128ELi4ELi1EEvPfPK15HIP_vector_typeIfLj2EEiiiiiiS1_IjLj3EES5_S5_.numbered_sgpr, 24
	.set _ZL33flash_attn_stream_k_fixup_uniformILi128ELi4ELi1EEvPfPK15HIP_vector_typeIfLj2EEiiiiiiS1_IjLj3EES5_S5_.num_named_barrier, 0
	.set _ZL33flash_attn_stream_k_fixup_uniformILi128ELi4ELi1EEvPfPK15HIP_vector_typeIfLj2EEiiiiiiS1_IjLj3EES5_S5_.private_seg_size, 0
	.set _ZL33flash_attn_stream_k_fixup_uniformILi128ELi4ELi1EEvPfPK15HIP_vector_typeIfLj2EEiiiiiiS1_IjLj3EES5_S5_.uses_vcc, 1
	.set _ZL33flash_attn_stream_k_fixup_uniformILi128ELi4ELi1EEvPfPK15HIP_vector_typeIfLj2EEiiiiiiS1_IjLj3EES5_S5_.uses_flat_scratch, 0
	.set _ZL33flash_attn_stream_k_fixup_uniformILi128ELi4ELi1EEvPfPK15HIP_vector_typeIfLj2EEiiiiiiS1_IjLj3EES5_S5_.has_dyn_sized_stack, 0
	.set _ZL33flash_attn_stream_k_fixup_uniformILi128ELi4ELi1EEvPfPK15HIP_vector_typeIfLj2EEiiiiiiS1_IjLj3EES5_S5_.has_recursion, 0
	.set _ZL33flash_attn_stream_k_fixup_uniformILi128ELi4ELi1EEvPfPK15HIP_vector_typeIfLj2EEiiiiiiS1_IjLj3EES5_S5_.has_indirect_call, 0
	.section	.AMDGPU.csdata,"",@progbits
; Kernel info:
; codeLenInByte = 816
; TotalNumSgprs: 30
; NumVgprs: 17
; NumAgprs: 0
; TotalNumVgprs: 17
; ScratchSize: 0
; MemoryBound: 0
; FloatMode: 240
; IeeeMode: 1
; LDSByteSize: 0 bytes/workgroup (compile time only)
; SGPRBlocks: 3
; VGPRBlocks: 2
; NumSGPRsForWavesPerEU: 30
; NumVGPRsForWavesPerEU: 17
; AccumOffset: 20
; Occupancy: 8
; WaveLimiterHint : 0
; COMPUTE_PGM_RSRC2:SCRATCH_EN: 0
; COMPUTE_PGM_RSRC2:USER_SGPR: 2
; COMPUTE_PGM_RSRC2:TRAP_HANDLER: 0
; COMPUTE_PGM_RSRC2:TGID_X_EN: 1
; COMPUTE_PGM_RSRC2:TGID_Y_EN: 1
; COMPUTE_PGM_RSRC2:TGID_Z_EN: 1
; COMPUTE_PGM_RSRC2:TIDIG_COMP_CNT: 0
; COMPUTE_PGM_RSRC3_GFX90A:ACCUM_OFFSET: 4
; COMPUTE_PGM_RSRC3_GFX90A:TG_SPLIT: 0
	.section	.text._ZL33flash_attn_stream_k_fixup_generalILi128ELi4ELi1EEvPfPK15HIP_vector_typeIfLj2EEiiiiS1_IjLj3EES5_S5_S5_,"axG",@progbits,_ZL33flash_attn_stream_k_fixup_generalILi128ELi4ELi1EEvPfPK15HIP_vector_typeIfLj2EEiiiiS1_IjLj3EES5_S5_S5_,comdat
	.globl	_ZL33flash_attn_stream_k_fixup_generalILi128ELi4ELi1EEvPfPK15HIP_vector_typeIfLj2EEiiiiS1_IjLj3EES5_S5_S5_ ; -- Begin function _ZL33flash_attn_stream_k_fixup_generalILi128ELi4ELi1EEvPfPK15HIP_vector_typeIfLj2EEiiiiS1_IjLj3EES5_S5_S5_
	.p2align	8
	.type	_ZL33flash_attn_stream_k_fixup_generalILi128ELi4ELi1EEvPfPK15HIP_vector_typeIfLj2EEiiiiS1_IjLj3EES5_S5_S5_,@function
_ZL33flash_attn_stream_k_fixup_generalILi128ELi4ELi1EEvPfPK15HIP_vector_typeIfLj2EEiiiiS1_IjLj3EES5_S5_S5_: ; @_ZL33flash_attn_stream_k_fixup_generalILi128ELi4ELi1EEvPfPK15HIP_vector_typeIfLj2EEiiiiS1_IjLj3EES5_S5_S5_
; %bb.0:
	s_load_dwordx4 s[8:11], s[0:1], 0x10
	s_load_dword s22, s[0:1], 0x50
	s_mov_b32 s12, 0
	s_waitcnt lgkmcnt(0)
	s_mul_hi_i32 s13, s11, s2
	s_cmp_lg_u64 s[12:13], 0
	s_mul_i32 s5, s11, s2
	s_cbranch_scc0 .LBB67_20
; %bb.1:
	s_add_u32 s6, s22, 0
	s_addc_u32 s7, 0, 0
	s_xor_b64 s[6:7], s[6:7], 0
	v_cvt_f32_u32_e32 v1, s6
	v_cvt_f32_u32_e32 v2, s7
	s_sub_u32 s12, 0, s6
	s_subb_u32 s18, 0, s7
	v_fmamk_f32 v1, v2, 0x4f800000, v1
	v_rcp_f32_e32 v1, v1
	s_nop 0
	v_mul_f32_e32 v1, 0x5f7ffffc, v1
	v_mul_f32_e32 v2, 0x2f800000, v1
	v_trunc_f32_e32 v2, v2
	v_fmamk_f32 v1, v2, 0xcf800000, v1
	v_cvt_u32_f32_e32 v2, v2
	v_cvt_u32_f32_e32 v1, v1
	v_readfirstlane_b32 s19, v2
	v_readfirstlane_b32 s14, v1
	s_mul_i32 s15, s12, s19
	s_mul_hi_u32 s21, s12, s14
	s_mul_i32 s20, s18, s14
	s_add_i32 s15, s21, s15
	s_add_i32 s15, s15, s20
	s_mul_i32 s23, s12, s14
	s_mul_i32 s21, s14, s15
	s_mul_hi_u32 s24, s14, s23
	s_mul_hi_u32 s20, s14, s15
	s_add_u32 s21, s24, s21
	s_addc_u32 s20, 0, s20
	s_mul_hi_u32 s25, s19, s23
	s_mul_i32 s23, s19, s23
	s_add_u32 s21, s21, s23
	s_mul_hi_u32 s24, s19, s15
	s_addc_u32 s20, s20, s25
	s_addc_u32 s21, s24, 0
	s_mul_i32 s15, s19, s15
	s_add_u32 s15, s20, s15
	s_addc_u32 s20, 0, s21
	s_add_u32 s21, s14, s15
	s_cselect_b64 s[14:15], -1, 0
	s_cmp_lg_u64 s[14:15], 0
	s_addc_u32 s19, s19, s20
	s_mul_i32 s14, s12, s19
	s_mul_hi_u32 s15, s12, s21
	s_add_i32 s14, s15, s14
	s_mul_i32 s18, s18, s21
	s_add_i32 s14, s14, s18
	s_mul_i32 s12, s12, s21
	s_mul_hi_u32 s18, s19, s12
	s_mul_i32 s20, s19, s12
	s_mul_i32 s24, s21, s14
	s_mul_hi_u32 s12, s21, s12
	s_mul_hi_u32 s23, s21, s14
	s_add_u32 s12, s12, s24
	s_addc_u32 s23, 0, s23
	s_add_u32 s12, s12, s20
	s_mul_hi_u32 s15, s19, s14
	s_addc_u32 s12, s23, s18
	s_addc_u32 s15, s15, 0
	s_mul_i32 s14, s19, s14
	s_add_u32 s12, s12, s14
	s_addc_u32 s18, 0, s15
	s_add_u32 s20, s21, s12
	s_cselect_b64 s[14:15], -1, 0
	s_cmp_lg_u64 s[14:15], 0
	s_addc_u32 s18, s19, s18
	s_ashr_i32 s14, s13, 31
	s_add_u32 s12, s5, s14
	s_mov_b32 s15, s14
	s_addc_u32 s13, s13, s14
	s_xor_b64 s[12:13], s[12:13], s[14:15]
	s_mul_i32 s21, s12, s18
	s_mul_hi_u32 s23, s12, s20
	s_mul_hi_u32 s19, s12, s18
	s_add_u32 s21, s23, s21
	s_addc_u32 s19, 0, s19
	s_mul_hi_u32 s24, s13, s20
	s_mul_i32 s20, s13, s20
	s_add_u32 s20, s21, s20
	s_mul_hi_u32 s23, s13, s18
	s_addc_u32 s19, s19, s24
	s_addc_u32 s20, s23, 0
	s_mul_i32 s18, s13, s18
	s_add_u32 s23, s19, s18
	s_addc_u32 s24, 0, s20
	s_mul_i32 s18, s6, s24
	s_mul_hi_u32 s19, s6, s23
	s_add_i32 s18, s19, s18
	s_mul_i32 s19, s7, s23
	s_add_i32 s25, s18, s19
	s_sub_i32 s20, s13, s25
	s_mul_i32 s18, s6, s23
	s_sub_u32 s12, s12, s18
	s_cselect_b64 s[18:19], -1, 0
	s_cmp_lg_u64 s[18:19], 0
	s_subb_u32 s26, s20, s7
	s_sub_u32 s27, s12, s6
	s_cselect_b64 s[20:21], -1, 0
	s_cmp_lg_u64 s[20:21], 0
	s_subb_u32 s20, s26, 0
	s_cmp_ge_u32 s20, s7
	s_cselect_b32 s21, -1, 0
	s_cmp_ge_u32 s27, s6
	s_cselect_b32 s26, -1, 0
	s_cmp_eq_u32 s20, s7
	s_cselect_b32 s20, s26, s21
	s_add_u32 s21, s23, 1
	s_addc_u32 s26, s24, 0
	s_add_u32 s27, s23, 2
	s_addc_u32 s28, s24, 0
	s_cmp_lg_u32 s20, 0
	s_cselect_b32 s20, s27, s21
	s_cselect_b32 s21, s28, s26
	s_cmp_lg_u64 s[18:19], 0
	s_subb_u32 s13, s13, s25
	s_cmp_ge_u32 s13, s7
	s_cselect_b32 s18, -1, 0
	s_cmp_ge_u32 s12, s6
	s_cselect_b32 s6, -1, 0
	s_cmp_eq_u32 s13, s7
	s_cselect_b32 s6, s6, s18
	s_cmp_lg_u32 s6, 0
	s_cselect_b32 s7, s21, s24
	s_cselect_b32 s6, s20, s23
	s_xor_b64 s[12:13], s[14:15], 0
	s_xor_b64 s[6:7], s[6:7], s[12:13]
	s_sub_u32 s6, s6, s12
	s_load_dwordx4 s[12:15], s[0:1], 0x44
	s_cbranch_execnz .LBB67_3
.LBB67_2:
	v_cvt_f32_u32_e32 v1, s22
	s_sub_i32 s6, 0, s22
	v_rcp_iflag_f32_e32 v1, v1
	s_nop 0
	v_mul_f32_e32 v1, 0x4f7ffffe, v1
	v_cvt_u32_f32_e32 v1, v1
	s_nop 0
	v_readfirstlane_b32 s7, v1
	s_mul_i32 s6, s6, s7
	s_mul_hi_u32 s6, s7, s6
	s_add_i32 s7, s7, s6
	s_mul_hi_u32 s6, s5, s7
	s_waitcnt lgkmcnt(0)
	s_mul_i32 s15, s6, s22
	s_sub_i32 s5, s5, s15
	s_add_i32 s7, s6, 1
	s_sub_i32 s15, s5, s22
	s_cmp_ge_u32 s5, s22
	s_cselect_b32 s6, s7, s6
	s_cselect_b32 s5, s15, s5
	s_add_i32 s7, s6, 1
	s_cmp_ge_u32 s5, s22
	s_cselect_b32 s6, s7, s6
.LBB67_3:
	s_add_i32 s5, s2, 1
	s_mul_hi_i32 s21, s11, s5
	s_mov_b32 s20, 0
	s_cmp_lg_u64 s[20:21], 0
	s_mul_i32 s5, s11, s5
	s_cbranch_scc0 .LBB67_21
; %bb.4:
	s_add_u32 s16, s22, 0
	s_addc_u32 s17, 0, 0
	s_xor_b64 s[18:19], s[16:17], 0
	v_cvt_f32_u32_e32 v1, s18
	v_cvt_f32_u32_e32 v2, s19
	s_sub_u32 s7, 0, s18
	s_waitcnt lgkmcnt(0)
	s_subb_u32 s15, 0, s19
	v_fmamk_f32 v1, v2, 0x4f800000, v1
	v_rcp_f32_e32 v1, v1
	s_nop 0
	v_mul_f32_e32 v1, 0x5f7ffffc, v1
	v_mul_f32_e32 v2, 0x2f800000, v1
	v_trunc_f32_e32 v2, v2
	v_fmamk_f32 v1, v2, 0xcf800000, v1
	v_cvt_u32_f32_e32 v2, v2
	v_cvt_u32_f32_e32 v1, v1
	v_readfirstlane_b32 s20, v2
	v_readfirstlane_b32 s23, v1
	s_mul_i32 s24, s7, s20
	s_mul_hi_u32 s26, s7, s23
	s_mul_i32 s25, s15, s23
	s_add_i32 s24, s26, s24
	s_add_i32 s24, s24, s25
	s_mul_i32 s27, s7, s23
	s_mul_i32 s26, s23, s24
	s_mul_hi_u32 s28, s23, s27
	s_mul_hi_u32 s25, s23, s24
	s_add_u32 s26, s28, s26
	s_addc_u32 s25, 0, s25
	s_mul_hi_u32 s29, s20, s27
	s_mul_i32 s27, s20, s27
	s_add_u32 s26, s26, s27
	s_mul_hi_u32 s28, s20, s24
	s_addc_u32 s25, s25, s29
	s_addc_u32 s26, s28, 0
	s_mul_i32 s24, s20, s24
	s_add_u32 s24, s25, s24
	s_addc_u32 s26, 0, s26
	s_add_u32 s23, s23, s24
	s_cselect_b64 s[24:25], -1, 0
	s_cmp_lg_u64 s[24:25], 0
	s_addc_u32 s20, s20, s26
	s_mul_i32 s24, s7, s20
	s_mul_hi_u32 s25, s7, s23
	s_add_i32 s24, s25, s24
	s_mul_i32 s15, s15, s23
	s_add_i32 s24, s24, s15
	s_mul_i32 s7, s7, s23
	s_mul_hi_u32 s25, s20, s7
	s_mul_i32 s26, s20, s7
	s_mul_i32 s28, s23, s24
	s_mul_hi_u32 s7, s23, s7
	s_mul_hi_u32 s27, s23, s24
	s_add_u32 s7, s7, s28
	s_addc_u32 s27, 0, s27
	s_add_u32 s7, s7, s26
	s_mul_hi_u32 s15, s20, s24
	s_addc_u32 s7, s27, s25
	s_addc_u32 s15, s15, 0
	s_mul_i32 s24, s20, s24
	s_add_u32 s7, s7, s24
	s_addc_u32 s15, 0, s15
	s_add_u32 s7, s23, s7
	s_cselect_b64 s[24:25], -1, 0
	s_cmp_lg_u64 s[24:25], 0
	s_addc_u32 s15, s20, s15
	s_ashr_i32 s24, s21, 31
	s_add_u32 s20, s5, s24
	s_mov_b32 s25, s24
	s_addc_u32 s21, s21, s24
	s_xor_b64 s[20:21], s[20:21], s[24:25]
	s_mul_i32 s26, s20, s15
	s_mul_hi_u32 s27, s20, s7
	s_mul_hi_u32 s23, s20, s15
	s_add_u32 s26, s27, s26
	s_addc_u32 s23, 0, s23
	s_mul_hi_u32 s28, s21, s7
	s_mul_i32 s7, s21, s7
	s_add_u32 s7, s26, s7
	s_mul_hi_u32 s27, s21, s15
	s_addc_u32 s7, s23, s28
	s_addc_u32 s23, s27, 0
	s_mul_i32 s15, s21, s15
	s_add_u32 s7, s7, s15
	s_addc_u32 s15, 0, s23
	s_mul_i32 s23, s18, s15
	s_mul_hi_u32 s26, s18, s7
	s_add_i32 s23, s26, s23
	s_mul_i32 s26, s19, s7
	s_add_i32 s23, s23, s26
	s_sub_i32 s28, s21, s23
	s_mul_i32 s26, s18, s7
	s_sub_u32 s20, s20, s26
	s_cselect_b64 s[26:27], -1, 0
	s_cmp_lg_u64 s[26:27], 0
	s_subb_u32 s30, s28, s19
	s_sub_u32 s31, s20, s18
	s_cselect_b64 s[28:29], -1, 0
	s_cmp_lg_u64 s[28:29], 0
	s_subb_u32 s28, s30, 0
	s_cmp_ge_u32 s28, s19
	s_cselect_b32 s29, -1, 0
	s_cmp_ge_u32 s31, s18
	s_cselect_b32 s30, -1, 0
	s_cmp_eq_u32 s28, s19
	s_cselect_b32 s28, s30, s29
	s_add_u32 s29, s7, 1
	s_addc_u32 s30, s15, 0
	s_add_u32 s31, s7, 2
	s_addc_u32 s33, s15, 0
	s_cmp_lg_u32 s28, 0
	s_cselect_b32 s28, s31, s29
	s_cselect_b32 s29, s33, s30
	s_cmp_lg_u64 s[26:27], 0
	s_subb_u32 s21, s21, s23
	s_cmp_ge_u32 s21, s19
	s_cselect_b32 s23, -1, 0
	s_cmp_ge_u32 s20, s18
	s_cselect_b32 s18, -1, 0
	s_cmp_eq_u32 s21, s19
	s_cselect_b32 s18, s18, s23
	s_cmp_lg_u32 s18, 0
	s_cselect_b32 s19, s29, s15
	s_cselect_b32 s18, s28, s7
	s_xor_b64 s[20:21], s[24:25], 0
	s_xor_b64 s[18:19], s[18:19], s[20:21]
	s_sub_u32 s18, s18, s20
	s_cbranch_execnz .LBB67_6
.LBB67_5:
	v_cvt_f32_u32_e32 v1, s22
	s_sub_i32 s7, 0, s22
	v_rcp_iflag_f32_e32 v1, v1
	s_nop 0
	v_mul_f32_e32 v1, 0x4f7ffffe, v1
	v_cvt_u32_f32_e32 v1, v1
	s_waitcnt lgkmcnt(0)
	v_readfirstlane_b32 s15, v1
	s_mul_i32 s7, s7, s15
	s_mul_hi_u32 s7, s15, s7
	s_add_i32 s15, s15, s7
	s_mul_hi_u32 s7, s5, s15
	s_mul_i32 s16, s7, s22
	s_sub_i32 s5, s5, s16
	s_add_i32 s15, s7, 1
	s_sub_i32 s16, s5, s22
	s_cmp_ge_u32 s5, s22
	s_cselect_b32 s7, s15, s7
	s_cselect_b32 s5, s16, s5
	s_add_i32 s15, s7, 1
	s_cmp_ge_u32 s5, s22
	s_cselect_b32 s18, s15, s7
.LBB67_6:
	s_cmp_eq_u32 s6, s18
	s_waitcnt lgkmcnt(0)
	s_mul_hi_u32 s5, s6, s12
	s_cselect_b64 s[16:17], -1, 0
	s_add_i32 s5, s5, s6
	s_lshr_b32 s7, s5, s13
	s_mul_i32 s5, s7, s14
	s_cmp_eq_u32 s5, s6
	s_mul_hi_u32 s5, s18, s12
	s_cselect_b64 s[20:21], -1, 0
	s_add_i32 s5, s5, s18
	s_lshr_b32 s5, s5, s13
	s_cmp_eq_u32 s7, s5
	s_mul_i32 s5, s5, s14
	s_cselect_b64 s[24:25], -1, 0
	s_cmp_lg_u32 s5, s18
	s_cselect_b64 s[18:19], -1, 0
	s_and_b64 s[18:19], s[24:25], s[18:19]
	s_or_b64 s[16:17], s[16:17], s[20:21]
	s_or_b64 s[16:17], s[16:17], s[18:19]
	s_and_b64 vcc, exec, s[16:17]
	s_cbranch_vccnz .LBB67_23
; %bb.7:
	s_load_dwordx8 s[24:31], s[0:1], 0x20
	s_load_dword s15, s[0:1], 0x40
	s_waitcnt lgkmcnt(0)
	s_mul_hi_u32 s5, s6, s24
	s_add_i32 s5, s5, s6
	s_lshr_b32 s5, s5, s25
	s_mul_i32 s16, s5, s26
	s_sub_i32 s16, s6, s16
	s_mul_hi_u32 s17, s16, s27
	s_add_i32 s17, s16, s17
	s_lshr_b32 s21, s17, s28
	s_mul_i32 s17, s21, s29
	s_sub_i32 s16, s16, s17
	;; [unrolled: 5-line block ×3, first 2 shown]
	s_mul_hi_u32 s16, s15, s12
	s_add_i32 s15, s15, s16
	s_lshr_b32 s23, s15, s13
	s_lshl_b32 s15, s23, 2
	s_add_i32 s15, s15, s3
	s_cmp_lt_i32 s15, s8
	s_cselect_b64 s[16:17], -1, 0
	s_add_i32 s15, s20, s4
	s_cmp_lt_i32 s15, s10
	s_cselect_b64 s[18:19], -1, 0
	s_and_b64 s[16:17], s[16:17], s[18:19]
	s_andn2_b64 vcc, exec, s[16:17]
	s_cbranch_vccnz .LBB67_23
; %bb.8:
	s_load_dwordx4 s[16:19], s[0:1], 0x0
	s_mov_b32 s0, 0
	s_lshl_b32 s24, s22, 4
	s_mov_b32 s25, s0
	s_add_i32 s15, s3, s4
	s_waitcnt lgkmcnt(0)
	v_mov_b32_e32 v2, s16
	v_mov_b32_e32 v3, s17
	s_lshl_b64 s[16:17], s[24:25], 2
	s_add_u32 s16, s18, s16
	s_mul_i32 s1, s5, s8
	s_addc_u32 s17, s19, s17
	s_add_i32 s1, s1, s3
	s_mul_i32 s1, s1, s9
	s_mul_i32 s21, s21, s10
	s_add_i32 s1, s1, s4
	s_add_i32 s1, s1, s21
	s_mul_i32 s5, s9, s23
	s_add_i32 s1, s1, s20
	s_lshl_b32 s5, s5, 9
	s_lshl_b32 s1, s1, 7
	s_add_i32 s5, s5, s1
	v_or_b32_e32 v4, s5, v0
	v_ashrrev_i32_e32 v5, 31, v4
	v_lshl_add_u64 v[2:3], v[4:5], 2, v[2:3]
	global_load_dword v1, v[2:3], off
	v_cvt_f32_u32_e32 v4, s22
	s_lshl_b32 s1, s2, 2
	s_add_i32 s4, s1, s15
	s_ashr_i32 s5, s4, 31
	s_lshl_b64 s[4:5], s[4:5], 3
	v_rcp_iflag_f32_e32 v4, v4
	s_add_u32 s4, s18, s4
	s_addc_u32 s5, s19, s5
	s_load_dwordx2 s[4:5], s[4:5], 0x0
	v_mul_f32_e32 v4, 0x4f7ffffe, v4
	v_cvt_u32_f32_e32 v7, v4
	s_add_i32 s24, s2, -1
	v_lshl_or_b32 v6, s15, 7, v0
	s_waitcnt lgkmcnt(0)
	v_mov_b32_e32 v0, s5
	v_mov_b32_e32 v9, s4
	s_mov_b32 s10, 0x3fb8aa3b
	s_mov_b32 s20, 0xc2ce8ed0
	;; [unrolled: 1-line block ×4, first 2 shown]
	v_mov_b32_e32 v8, 0x7f800000
	s_mul_hi_i32 s1, s24, s11
	s_cmp_lg_u64 s[0:1], 0
	s_mul_i32 s8, s24, s11
	s_cbranch_scc0 .LBB67_19
.LBB67_9:
	s_add_u32 s2, s22, 0
	s_addc_u32 s3, 0, 0
	s_xor_b64 s[2:3], s[2:3], 0
	v_cvt_f32_u32_e32 v4, s2
	v_cvt_f32_u32_e32 v5, s3
	s_sub_u32 s9, 0, s2
	s_subb_u32 s25, 0, s3
	v_fmac_f32_e32 v4, 0x4f800000, v5
	v_rcp_f32_e32 v4, v4
	s_nop 0
	v_mul_f32_e32 v4, 0x5f7ffffc, v4
	v_mul_f32_e32 v5, 0x2f800000, v4
	v_trunc_f32_e32 v5, v5
	v_fmac_f32_e32 v4, 0xcf800000, v5
	v_cvt_u32_f32_e32 v5, v5
	v_cvt_u32_f32_e32 v4, v4
	v_readfirstlane_b32 s26, v5
	v_readfirstlane_b32 s4, v4
	s_mul_i32 s5, s9, s26
	s_mul_hi_u32 s28, s9, s4
	s_mul_i32 s27, s25, s4
	s_add_i32 s5, s28, s5
	s_mul_i32 s29, s9, s4
	s_add_i32 s5, s5, s27
	s_mul_i32 s28, s4, s5
	s_mul_hi_u32 s30, s4, s29
	s_mul_hi_u32 s27, s4, s5
	s_add_u32 s28, s30, s28
	s_addc_u32 s27, 0, s27
	s_mul_hi_u32 s31, s26, s29
	s_mul_i32 s29, s26, s29
	s_add_u32 s28, s28, s29
	s_mul_hi_u32 s30, s26, s5
	s_addc_u32 s27, s27, s31
	s_addc_u32 s28, s30, 0
	s_mul_i32 s5, s26, s5
	s_add_u32 s5, s27, s5
	s_addc_u32 s27, 0, s28
	s_add_u32 s28, s4, s5
	s_cselect_b64 s[4:5], -1, 0
	s_cmp_lg_u64 s[4:5], 0
	s_addc_u32 s26, s26, s27
	s_mul_i32 s4, s9, s26
	s_mul_hi_u32 s5, s9, s28
	s_add_i32 s4, s5, s4
	s_mul_i32 s25, s25, s28
	s_add_i32 s4, s4, s25
	s_mul_i32 s9, s9, s28
	s_mul_hi_u32 s25, s26, s9
	s_mul_i32 s27, s26, s9
	s_mul_i32 s30, s28, s4
	s_mul_hi_u32 s9, s28, s9
	s_mul_hi_u32 s29, s28, s4
	s_add_u32 s9, s9, s30
	s_addc_u32 s29, 0, s29
	s_add_u32 s9, s9, s27
	s_mul_hi_u32 s5, s26, s4
	s_addc_u32 s9, s29, s25
	s_addc_u32 s5, s5, 0
	s_mul_i32 s4, s26, s4
	s_add_u32 s4, s9, s4
	s_addc_u32 s9, 0, s5
	s_add_u32 s25, s28, s4
	s_cselect_b64 s[4:5], -1, 0
	s_cmp_lg_u64 s[4:5], 0
	s_addc_u32 s9, s26, s9
	s_ashr_i32 s4, s1, 31
	s_add_u32 s26, s8, s4
	s_mov_b32 s5, s4
	s_addc_u32 s27, s1, s4
	s_xor_b64 s[26:27], s[26:27], s[4:5]
	s_mul_i32 s28, s26, s9
	s_mul_hi_u32 s29, s26, s25
	s_mul_hi_u32 s1, s26, s9
	s_add_u32 s28, s29, s28
	s_addc_u32 s1, 0, s1
	s_mul_hi_u32 s30, s27, s25
	s_mul_i32 s25, s27, s25
	s_add_u32 s25, s28, s25
	s_mul_hi_u32 s29, s27, s9
	s_addc_u32 s1, s1, s30
	s_addc_u32 s25, s29, 0
	s_mul_i32 s9, s27, s9
	s_add_u32 s1, s1, s9
	s_addc_u32 s9, 0, s25
	s_mul_i32 s25, s2, s9
	s_mul_hi_u32 s28, s2, s1
	s_add_i32 s25, s28, s25
	s_mul_i32 s28, s3, s1
	s_add_i32 s25, s25, s28
	s_sub_i32 s30, s27, s25
	s_mul_i32 s28, s2, s1
	s_sub_u32 s26, s26, s28
	s_cselect_b64 s[28:29], -1, 0
	s_cmp_lg_u64 s[28:29], 0
	s_subb_u32 s33, s30, s3
	s_sub_u32 s34, s26, s2
	s_cselect_b64 s[30:31], -1, 0
	s_cmp_lg_u64 s[30:31], 0
	s_subb_u32 s30, s33, 0
	s_cmp_ge_u32 s30, s3
	s_cselect_b32 s31, -1, 0
	s_cmp_ge_u32 s34, s2
	s_cselect_b32 s33, -1, 0
	s_cmp_eq_u32 s30, s3
	s_cselect_b32 s30, s33, s31
	s_add_u32 s31, s1, 1
	s_addc_u32 s33, s9, 0
	s_add_u32 s34, s1, 2
	s_addc_u32 s35, s9, 0
	s_cmp_lg_u32 s30, 0
	s_cselect_b32 s30, s34, s31
	s_cselect_b32 s31, s35, s33
	s_cmp_lg_u64 s[28:29], 0
	s_subb_u32 s25, s27, s25
	s_cmp_ge_u32 s25, s3
	s_cselect_b32 s27, -1, 0
	s_cmp_ge_u32 s26, s2
	s_cselect_b32 s2, -1, 0
	s_cmp_eq_u32 s25, s3
	s_cselect_b32 s2, s2, s27
	s_cmp_lg_u32 s2, 0
	s_cselect_b32 s3, s31, s9
	s_cselect_b32 s2, s30, s1
	s_xor_b64 s[4:5], s[4:5], 0
	s_xor_b64 s[2:3], s[2:3], s[4:5]
	s_sub_u32 s4, s2, s4
	s_cbranch_execnz .LBB67_11
.LBB67_10:
	s_sub_i32 s1, 0, s22
	v_readfirstlane_b32 s2, v7
	s_mul_i32 s1, s1, s2
	s_mul_hi_u32 s1, s2, s1
	s_add_i32 s2, s2, s1
	s_mul_hi_u32 s1, s8, s2
	s_mul_i32 s3, s1, s22
	s_sub_i32 s3, s8, s3
	s_add_i32 s2, s1, 1
	s_sub_i32 s4, s3, s22
	s_cmp_ge_u32 s3, s22
	s_cselect_b32 s1, s2, s1
	s_cselect_b32 s3, s4, s3
	s_add_i32 s2, s1, 1
	s_cmp_ge_u32 s3, s22
	s_cselect_b32 s4, s2, s1
.LBB67_11:
	s_cmp_lg_u32 s6, s4
	s_cbranch_scc0 .LBB67_15
; %bb.12:
	s_add_i32 s1, s24, s22
	s_lshl_b32 s1, s1, 2
	s_add_i32 s2, s1, s15
	s_mov_b32 s3, s0
	s_lshl_b64 s[2:3], s[2:3], 3
	s_add_u32 s8, s18, s2
	s_mul_hi_u32 s1, s4, s12
	s_addc_u32 s9, s19, s3
	s_add_i32 s1, s1, s4
	s_lshr_b32 s1, s1, s13
	s_mul_i32 s2, s1, s14
	s_cmp_eq_u32 s2, s4
	s_cselect_b64 s[2:3], -1, 0
	s_cmp_lt_u32 s1, s7
	s_cselect_b64 s[26:27], -1, 0
	s_or_b64 s[26:27], s[26:27], s[2:3]
	s_mov_b64 s[2:3], -1
	s_and_b64 vcc, exec, s[26:27]
	s_mov_b32 s1, s24
	s_mov_b32 s25, s6
	s_cbranch_vccnz .LBB67_14
; %bb.13:
	s_add_i32 s1, s24, -1
	s_mov_b64 s[2:3], 0
	s_mov_b32 s25, s4
.LBB67_14:
	v_lshl_add_u32 v4, s24, 9, v6
	v_ashrrev_i32_e32 v5, 31, v4
	v_lshl_add_u64 v[4:5], v[4:5], 2, s[16:17]
	global_load_dword v5, v[4:5], off
	s_load_dwordx2 s[4:5], s[8:9], 0x0
	v_max_f32_e32 v4, v9, v9
	s_waitcnt lgkmcnt(0)
	v_max_f32_e64 v10, s4, s4
	v_max_f32_e32 v10, v4, v10
	v_sub_f32_e32 v11, v9, v10
	v_sub_f32_e32 v13, s4, v10
	v_mul_f32_e32 v4, 0x3fb8aa3b, v11
	v_mul_f32_e32 v12, 0x3fb8aa3b, v13
	v_fma_f32 v14, v11, s10, -v4
	v_rndne_f32_e32 v15, v4
	v_fma_f32 v16, v13, s10, -v12
	v_rndne_f32_e32 v17, v12
	v_fmac_f32_e32 v14, 0x32a5705f, v11
	v_sub_f32_e32 v4, v4, v15
	v_fmac_f32_e32 v16, 0x32a5705f, v13
	v_sub_f32_e32 v12, v12, v17
	v_add_f32_e32 v4, v4, v14
	v_cvt_i32_f32_e32 v15, v15
	v_add_f32_e32 v12, v12, v16
	v_exp_f32_e32 v14, v4
	v_cvt_i32_f32_e32 v17, v17
	v_exp_f32_e32 v12, v12
	v_cmp_ngt_f32_e32 vcc, s20, v11
	v_ldexp_f32 v14, v14, v15
	v_mov_b32_e32 v4, s5
	v_ldexp_f32 v12, v12, v17
	v_cndmask_b32_e32 v14, 0, v14, vcc
	v_cmp_ngt_f32_e32 vcc, s20, v13
	s_nop 1
	v_cndmask_b32_e32 v12, 0, v12, vcc
	v_cmp_nlt_f32_e32 vcc, s21, v11
	s_nop 1
	v_cndmask_b32_e32 v14, v8, v14, vcc
	v_cmp_nlt_f32_e32 vcc, s21, v13
	s_nop 1
	v_cndmask_b32_e32 v15, v8, v12, vcc
	v_cmp_le_f32_e32 vcc, s23, v11
	s_nop 1
	v_cndmask_b32_e32 v12, 0, v14, vcc
	v_cmp_le_f32_e32 vcc, s23, v13
	s_nop 1
	v_cndmask_b32_e32 v14, 0, v15, vcc
	s_waitcnt vmcnt(0)
	v_pk_mul_f32 v[4:5], v[4:5], v[14:15] op_sel_hi:[1,0]
	s_nop 0
	v_pk_fma_f32 v[4:5], v[0:1], v[12:13], v[4:5] op_sel_hi:[1,0,1]
	s_cbranch_execz .LBB67_16
	s_branch .LBB67_17
.LBB67_15:
                                        ; implicit-def: $vgpr4_vgpr5
                                        ; implicit-def: $sgpr2_sgpr3
                                        ; implicit-def: $vgpr10
                                        ; implicit-def: $sgpr1
                                        ; implicit-def: $sgpr25
.LBB67_16:
	s_add_i32 s1, s24, -1
	s_mov_b64 s[2:3], 0
	s_mov_b32 s25, s6
	v_mov_b32_e32 v10, v9
	s_waitcnt vmcnt(0)
	v_mov_b64_e32 v[4:5], v[0:1]
.LBB67_17:
	s_andn2_b64 vcc, exec, s[2:3]
	s_cbranch_vccz .LBB67_22
; %bb.18:
	s_mov_b32 s6, s25
	s_mov_b32 s24, s1
	v_mov_b32_e32 v9, v10
	s_waitcnt vmcnt(0)
	v_mov_b64_e32 v[0:1], v[4:5]
	s_mul_hi_i32 s1, s24, s11
	s_cmp_lg_u64 s[0:1], 0
	s_mul_i32 s8, s24, s11
	s_cbranch_scc1 .LBB67_9
.LBB67_19:
                                        ; implicit-def: $sgpr4_sgpr5
	s_branch .LBB67_10
.LBB67_20:
                                        ; implicit-def: $sgpr6_sgpr7
	s_load_dwordx4 s[12:15], s[0:1], 0x44
	s_branch .LBB67_2
.LBB67_21:
                                        ; implicit-def: $sgpr18_sgpr19
	s_branch .LBB67_5
.LBB67_22:
	v_div_scale_f32 v0, s[0:1], v4, v4, v5
	s_waitcnt vmcnt(0)
	v_rcp_f32_e32 v1, v0
	v_div_scale_f32 v6, vcc, v5, v4, v5
	v_fma_f32 v7, -v0, v1, 1.0
	v_fmac_f32_e32 v1, v7, v1
	v_mul_f32_e32 v7, v6, v1
	v_fma_f32 v8, -v0, v7, v6
	v_fmac_f32_e32 v7, v8, v1
	v_fma_f32 v0, -v0, v7, v6
	v_div_fmas_f32 v0, v0, v1, v7
	v_div_fixup_f32 v0, v0, v4, v5
	global_store_dword v[2:3], v0, off
.LBB67_23:
	s_endpgm
	.section	.rodata,"a",@progbits
	.p2align	6, 0x0
	.amdhsa_kernel _ZL33flash_attn_stream_k_fixup_generalILi128ELi4ELi1EEvPfPK15HIP_vector_typeIfLj2EEiiiiS1_IjLj3EES5_S5_S5_
		.amdhsa_group_segment_fixed_size 0
		.amdhsa_private_segment_fixed_size 0
		.amdhsa_kernarg_size 336
		.amdhsa_user_sgpr_count 2
		.amdhsa_user_sgpr_dispatch_ptr 0
		.amdhsa_user_sgpr_queue_ptr 0
		.amdhsa_user_sgpr_kernarg_segment_ptr 1
		.amdhsa_user_sgpr_dispatch_id 0
		.amdhsa_user_sgpr_kernarg_preload_length 0
		.amdhsa_user_sgpr_kernarg_preload_offset 0
		.amdhsa_user_sgpr_private_segment_size 0
		.amdhsa_uses_dynamic_stack 0
		.amdhsa_enable_private_segment 0
		.amdhsa_system_sgpr_workgroup_id_x 1
		.amdhsa_system_sgpr_workgroup_id_y 1
		.amdhsa_system_sgpr_workgroup_id_z 1
		.amdhsa_system_sgpr_workgroup_info 0
		.amdhsa_system_vgpr_workitem_id 0
		.amdhsa_next_free_vgpr 18
		.amdhsa_next_free_sgpr 36
		.amdhsa_accum_offset 20
		.amdhsa_reserve_vcc 1
		.amdhsa_float_round_mode_32 0
		.amdhsa_float_round_mode_16_64 0
		.amdhsa_float_denorm_mode_32 3
		.amdhsa_float_denorm_mode_16_64 3
		.amdhsa_dx10_clamp 1
		.amdhsa_ieee_mode 1
		.amdhsa_fp16_overflow 0
		.amdhsa_tg_split 0
		.amdhsa_exception_fp_ieee_invalid_op 0
		.amdhsa_exception_fp_denorm_src 0
		.amdhsa_exception_fp_ieee_div_zero 0
		.amdhsa_exception_fp_ieee_overflow 0
		.amdhsa_exception_fp_ieee_underflow 0
		.amdhsa_exception_fp_ieee_inexact 0
		.amdhsa_exception_int_div_zero 0
	.end_amdhsa_kernel
	.section	.text._ZL33flash_attn_stream_k_fixup_generalILi128ELi4ELi1EEvPfPK15HIP_vector_typeIfLj2EEiiiiS1_IjLj3EES5_S5_S5_,"axG",@progbits,_ZL33flash_attn_stream_k_fixup_generalILi128ELi4ELi1EEvPfPK15HIP_vector_typeIfLj2EEiiiiS1_IjLj3EES5_S5_S5_,comdat
.Lfunc_end67:
	.size	_ZL33flash_attn_stream_k_fixup_generalILi128ELi4ELi1EEvPfPK15HIP_vector_typeIfLj2EEiiiiS1_IjLj3EES5_S5_S5_, .Lfunc_end67-_ZL33flash_attn_stream_k_fixup_generalILi128ELi4ELi1EEvPfPK15HIP_vector_typeIfLj2EEiiiiS1_IjLj3EES5_S5_S5_
                                        ; -- End function
	.set _ZL33flash_attn_stream_k_fixup_generalILi128ELi4ELi1EEvPfPK15HIP_vector_typeIfLj2EEiiiiS1_IjLj3EES5_S5_S5_.num_vgpr, 18
	.set _ZL33flash_attn_stream_k_fixup_generalILi128ELi4ELi1EEvPfPK15HIP_vector_typeIfLj2EEiiiiS1_IjLj3EES5_S5_S5_.num_agpr, 0
	.set _ZL33flash_attn_stream_k_fixup_generalILi128ELi4ELi1EEvPfPK15HIP_vector_typeIfLj2EEiiiiS1_IjLj3EES5_S5_S5_.numbered_sgpr, 36
	.set _ZL33flash_attn_stream_k_fixup_generalILi128ELi4ELi1EEvPfPK15HIP_vector_typeIfLj2EEiiiiS1_IjLj3EES5_S5_S5_.num_named_barrier, 0
	.set _ZL33flash_attn_stream_k_fixup_generalILi128ELi4ELi1EEvPfPK15HIP_vector_typeIfLj2EEiiiiS1_IjLj3EES5_S5_S5_.private_seg_size, 0
	.set _ZL33flash_attn_stream_k_fixup_generalILi128ELi4ELi1EEvPfPK15HIP_vector_typeIfLj2EEiiiiS1_IjLj3EES5_S5_S5_.uses_vcc, 1
	.set _ZL33flash_attn_stream_k_fixup_generalILi128ELi4ELi1EEvPfPK15HIP_vector_typeIfLj2EEiiiiS1_IjLj3EES5_S5_S5_.uses_flat_scratch, 0
	.set _ZL33flash_attn_stream_k_fixup_generalILi128ELi4ELi1EEvPfPK15HIP_vector_typeIfLj2EEiiiiS1_IjLj3EES5_S5_S5_.has_dyn_sized_stack, 0
	.set _ZL33flash_attn_stream_k_fixup_generalILi128ELi4ELi1EEvPfPK15HIP_vector_typeIfLj2EEiiiiS1_IjLj3EES5_S5_S5_.has_recursion, 0
	.set _ZL33flash_attn_stream_k_fixup_generalILi128ELi4ELi1EEvPfPK15HIP_vector_typeIfLj2EEiiiiS1_IjLj3EES5_S5_S5_.has_indirect_call, 0
	.section	.AMDGPU.csdata,"",@progbits
; Kernel info:
; codeLenInByte = 2932
; TotalNumSgprs: 42
; NumVgprs: 18
; NumAgprs: 0
; TotalNumVgprs: 18
; ScratchSize: 0
; MemoryBound: 0
; FloatMode: 240
; IeeeMode: 1
; LDSByteSize: 0 bytes/workgroup (compile time only)
; SGPRBlocks: 5
; VGPRBlocks: 2
; NumSGPRsForWavesPerEU: 42
; NumVGPRsForWavesPerEU: 18
; AccumOffset: 20
; Occupancy: 8
; WaveLimiterHint : 0
; COMPUTE_PGM_RSRC2:SCRATCH_EN: 0
; COMPUTE_PGM_RSRC2:USER_SGPR: 2
; COMPUTE_PGM_RSRC2:TRAP_HANDLER: 0
; COMPUTE_PGM_RSRC2:TGID_X_EN: 1
; COMPUTE_PGM_RSRC2:TGID_Y_EN: 1
; COMPUTE_PGM_RSRC2:TGID_Z_EN: 1
; COMPUTE_PGM_RSRC2:TIDIG_COMP_CNT: 0
; COMPUTE_PGM_RSRC3_GFX90A:ACCUM_OFFSET: 4
; COMPUTE_PGM_RSRC3_GFX90A:TG_SPLIT: 0
	.section	.text._ZL15flash_attn_tileILi128ELi128ELi2ELi1ELb0EEvPKcS1_S1_S1_S1_PKiPfP15HIP_vector_typeIfLj2EEffffjfiS5_IjLj3EEiiiiiiiiiiiliiliiiiil,"axG",@progbits,_ZL15flash_attn_tileILi128ELi128ELi2ELi1ELb0EEvPKcS1_S1_S1_S1_PKiPfP15HIP_vector_typeIfLj2EEffffjfiS5_IjLj3EEiiiiiiiiiiiliiliiiiil,comdat
	.globl	_ZL15flash_attn_tileILi128ELi128ELi2ELi1ELb0EEvPKcS1_S1_S1_S1_PKiPfP15HIP_vector_typeIfLj2EEffffjfiS5_IjLj3EEiiiiiiiiiiiliiliiiiil ; -- Begin function _ZL15flash_attn_tileILi128ELi128ELi2ELi1ELb0EEvPKcS1_S1_S1_S1_PKiPfP15HIP_vector_typeIfLj2EEffffjfiS5_IjLj3EEiiiiiiiiiiiliiliiiiil
	.p2align	8
	.type	_ZL15flash_attn_tileILi128ELi128ELi2ELi1ELb0EEvPKcS1_S1_S1_S1_PKiPfP15HIP_vector_typeIfLj2EEffffjfiS5_IjLj3EEiiiiiiiiiiiliiliiiiil,@function
_ZL15flash_attn_tileILi128ELi128ELi2ELi1ELb0EEvPKcS1_S1_S1_S1_PKiPfP15HIP_vector_typeIfLj2EEffffjfiS5_IjLj3EEiiiiiiiiiiiliiliiiiil: ; @_ZL15flash_attn_tileILi128ELi128ELi2ELi1ELb0EEvPKcS1_S1_S1_S1_PKiPfP15HIP_vector_typeIfLj2EEffffjfiS5_IjLj3EEiiiiiiiiiiiliiliiiiil
; %bb.0:
	s_load_dwordx4 s[24:27], s[0:1], 0x5c
	s_load_dwordx2 s[38:39], s[0:1], 0x80
	s_load_dwordx2 s[40:41], s[0:1], 0xb8
	s_mov_b64 s[36:37], 0
	s_waitcnt lgkmcnt(0)
	v_cvt_f32_u32_e32 v1, s27
	s_sub_i32 s5, 0, s27
	v_rcp_iflag_f32_e32 v1, v1
	s_nop 0
	v_mul_f32_e32 v1, 0x4f7ffffe, v1
	v_cvt_u32_f32_e32 v1, v1
	s_nop 0
	v_readfirstlane_b32 s6, v1
	s_mul_i32 s5, s5, s6
	s_mul_hi_u32 s5, s6, s5
	s_add_i32 s6, s6, s5
	s_mul_hi_u32 s5, s4, s6
	s_mul_i32 s6, s5, s27
	s_sub_i32 s6, s4, s6
	s_add_i32 s7, s5, 1
	s_sub_i32 s8, s6, s27
	s_cmp_ge_u32 s6, s27
	s_cselect_b32 s5, s7, s5
	s_cselect_b32 s6, s8, s6
	s_add_i32 s7, s5, 1
	s_cmp_ge_u32 s6, s27
	s_cselect_b32 s33, s7, s5
	s_abs_i32 s5, s39
	v_cvt_f32_u32_e32 v1, s5
	s_mul_i32 s8, s33, s27
	s_sub_i32 s9, 0, s5
	s_sub_i32 s34, s4, s8
	v_rcp_iflag_f32_e32 v1, v1
	s_abs_i32 s7, s27
	s_xor_b32 s6, s27, s39
	s_ashr_i32 s6, s6, 31
	v_mul_f32_e32 v1, 0x4f7ffffe, v1
	v_cvt_u32_f32_e32 v1, v1
	s_nop 0
	v_readfirstlane_b32 s4, v1
	s_mul_i32 s9, s9, s4
	s_mul_hi_u32 s8, s4, s9
	s_add_i32 s4, s4, s8
	s_mul_hi_u32 s4, s7, s4
	s_mul_i32 s8, s4, s5
	s_sub_i32 s7, s7, s8
	s_add_i32 s9, s4, 1
	s_sub_i32 s8, s7, s5
	s_cmp_ge_u32 s7, s5
	s_cselect_b32 s4, s9, s4
	s_cselect_b32 s7, s8, s7
	s_add_i32 s8, s4, 1
	s_cmp_ge_u32 s7, s5
	s_cselect_b32 s4, s8, s4
	s_xor_b32 s4, s4, s6
	s_sub_i32 s42, s4, s6
	s_abs_i32 s39, s42
	v_cvt_f32_u32_e32 v1, s39
	s_load_dwordx16 s[8:23], s[0:1], 0x0
	s_sub_i32 s5, 0, s39
	v_rcp_iflag_f32_e32 v1, v1
	s_waitcnt lgkmcnt(0)
	s_cmp_eq_u64 s[14:15], 0
	v_mul_f32_e32 v1, 0x4f7ffffe, v1
	v_cvt_u32_f32_e32 v1, v1
	s_nop 0
	v_readfirstlane_b32 s4, v1
	s_mul_i32 s5, s5, s4
	s_mul_hi_u32 s5, s4, s5
	s_cbranch_scc1 .LBB68_2
; %bb.1:
	s_abs_i32 s28, s40
	v_cvt_f32_u32_e32 v1, s28
	s_sub_i32 s31, 0, s28
	s_abs_i32 s30, s33
	s_ashr_i32 s29, s33, 31
	v_rcp_iflag_f32_e32 v1, v1
	s_load_dwordx2 s[6:7], s[0:1], 0xc8
	v_mul_f32_e32 v1, 0x4f7ffffe, v1
	v_cvt_u32_f32_e32 v1, v1
	s_nop 0
	v_readfirstlane_b32 s35, v1
	s_mul_i32 s31, s31, s35
	s_mul_hi_u32 s31, s35, s31
	s_add_i32 s35, s35, s31
	s_mul_hi_u32 s31, s30, s35
	s_mul_i32 s31, s31, s28
	s_sub_i32 s30, s30, s31
	s_sub_i32 s31, s30, s28
	s_cmp_ge_u32 s30, s28
	s_cselect_b32 s30, s31, s30
	s_sub_i32 s31, s30, s28
	s_cmp_ge_u32 s30, s28
	s_cselect_b32 s28, s31, s30
	s_xor_b32 s28, s28, s29
	s_sub_i32 s28, s28, s29
	s_ashr_i32 s29, s28, 31
	s_waitcnt lgkmcnt(0)
	s_mul_hi_u32 s30, s6, s28
	s_mul_i32 s29, s6, s29
	s_mul_i32 s7, s7, s28
	s_add_i32 s29, s30, s29
	s_add_i32 s29, s29, s7
	s_mul_i32 s6, s6, s28
	s_add_u32 s36, s14, s6
	s_addc_u32 s37, s15, s29
.LBB68_2:
	s_load_dwordx4 s[28:31], s[0:1], 0x40
	s_add_i32 s15, s4, s5
	s_load_dword s4, s[0:1], 0x50
	s_abs_i32 s14, s34
	v_mov_b32_e32 v5, 1.0
	s_waitcnt lgkmcnt(0)
	v_cmp_le_f32_e64 s[6:7], s29, 0
	s_and_b64 vcc, exec, s[6:7]
	s_cbranch_vccnz .LBB68_4
; %bb.3:
	v_mov_b32_e32 v1, s4
	v_sub_co_u32_e32 v1, vcc, s34, v1
	v_mov_b32_e32 v2, s31
	v_mov_b32_e32 v3, s30
	s_add_i32 s4, s34, 1
	v_lshlrev_b32_e32 v1, 1, v1
	v_cndmask_b32_e32 v2, v2, v3, vcc
	v_or_b32_e32 v1, 1, v1
	v_mov_b32_e32 v3, s4
	v_cndmask_b32_e32 v1, v1, v3, vcc
	v_cvt_f32_i32_e32 v1, v1
	v_cmp_neq_f32_e32 vcc, 1.0, v2
	s_mov_b32 s4, 0x3f2aaaab
	s_movk_i32 s6, 0x204
	v_cndmask_b32_e32 v1, 1.0, v1, vcc
	v_cmp_neq_f32_e32 vcc, 0, v1
	s_mov_b32 s5, 0x42b17218
	s_mov_b32 s7, 0x3fb8aa3b
	v_cndmask_b32_e32 v18, 1.0, v2, vcc
	v_frexp_mant_f32_e64 v2, |v18|
	v_cmp_gt_f32_e32 vcc, s4, v2
	s_mov_b32 s4, 0x3f317218
	s_brev_b32 s35, -2
	v_cndmask_b32_e64 v3, 1.0, 2.0, vcc
	v_mul_f32_e32 v2, v2, v3
	v_add_f32_e32 v5, 1.0, v2
	v_rcp_f32_e32 v10, v5
	v_add_f32_e32 v3, -1.0, v5
	v_sub_f32_e32 v7, v2, v3
	v_add_f32_e32 v3, -1.0, v2
	v_mul_f32_e32 v11, v3, v10
	v_mul_f32_e32 v4, v5, v11
	v_fma_f32 v6, v11, v5, -v4
	v_fmac_f32_e32 v6, v11, v7
	v_add_f32_e32 v2, v4, v6
	v_sub_f32_e32 v5, v3, v2
	v_pk_add_f32 v[8:9], v[2:3], v[4:5] neg_lo:[0,1] neg_hi:[0,1]
	v_mov_b32_e32 v7, v2
	v_pk_add_f32 v[2:3], v[8:9], v[6:7] neg_lo:[0,1] neg_hi:[0,1]
	v_mov_b32_e32 v6, 0x3e91f4c4
	v_add_f32_e32 v2, v2, v3
	v_add_f32_e32 v2, v5, v2
	v_mul_f32_e32 v3, v10, v2
	v_add_f32_e32 v2, v11, v3
	v_sub_f32_e32 v4, v2, v11
	v_sub_f32_e32 v12, v3, v4
	v_mul_f32_e32 v3, v2, v2
	v_fma_f32 v5, v2, v2, -v3
	v_add_f32_e32 v4, v12, v12
	v_fmac_f32_e32 v5, v2, v4
	v_add_f32_e32 v4, v3, v5
	v_fmac_f32_e32 v6, 0x3e76c4e1, v4
	v_fmaak_f32 v6, v4, v6, 0x3ecccdef
	v_sub_f32_e32 v3, v4, v3
	v_sub_f32_e32 v13, v5, v3
	v_mul_f32_e32 v3, v4, v6
	v_fma_f32 v5, v4, v6, -v3
	v_fmac_f32_e32 v5, v13, v6
	v_add_f32_e32 v6, v3, v5
	v_add_f32_e32 v7, 0x3f2aaaaa, v6
	v_sub_f32_e32 v3, v6, v3
	v_sub_f32_e32 v3, v5, v3
	v_add_f32_e32 v5, 0xbf2aaaaa, v7
	v_add_f32_e32 v3, 0x31739010, v3
	v_sub_f32_e32 v5, v6, v5
	v_pk_mul_f32 v[8:9], v[2:3], v[4:5]
	v_pk_add_f32 v[10:11], v[2:3], v[4:5]
	v_fma_f32 v6, v4, v2, -v8
	v_fmac_f32_e32 v6, v4, v12
	v_mov_b32_e32 v9, v11
	v_fmac_f32_e32 v6, v13, v2
	v_pk_add_f32 v[4:5], v[8:9], v[6:7]
	v_ldexp_f32 v14, v12, 1
	v_sub_f32_e32 v3, v4, v8
	v_sub_f32_e32 v3, v6, v3
	;; [unrolled: 1-line block ×3, first 2 shown]
	v_add_f32_e32 v9, v11, v6
	v_pk_mul_f32 v[6:7], v[4:5], v[4:5] op_sel:[0,1] op_sel_hi:[1,0]
	v_cvt_f64_f32_e64 v[10:11], |v18|
	v_frexp_exp_i32_f64_e32 v7, v[10:11]
	v_subbrev_co_u32_e32 v7, vcc, 0, v7, vcc
	v_cvt_f32_i32_e32 v7, v7
	v_fma_f32 v8, v4, v5, -v6
	v_fmac_f32_e32 v8, v4, v9
	v_fmac_f32_e32 v8, v3, v5
	v_mul_f32_e32 v4, 0x3f317218, v7
	v_fma_f32 v3, v7, s4, -v4
	v_fmamk_f32 v10, v7, 0xb102e308, v3
	v_ldexp_f32 v11, v2, 1
	v_add_f32_e32 v5, v6, v8
	v_pk_add_f32 v[2:3], v[4:5], v[10:11]
	v_mov_b32_e32 v12, v5
	v_mov_b32_e32 v13, v3
	;; [unrolled: 1-line block ×3, first 2 shown]
	v_pk_add_f32 v[6:7], v[12:13], v[6:7] neg_lo:[0,1] neg_hi:[0,1]
	v_mov_b32_e32 v9, v5
	v_pk_add_f32 v[6:7], v[8:9], v[6:7] neg_lo:[0,1] neg_hi:[0,1]
	v_mov_b32_e32 v11, v2
	v_add_f32_e32 v5, v14, v6
	v_add_f32_e32 v5, v5, v7
	v_pk_add_f32 v[6:7], v[2:3], v[4:5] neg_lo:[0,1] neg_hi:[0,1]
	v_pk_add_f32 v[8:9], v[2:3], v[4:5]
	v_mov_b32_e32 v16, v3
	v_mov_b32_e32 v7, v9
	v_pk_add_f32 v[12:13], v[10:11], v[6:7] neg_lo:[0,1] neg_hi:[0,1]
	v_pk_add_f32 v[6:7], v[10:11], v[6:7]
	v_mov_b32_e32 v4, v5
	v_pk_add_f32 v[10:11], v[6:7], v[2:3] op_sel:[1,0] op_sel_hi:[0,1] neg_lo:[0,1] neg_hi:[0,1]
	v_pk_add_f32 v[14:15], v[8:9], v[10:11] op_sel_hi:[1,0] neg_lo:[0,1] neg_hi:[0,1]
	v_mov_b32_e32 v8, v9
	v_mov_b32_e32 v9, v7
	;; [unrolled: 1-line block ×3, first 2 shown]
	v_pk_add_f32 v[8:9], v[8:9], v[16:17] neg_lo:[0,1] neg_hi:[0,1]
	v_mov_b32_e32 v5, v2
	v_pk_add_f32 v[2:3], v[4:5], v[8:9] neg_lo:[0,1] neg_hi:[0,1]
	v_mov_b32_e32 v14, v12
	v_pk_add_f32 v[4:5], v[14:15], v[2:3]
	v_mov_b32_e32 v13, v7
	v_pk_add_f32 v[8:9], v[4:5], v[4:5] op_sel:[0,1] op_sel_hi:[1,0]
	s_mov_b32 s4, 0x7f800000
	v_pk_add_f32 v[6:7], v[6:7], v[8:9] op_sel:[1,0] op_sel_hi:[0,1]
	v_mov_b32_e32 v5, v6
	v_pk_add_f32 v[10:11], v[4:5], v[12:13] neg_lo:[0,1] neg_hi:[0,1]
	v_mov_b32_e32 v3, v8
	v_sub_f32_e32 v4, v4, v10
	v_pk_add_f32 v[2:3], v[2:3], v[10:11] neg_lo:[0,1] neg_hi:[0,1]
	v_sub_f32_e32 v4, v12, v4
	v_add_f32_e32 v2, v2, v4
	v_add_f32_e32 v2, v2, v3
	;; [unrolled: 1-line block ×3, first 2 shown]
	v_sub_f32_e32 v4, v3, v6
	v_sub_f32_e32 v2, v2, v4
	v_mul_f32_e32 v4, v1, v3
	v_fma_f32 v3, v1, v3, -v4
	v_fmac_f32_e32 v3, v1, v2
	v_add_f32_e32 v2, v4, v3
	v_cmp_class_f32_e64 vcc, v4, s6
	v_sub_f32_e32 v5, v2, v4
	v_sub_f32_e32 v3, v3, v5
	v_cndmask_b32_e32 v2, v2, v4, vcc
	v_mov_b32_e32 v4, 0x37000000
	v_cmp_eq_f32_e32 vcc, s5, v2
	v_cmp_class_f32_e64 s[30:31], v18, s6
	s_nop 0
	v_cndmask_b32_e32 v4, 0, v4, vcc
	v_sub_f32_e32 v5, v2, v4
	v_mul_f32_e32 v6, 0x3fb8aa3b, v5
	v_fma_f32 v7, v5, s7, -v6
	v_rndne_f32_e32 v8, v6
	v_fmamk_f32 v7, v5, 0x32a5705f, v7
	v_sub_f32_e32 v6, v6, v8
	v_add_f32_e32 v6, v6, v7
	v_exp_f32_e32 v6, v6
	v_cvt_i32_f32_e32 v7, v8
	v_cmp_neq_f32_e64 vcc, |v2|, s4
	s_mov_b32 s4, 0xc2ce8ed0
	s_nop 0
	v_cndmask_b32_e32 v2, 0, v3, vcc
	v_ldexp_f32 v3, v6, v7
	v_cmp_ngt_f32_e32 vcc, s4, v5
	v_add_f32_e32 v2, v4, v2
	v_mov_b32_e32 v4, 0x7f800000
	v_cndmask_b32_e32 v3, 0, v3, vcc
	v_cmp_nlt_f32_e32 vcc, s5, v5
	v_mov_b32_e32 v5, 0x7fc00000
	s_nop 0
	v_cndmask_b32_e32 v3, v4, v3, vcc
	v_fma_f32 v2, v3, v2, v3
	v_cmp_class_f32_e64 vcc, v3, s6
	v_cmp_gt_f32_e64 s[6:7], 0, v1
	s_nop 0
	v_cndmask_b32_e32 v2, v2, v3, vcc
	v_trunc_f32_e32 v3, v1
	v_cmp_eq_f32_e32 vcc, v3, v1
	v_mul_f32_e32 v3, 0.5, v1
	v_trunc_f32_e32 v6, v3
	v_cmp_neq_f32_e64 s[4:5], v6, v3
	s_and_b64 s[4:5], vcc, s[4:5]
	s_nop 0
	v_cndmask_b32_e64 v3, 1.0, v18, s[4:5]
	v_bfi_b32 v2, s35, v2, v3
	v_cndmask_b32_e32 v3, v5, v2, vcc
	v_cmp_gt_f32_e32 vcc, 0, v18
	s_nop 1
	v_cndmask_b32_e32 v2, v2, v3, vcc
	v_cmp_eq_f32_e32 vcc, 0, v18
	s_xor_b64 s[6:7], s[6:7], vcc
	v_cndmask_b32_e64 v1, v4, 0, s[6:7]
	v_cndmask_b32_e64 v3, 0, v18, s[4:5]
	v_bfi_b32 v1, s35, v1, v3
	s_or_b64 vcc, vcc, s[30:31]
	v_cndmask_b32_e32 v1, v2, v1, vcc
	v_cmp_o_f32_e32 vcc, v18, v18
	s_nop 1
	v_cndmask_b32_e32 v5, v5, v1, vcc
.LBB68_4:
	v_bfe_u32 v33, v0, 10, 10
	v_lshlrev_b32_e32 v2, 7, v33
	v_and_b32_e32 v30, 0x3ff, v0
	v_lshrrev_b32_e32 v1, 10, v0
	v_and_b32_e32 v2, 0x180, v2
	v_lshlrev_b32_e32 v31, 2, v30
	s_lshl_b32 s4, s2, 1
	v_bfe_u32 v1, v1, 2, 8
	v_add_u32_e32 v3, v2, v31
	s_movk_i32 s5, 0x80
	s_mul_hi_u32 s6, s14, s15
	v_cmp_gt_u32_e32 vcc, s5, v3
	v_bfe_u32 v3, v0, 10, 2
	v_lshlrev_b32_e32 v34, 3, v30
	v_add_u32_e32 v32, s4, v1
	s_and_saveexec_b64 s[4:5], vcc
	s_cbranch_execz .LBB68_6
; %bb.5:
	s_load_dwordx4 s[44:47], s[0:1], 0x70
	v_mul_hi_u32 v0, s24, v32
	v_add_u32_e32 v0, v32, v0
	v_lshrrev_b32_e32 v0, s25, v0
	v_mul_lo_u32 v0, v0, s26
	s_waitcnt lgkmcnt(0)
	s_mul_i32 s7, s33, s46
	s_ashr_i32 s30, s7, 31
	s_mul_i32 s15, s34, s45
	s_add_u32 s7, s8, s7
	s_addc_u32 s9, s9, s30
	s_ashr_i32 s30, s15, 31
	s_add_u32 s8, s7, s15
	s_addc_u32 s9, s9, s30
	s_ashr_i32 s45, s44, 31
	s_lshr_b64 s[30:31], s[44:45], 2
	v_sub_u32_e32 v4, v32, v0
	v_mad_u64_u32 v[6:7], s[30:31], s30, v4, 0
	v_mov_b32_e32 v0, v7
	s_lshr_b32 s7, s45, 2
	v_mad_u64_u32 v[8:9], s[30:31], s7, v4, v[0:1]
	v_mov_b32_e32 v7, v8
	v_lshl_add_u64 v[6:7], v[6:7], 2, s[8:9]
	v_lshlrev_b32_e32 v8, 2, v2
	v_mov_b32_e32 v9, 0
	v_lshl_add_u64 v[6:7], v[6:7], 0, v[8:9]
	v_lshlrev_b32_e32 v8, 2, v31
	v_lshl_add_u64 v[6:7], v[6:7], 0, v[8:9]
	global_load_dwordx4 v[6:9], v[6:7], off
	v_add_u32_e32 v0, v1, v3
	v_lshl_add_u32 v2, v0, 8, v34
	s_waitcnt vmcnt(0)
	v_fma_mixlo_f16 v0, s28, v6, 0
	v_fma_mixlo_f16 v1, s28, v8, 0
	v_mov_b32_e32 v6, v9
	v_and_b32_e32 v4, 0xffff, v0
	v_and_b32_e32 v8, 0xffff, v1
	v_pk_mul_f32 v[0:1], s[28:29], v[6:7] op_sel_hi:[0,1]
	v_cvt_pk_f16_f32 v0, v0, v1
	v_lshlrev_b32_e32 v1, 16, v0
	v_and_b32_e32 v0, 0xffff0000, v0
	v_or_b32_e32 v0, v0, v4
	v_or3_b32 v1, v1, v8, 0
	v_or3_b32 v0, 0, 0, v0
	ds_write_b64 v2, v[0:1] offset:18944
.LBB68_6:
	s_or_b64 exec, exec, s[4:5]
	s_ashr_i32 s35, s34, 31
	s_ashr_i32 s4, s42, 31
	s_cmp_eq_u64 s[18:19], 0
	s_waitcnt lgkmcnt(0)
	s_barrier
	s_cbranch_scc1 .LBB68_8
; %bb.7:
	s_load_dword s5, s[0:1], 0xd0
	s_mov_b32 s9, 0
	s_waitcnt lgkmcnt(0)
	s_mul_i32 s5, s5, s33
	s_add_i32 s8, s5, s2
	s_lshl_b64 s[8:9], s[8:9], 2
	s_add_u32 s8, s18, s8
	s_addc_u32 s9, s19, s9
	s_load_dword s38, s[8:9], 0x0
.LBB68_8:
	s_nop 0
	s_load_dwordx2 s[8:9], s[0:1], 0x8c
	s_load_dwordx4 s[28:31], s[0:1], 0x98
	s_load_dwordx2 s[42:43], s[0:1], 0xa8
	s_ashr_i32 s5, s33, 31
	s_ashr_i32 s15, s41, 1
	s_waitcnt lgkmcnt(0)
	s_ashr_i32 s18, s8, 2
	s_mul_hi_u32 s7, s28, s33
	s_mul_i32 s8, s28, s5
	s_add_i32 s7, s7, s8
	s_mul_i32 s8, s29, s33
	s_ashr_i32 s2, s30, 2
	s_add_i32 s7, s7, s8
	s_mul_i32 s8, s28, s33
	s_add_u32 s8, s10, s8
	s_mul_i32 s10, s6, s39
	s_addc_u32 s7, s11, s7
	s_sub_i32 s10, s14, s10
	s_xor_b32 s4, s35, s4
	s_add_i32 s11, s6, 1
	s_sub_i32 s14, s10, s39
	s_cmp_ge_u32 s10, s39
	s_cselect_b32 s6, s11, s6
	s_cselect_b32 s10, s14, s10
	s_add_i32 s11, s6, 1
	s_cmp_ge_u32 s10, s39
	s_cselect_b32 s6, s11, s6
	s_xor_b32 s6, s6, s4
	s_sub_i32 s4, s6, s4
	s_mul_i32 s6, s4, s9
	s_ashr_i32 s9, s6, 31
	s_add_u32 s19, s8, s6
	s_mul_hi_u32 s6, s42, s33
	s_mul_i32 s5, s42, s5
	s_addc_u32 s28, s7, s9
	s_add_i32 s5, s6, s5
	s_mul_i32 s6, s43, s33
	s_add_i32 s5, s5, s6
	s_mul_i32 s6, s42, s33
	s_add_u32 s6, s12, s6
	s_mul_i32 s4, s4, s31
	s_addc_u32 s5, s13, s5
	s_ashr_i32 s7, s4, 31
	s_add_u32 s12, s6, s4
	s_addc_u32 s13, s5, s7
	s_lshl_b32 s14, s3, 7
	s_add_i32 s29, s38, 0xffffff80
	s_cmp_ge_i32 s14, s29
	v_lshlrev_b32_e32 v35, 2, v33
	v_lshrrev_b32_e32 v7, 3, v30
	v_and_b32_e32 v6, 28, v31
	v_lshlrev_b32_e32 v37, 5, v33
	v_lshlrev_b32_e32 v40, 6, v33
	v_and_b32_e32 v38, 3, v30
	v_lshrrev_b32_e32 v36, 4, v30
	v_and_b32_e32 v4, 60, v31
	v_mbcnt_lo_u32_b32 v39, -1, 0
	s_cbranch_scc1 .LBB68_16
; %bb.9:
	v_mul_hi_u32 v8, s24, v32
	v_add_u32_e32 v8, v32, v8
	v_add_u32_e32 v0, v7, v35
	v_lshlrev_b32_e32 v1, 2, v6
	s_movk_i32 s4, 0x90
	v_lshrrev_b32_e32 v8, s25, v8
	v_mad_u32_u24 v41, v0, s4, v1
	v_and_b32_e32 v1, 0x60, v37
	v_mul_lo_u32 v8, v8, s26
	v_mul_lo_u32 v10, s18, v0
	v_add_u32_e32 v0, v1, v30
	v_and_b32_e32 v2, 0xff00, v40
	v_sub_u32_e32 v8, v32, v8
	s_movk_i32 s8, 0x3fc
	s_lshl_b32 s4, s18, 5
	v_mul_u32_u24_e32 v45, 0x90, v0
	v_add_u32_e32 v46, 0x4a00, v2
	v_mad_u64_u32 v[18:19], s[6:7], v8, s15, v[0:1]
	v_and_or_b32 v0, v33, s8, v38
	v_mov_b32_e32 v8, 0x4c00
	v_add_u32_e32 v2, 0x4800, v2
	v_add_u32_e32 v12, s4, v10
	v_lshl_add_u32 v48, v0, 2, v8
	v_lshl_or_b32 v0, v1, 1, v2
	v_add_u32_e32 v14, s4, v12
	s_cmp_lg_u64 s[36:37], 0
	v_lshl_add_u32 v49, v30, 1, v0
	v_lshl_add_u32 v0, v33, 1, v36
	v_lshlrev_b32_e32 v1, 2, v4
	v_add_u32_e32 v16, s4, v14
	s_cselect_b64 s[4:5], -1, 0
	v_lshl_or_b32 v50, v0, 8, v1
	v_mul_lo_u32 v0, s2, v0
	s_lshl_b32 s8, s2, 4
	v_add_u32_e32 v24, s8, v0
	v_add_u32_e32 v26, s8, v24
	;; [unrolled: 1-line block ×3, first 2 shown]
	v_mov_b32_e32 v9, 0
	v_ashrrev_i32_e32 v1, 31, v0
	v_ashrrev_i32_e32 v25, 31, v24
	;; [unrolled: 1-line block ×4, first 2 shown]
	v_lshl_or_b32 v54, v3, 1, v2
	v_lshlrev_b32_e32 v2, 8, v3
	s_add_u32 s8, s0, 0xd0
	v_cndmask_b32_e64 v19, 0, 1, s[4:5]
	v_ashrrev_i32_e32 v11, 31, v10
	v_add_u32_e32 v42, 0x1200, v41
	v_ashrrev_i32_e32 v13, 31, v12
	v_add_u32_e32 v43, 0x2400, v41
	;; [unrolled: 2-line block ×3, first 2 shown]
	v_ashrrev_i32_e32 v17, 31, v16
	v_cmp_eq_u32_e64 s[6:7], 0, v30
	v_add_u32_e32 v47, 0x4c00, v35
	v_add_u32_e32 v51, 0x1000, v50
	;; [unrolled: 1-line block ×4, first 2 shown]
	s_addc_u32 s9, s1, 0
	v_mov_b32_e32 v58, 0xfeffffff
	v_lshlrev_b32_e32 v20, 2, v6
	v_mov_b32_e32 v21, v9
	v_mbcnt_hi_u32_b32 v55, -1, v39
	s_mov_b32 s30, 0x3fb8aa3b
	s_mov_b32 s31, 0xc2ce8ed0
	;; [unrolled: 1-line block ×3, first 2 shown]
	v_lshlrev_b64 v[22:23], 2, v[0:1]
	v_lshlrev_b32_e32 v8, 2, v4
	v_lshlrev_b64 v[24:25], 2, v[24:25]
	v_lshlrev_b64 v[26:27], 2, v[26:27]
	;; [unrolled: 1-line block ×3, first 2 shown]
	v_add_u32_e32 v56, v34, v2
	v_cmp_ne_u32_e64 s[4:5], 1, v19
	v_mov_b32_e32 v57, 0x7f800000
	v_mov_b32_e32 v0, v9
	;; [unrolled: 1-line block ×4, first 2 shown]
.LBB68_10:                              ; =>This Inner Loop Header: Depth=1
	s_mul_hi_i32 s11, s14, s18
	s_mul_i32 s10, s14, s18
	s_lshl_b64 s[10:11], s[10:11], 2
	s_add_u32 s10, s19, s10
	s_addc_u32 s11, s28, s11
	v_lshl_add_u64 v[60:61], v[10:11], 2, s[10:11]
	v_lshl_add_u64 v[68:69], v[14:15], 2, s[10:11]
	;; [unrolled: 1-line block ×7, first 2 shown]
	global_load_dwordx4 v[60:63], v[76:77], off
	global_load_dwordx4 v[64:67], v[78:79], off
	v_lshl_add_u64 v[82:83], v[68:69], 0, v[20:21]
	global_load_dwordx4 v[68:71], v[80:81], off
	global_load_dwordx4 v[72:75], v[82:83], off
	v_mov_b32_e32 v2, 0
	s_and_b64 vcc, exec, s[4:5]
	v_mov_b32_e32 v59, 0
	s_waitcnt vmcnt(3)
	ds_write_b128 v41, v[60:63]
	s_waitcnt vmcnt(2)
	ds_write_b128 v42, v[64:67]
	;; [unrolled: 2-line block ×4, first 2 shown]
	s_waitcnt lgkmcnt(0)
	s_barrier
	ds_read_b128 v[60:63], v45
	ds_read_b128 v[64:67], v46
	s_waitcnt lgkmcnt(0)
	;;#ASMSTART
	v_dot2_f32_f16 v2, v60, v64, v2
	;;#ASMEND
	s_nop 0
	;;#ASMSTART
	v_dot2_f32_f16 v2, v61, v65, v2
	;;#ASMEND
	s_nop 0
	;;#ASMSTART
	v_dot2_f32_f16 v2, v62, v66, v2
	;;#ASMEND
	s_nop 0
	;;#ASMSTART
	v_dot2_f32_f16 v2, v63, v67, v2
	;;#ASMEND
	ds_read_b128 v[60:63], v45 offset:16
	ds_read_b128 v[64:67], v46 offset:16
	s_waitcnt lgkmcnt(0)
	;;#ASMSTART
	v_dot2_f32_f16 v2, v60, v64, v2
	;;#ASMEND
	s_nop 0
	;;#ASMSTART
	v_dot2_f32_f16 v2, v61, v65, v2
	;;#ASMEND
	s_nop 0
	;;#ASMSTART
	v_dot2_f32_f16 v2, v62, v66, v2
	;;#ASMEND
	s_nop 0
	;;#ASMSTART
	v_dot2_f32_f16 v2, v63, v67, v2
	;;#ASMEND
	ds_read_b128 v[60:63], v45 offset:32
	ds_read_b128 v[64:67], v46 offset:32
	s_waitcnt lgkmcnt(0)
	;;#ASMSTART
	v_dot2_f32_f16 v2, v60, v64, v2
	;;#ASMEND
	s_nop 0
	;;#ASMSTART
	v_dot2_f32_f16 v2, v61, v65, v2
	;;#ASMEND
	s_nop 0
	;;#ASMSTART
	v_dot2_f32_f16 v2, v62, v66, v2
	;;#ASMEND
	s_nop 0
	;;#ASMSTART
	v_dot2_f32_f16 v2, v63, v67, v2
	;;#ASMEND
	ds_read_b128 v[60:63], v45 offset:48
	ds_read_b128 v[64:67], v46 offset:48
	s_waitcnt lgkmcnt(0)
	;;#ASMSTART
	v_dot2_f32_f16 v2, v60, v64, v2
	;;#ASMEND
	s_nop 0
	;;#ASMSTART
	v_dot2_f32_f16 v2, v61, v65, v2
	;;#ASMEND
	s_nop 0
	;;#ASMSTART
	v_dot2_f32_f16 v2, v62, v66, v2
	;;#ASMEND
	s_nop 0
	;;#ASMSTART
	v_dot2_f32_f16 v2, v63, v67, v2
	;;#ASMEND
	ds_read_b128 v[60:63], v45 offset:64
	ds_read_b128 v[64:67], v46 offset:64
	s_waitcnt lgkmcnt(0)
	;;#ASMSTART
	v_dot2_f32_f16 v2, v60, v64, v2
	;;#ASMEND
	s_nop 0
	;;#ASMSTART
	v_dot2_f32_f16 v2, v61, v65, v2
	;;#ASMEND
	s_nop 0
	;;#ASMSTART
	v_dot2_f32_f16 v2, v62, v66, v2
	;;#ASMEND
	s_nop 0
	;;#ASMSTART
	v_dot2_f32_f16 v2, v63, v67, v2
	;;#ASMEND
	ds_read_b128 v[60:63], v45 offset:80
	ds_read_b128 v[64:67], v46 offset:80
	s_waitcnt lgkmcnt(0)
	;;#ASMSTART
	v_dot2_f32_f16 v2, v60, v64, v2
	;;#ASMEND
	s_nop 0
	;;#ASMSTART
	v_dot2_f32_f16 v2, v61, v65, v2
	;;#ASMEND
	s_nop 0
	;;#ASMSTART
	v_dot2_f32_f16 v2, v62, v66, v2
	;;#ASMEND
	s_nop 0
	;;#ASMSTART
	v_dot2_f32_f16 v2, v63, v67, v2
	;;#ASMEND
	ds_read_b128 v[60:63], v45 offset:96
	ds_read_b128 v[64:67], v46 offset:96
	s_waitcnt lgkmcnt(0)
	;;#ASMSTART
	v_dot2_f32_f16 v2, v60, v64, v2
	;;#ASMEND
	s_nop 0
	;;#ASMSTART
	v_dot2_f32_f16 v2, v61, v65, v2
	;;#ASMEND
	s_nop 0
	;;#ASMSTART
	v_dot2_f32_f16 v2, v62, v66, v2
	;;#ASMEND
	s_nop 0
	;;#ASMSTART
	v_dot2_f32_f16 v2, v63, v67, v2
	;;#ASMEND
	ds_read_b128 v[60:63], v45 offset:112
	ds_read_b128 v[64:67], v46 offset:112
	s_waitcnt lgkmcnt(0)
	;;#ASMSTART
	v_dot2_f32_f16 v2, v60, v64, v2
	;;#ASMEND
	s_nop 0
	;;#ASMSTART
	v_dot2_f32_f16 v2, v61, v65, v2
	;;#ASMEND
	s_nop 0
	;; [unrolled: 4-line block ×3, first 2 shown]
	;;#ASMSTART
	v_dot2_f32_f16 v2, v63, v67, v2
	;;#ASMEND
	s_barrier
	global_load_dwordx4 v[60:63], v[76:77], off offset:128
	global_load_dwordx4 v[64:67], v[78:79], off offset:128
	;; [unrolled: 1-line block ×4, first 2 shown]
	s_waitcnt vmcnt(3)
	ds_write_b128 v41, v[60:63]
	s_waitcnt vmcnt(2)
	ds_write_b128 v42, v[64:67]
	s_waitcnt vmcnt(1)
	ds_write_b128 v43, v[68:71]
	s_waitcnt vmcnt(0)
	ds_write_b128 v44, v[72:75]
	s_waitcnt lgkmcnt(0)
	s_barrier
	ds_read_b128 v[60:63], v45
	ds_read_b128 v[64:67], v46 offset:128
	s_waitcnt lgkmcnt(0)
	;;#ASMSTART
	v_dot2_f32_f16 v2, v60, v64, v2
	;;#ASMEND
	s_nop 0
	;;#ASMSTART
	v_dot2_f32_f16 v2, v61, v65, v2
	;;#ASMEND
	s_nop 0
	;;#ASMSTART
	v_dot2_f32_f16 v2, v62, v66, v2
	;;#ASMEND
	s_nop 0
	;;#ASMSTART
	v_dot2_f32_f16 v2, v63, v67, v2
	;;#ASMEND
	ds_read_b128 v[60:63], v45 offset:16
	ds_read_b128 v[64:67], v46 offset:144
	s_waitcnt lgkmcnt(0)
	;;#ASMSTART
	v_dot2_f32_f16 v2, v60, v64, v2
	;;#ASMEND
	s_nop 0
	;;#ASMSTART
	v_dot2_f32_f16 v2, v61, v65, v2
	;;#ASMEND
	s_nop 0
	;;#ASMSTART
	v_dot2_f32_f16 v2, v62, v66, v2
	;;#ASMEND
	s_nop 0
	;;#ASMSTART
	v_dot2_f32_f16 v2, v63, v67, v2
	;;#ASMEND
	ds_read_b128 v[60:63], v45 offset:32
	;; [unrolled: 18-line block ×7, first 2 shown]
	ds_read_b128 v[64:67], v46 offset:240
	s_waitcnt lgkmcnt(0)
	;;#ASMSTART
	v_dot2_f32_f16 v2, v60, v64, v2
	;;#ASMEND
	s_nop 0
	;;#ASMSTART
	v_dot2_f32_f16 v2, v61, v65, v2
	;;#ASMEND
	s_nop 0
	;; [unrolled: 4-line block ×3, first 2 shown]
	;;#ASMSTART
	v_dot2_f32_f16 v2, v63, v67, v2
	;;#ASMEND
	s_cbranch_vccnz .LBB68_12
; %bb.11:                               ;   in Loop: Header=BB68_10 Depth=1
	v_add_u32_e32 v60, s14, v18
	v_ashrrev_i32_e32 v61, 31, v60
	v_lshl_add_u64 v[60:61], v[60:61], 1, s[36:37]
	global_load_ushort v59, v[60:61], off
	s_waitcnt vmcnt(0)
	v_cvt_f32_f16_e32 v59, v59
	v_mul_f32_e32 v59, v5, v59
.LBB68_12:                              ;   in Loop: Header=BB68_10 Depth=1
	v_and_b32_e32 v60, 0x60, v55
	v_add_u32_e32 v61, 32, v60
	v_xor_b32_e32 v60, 16, v55
	v_cmp_lt_i32_e32 vcc, v60, v61
	v_add_f32_e32 v59, v2, v59
	v_add_f32_e32 v2, 0x40051340, v59
	v_cndmask_b32_e32 v60, v55, v60, vcc
	v_max_f32_e32 v62, v58, v58
	v_lshlrev_b32_e32 v60, 2, v60
	v_max_f32_e32 v2, v62, v2
	ds_bpermute_b32 v60, v60, v2
	v_xor_b32_e32 v62, 8, v55
	v_cmp_lt_i32_e32 vcc, v62, v61
	s_waitcnt lgkmcnt(0)
	v_max_f32_e32 v60, v60, v60
	v_cndmask_b32_e32 v62, v55, v62, vcc
	v_lshlrev_b32_e32 v62, 2, v62
	v_max_f32_e32 v2, v2, v60
	ds_bpermute_b32 v60, v62, v2
	v_xor_b32_e32 v62, 4, v55
	v_cmp_lt_i32_e32 vcc, v62, v61
	s_waitcnt lgkmcnt(0)
	v_max_f32_e32 v60, v60, v60
	v_cndmask_b32_e32 v62, v55, v62, vcc
	;; [unrolled: 8-line block ×3, first 2 shown]
	v_lshlrev_b32_e32 v63, 2, v63
	v_max_f32_e32 v62, v60, v62
	ds_bpermute_b32 v63, v63, v62
	v_xor_b32_e32 v60, 1, v55
	v_cmp_lt_i32_e32 vcc, v60, v61
	s_nop 1
	v_cndmask_b32_e32 v61, v55, v60, vcc
	v_lshlrev_b32_e32 v64, 2, v61
	s_waitcnt lgkmcnt(0)
	v_max_f32_e32 v61, v63, v63
	v_max_f32_e32 v61, v62, v61
	ds_bpermute_b32 v62, v64, v61
	s_and_saveexec_b64 s[10:11], s[6:7]
	s_cbranch_execz .LBB68_14
; %bb.13:                               ;   in Loop: Header=BB68_10 Depth=1
	s_waitcnt lgkmcnt(0)
	v_max_f32_e32 v62, v62, v62
	v_max_f32_e32 v61, v61, v61
	;; [unrolled: 1-line block ×3, first 2 shown]
	ds_write_b32 v47, v61
.LBB68_14:                              ;   in Loop: Header=BB68_10 Depth=1
	s_or_b64 exec, exec, s[10:11]
	s_mul_hi_i32 s11, s14, s2
	s_mul_i32 s10, s14, s2
	s_lshl_b64 s[10:11], s[10:11], 2
	s_add_u32 s10, s12, s10
	s_addc_u32 s11, s13, s11
	s_waitcnt lgkmcnt(0)
	v_lshl_add_u64 v[62:63], s[10:11], 0, v[22:23]
	v_lshl_add_u64 v[70:71], v[62:63], 0, v[8:9]
	;; [unrolled: 1-line block ×3, first 2 shown]
	s_barrier
	v_lshl_add_u64 v[72:73], v[62:63], 0, v[8:9]
	global_load_dwordx4 v[62:65], v[70:71], off
	global_load_dwordx4 v[66:69], v[72:73], off
	v_lshl_add_u64 v[70:71], s[10:11], 0, v[26:27]
	v_lshl_add_u64 v[78:79], v[70:71], 0, v[8:9]
	v_lshl_add_u64 v[70:71], s[10:11], 0, v[28:29]
	v_lshl_add_u64 v[80:81], v[70:71], 0, v[8:9]
	global_load_dwordx4 v[70:73], v[78:79], off
	global_load_dwordx4 v[74:77], v[80:81], off
	ds_read_b32 v61, v48
	v_and_b32_e32 v78, 0x7c, v55
	v_add_u32_e32 v78, 4, v78
	v_cmp_lt_i32_e32 vcc, v2, v78
	s_or_b32 s10, s14, 64
	s_mul_hi_i32 s11, s10, s2
	v_cndmask_b32_e32 v2, v55, v2, vcc
	v_lshlrev_b32_e32 v2, 2, v2
	s_waitcnt lgkmcnt(0)
	ds_bpermute_b32 v2, v2, v61
	v_cmp_lt_i32_e32 vcc, v60, v78
	v_max_f32_e32 v61, v61, v61
	s_mul_i32 s10, s10, s2
	v_cndmask_b32_e32 v60, v55, v60, vcc
	s_waitcnt lgkmcnt(0)
	v_max_f32_e32 v2, v2, v2
	v_lshlrev_b32_e32 v60, 2, v60
	v_max_f32_e32 v2, v61, v2
	ds_bpermute_b32 v60, v60, v2
	s_lshl_b64 s[10:11], s[10:11], 2
	s_add_u32 s10, s12, s10
	s_addc_u32 s11, s13, s11
	v_lshl_add_u64 v[92:93], s[10:11], 0, v[22:23]
	s_waitcnt lgkmcnt(0)
	v_max_f32_e32 v60, v60, v60
	v_max_f32_e32 v2, v2, v60
	v_sub_f32_e32 v59, v59, v2
	v_mul_f32_e32 v60, 0x3fb8aa3b, v59
	v_fma_f32 v61, v59, s30, -v60
	v_rndne_f32_e32 v78, v60
	v_fmac_f32_e32 v61, 0x32a5705f, v59
	v_sub_f32_e32 v60, v60, v78
	v_add_f32_e32 v60, v60, v61
	v_cvt_i32_f32_e32 v78, v78
	v_exp_f32_e32 v60, v60
	v_cmp_ngt_f32_e32 vcc, s31, v59
	v_lshl_add_u64 v[100:101], v[92:93], 0, v[8:9]
	v_lshl_add_u64 v[92:93], s[10:11], 0, v[24:25]
	v_ldexp_f32 v60, v60, v78
	v_cndmask_b32_e32 v60, 0, v60, vcc
	v_cmp_nlt_f32_e32 vcc, s39, v59
	v_lshl_add_u64 v[102:103], v[92:93], 0, v[8:9]
	v_sub_f32_e32 v58, v58, v2
	v_cndmask_b32_e32 v59, v57, v60, vcc
	v_cvt_f16_f32_e32 v60, v59
	v_cmp_ngt_f32_e32 vcc, s31, v58
	ds_write_b16 v49, v60
	s_waitcnt vmcnt(3)
	ds_write_b128 v50, v[62:65]
	s_waitcnt vmcnt(2)
	ds_write_b128 v51, v[66:69]
	;; [unrolled: 2-line block ×4, first 2 shown]
	s_waitcnt lgkmcnt(0)
	s_barrier
	ds_read2st64_b64 v[60:63], v56 offset1:2
	ds_read_u16 v112, v54
	ds_read_u16 v113, v54 offset:8
	ds_read_u16 v114, v54 offset:16
	;; [unrolled: 1-line block ×7, first 2 shown]
	ds_read2st64_b64 v[64:67], v56 offset0:4 offset1:6
	ds_read2st64_b64 v[68:71], v56 offset0:8 offset1:10
	;; [unrolled: 1-line block ×7, first 2 shown]
	ds_read_u16 v120, v54 offset:64
	ds_read_u16 v121, v54 offset:72
	ds_read_u16 v122, v54 offset:80
	ds_read_u16 v123, v54 offset:88
	ds_read_u16 v124, v54 offset:96
	ds_read_u16 v125, v54 offset:104
	ds_read_u16 v126, v54 offset:112
	ds_read_u16 v127, v54 offset:120
	s_waitcnt lgkmcnt(0)
	s_barrier
	global_load_dwordx4 v[92:95], v[100:101], off
	global_load_dwordx4 v[96:99], v[102:103], off
	v_lshl_add_u64 v[100:101], s[10:11], 0, v[26:27]
	v_lshl_add_u64 v[108:109], v[100:101], 0, v[8:9]
	;; [unrolled: 1-line block ×4, first 2 shown]
	global_load_dwordx4 v[100:103], v[108:109], off
	global_load_dwordx4 v[104:107], v[110:111], off
	v_mul_f32_e32 v108, 0x3fb8aa3b, v58
	v_fma_f32 v109, v58, s30, -v108
	v_rndne_f32_e32 v110, v108
	v_fmac_f32_e32 v109, 0x32a5705f, v58
	v_sub_f32_e32 v108, v108, v110
	v_add_f32_e32 v108, v108, v109
	v_cvt_i32_f32_e32 v110, v110
	v_exp_f32_e32 v108, v108
	v_mul_u32_u24_e32 v109, 0x10001, v112
	v_pk_mul_f16 v60, v60, v109
	s_waitcnt vmcnt(3)
	ds_write_b128 v50, v[92:95]
	s_waitcnt vmcnt(2)
	ds_write_b128 v51, v[96:99]
	;; [unrolled: 2-line block ×4, first 2 shown]
	v_ldexp_f32 v108, v108, v110
	v_cndmask_b32_e32 v108, 0, v108, vcc
	v_cmp_nlt_f32_e32 vcc, s39, v58
	s_waitcnt lgkmcnt(0)
	s_barrier
	v_cndmask_b32_e32 v58, v57, v108, vcc
	v_cvt_f16_f32_e32 v108, v58
	v_fma_f32 v19, v19, v58, v59
	v_mul_u32_u24_e32 v58, 0x10001, v114
	v_mul_u32_u24_e32 v108, 0x10001, v108
	v_pk_fma_f16 v0, v0, v108, v60
	v_pk_mul_f16 v60, v61, v109
	s_nop 0
	v_pk_fma_f16 v1, v1, v108, v60
	v_mul_u32_u24_e32 v60, 0x10001, v113
	v_pk_fma_f16 v0, v62, v60, v0
	v_pk_fma_f16 v1, v63, v60, v1
	;; [unrolled: 1-line block ×4, first 2 shown]
	v_mul_u32_u24_e32 v58, 0x10001, v115
	v_pk_fma_f16 v0, v66, v58, v0
	v_pk_fma_f16 v1, v67, v58, v1
	v_mul_u32_u24_e32 v58, 0x10001, v116
	v_pk_fma_f16 v0, v68, v58, v0
	v_pk_fma_f16 v1, v69, v58, v1
	;; [unrolled: 3-line block ×13, first 2 shown]
	ds_read2st64_b64 v[58:61], v56 offset1:2
	ds_read_u16 v62, v54 offset:128
	ds_read_u16 v66, v54 offset:136
	;; [unrolled: 1-line block ×8, first 2 shown]
	s_waitcnt lgkmcnt(7)
	v_mul_u32_u24_e32 v62, 0x10001, v62
	v_pk_fma_f16 v0, v58, v62, v0
	v_pk_fma_f16 v1, v59, v62, v1
	ds_read2st64_b64 v[62:65], v56 offset0:4 offset1:6
	s_waitcnt lgkmcnt(7)
	v_mul_u32_u24_e32 v58, 0x10001, v66
	v_pk_fma_f16 v0, v60, v58, v0
	v_pk_fma_f16 v1, v61, v58, v1
	s_waitcnt lgkmcnt(6)
	v_mul_u32_u24_e32 v58, 0x10001, v67
	s_waitcnt lgkmcnt(0)
	v_pk_fma_f16 v0, v62, v58, v0
	v_pk_fma_f16 v1, v63, v58, v1
	ds_read2st64_b64 v[58:61], v56 offset0:8 offset1:10
	v_mul_u32_u24_e32 v62, 0x10001, v68
	v_pk_fma_f16 v0, v64, v62, v0
	v_pk_fma_f16 v1, v65, v62, v1
	v_mul_u32_u24_e32 v62, 0x10001, v69
	s_waitcnt lgkmcnt(0)
	v_pk_fma_f16 v0, v58, v62, v0
	v_pk_fma_f16 v1, v59, v62, v1
	ds_read2st64_b64 v[62:65], v56 offset0:12 offset1:14
	v_mul_u32_u24_e32 v58, 0x10001, v70
	v_pk_fma_f16 v0, v60, v58, v0
	v_pk_fma_f16 v1, v61, v58, v1
	v_mul_u32_u24_e32 v58, 0x10001, v71
	s_waitcnt lgkmcnt(0)
	v_pk_fma_f16 v0, v62, v58, v0
	v_pk_fma_f16 v1, v63, v58, v1
	v_mul_u32_u24_e32 v58, 0x10001, v72
	v_pk_fma_f16 v0, v64, v58, v0
	v_pk_fma_f16 v1, v65, v58, v1
	ds_read2st64_b64 v[58:61], v56 offset0:16 offset1:18
	ds_read_u16 v62, v54 offset:192
	ds_read_u16 v66, v54 offset:200
	;; [unrolled: 1-line block ×8, first 2 shown]
	s_waitcnt lgkmcnt(7)
	v_mul_u32_u24_e32 v62, 0x10001, v62
	v_pk_fma_f16 v0, v58, v62, v0
	v_pk_fma_f16 v1, v59, v62, v1
	ds_read2st64_b64 v[62:65], v56 offset0:20 offset1:22
	s_waitcnt lgkmcnt(7)
	v_mul_u32_u24_e32 v58, 0x10001, v66
	v_pk_fma_f16 v0, v60, v58, v0
	v_pk_fma_f16 v1, v61, v58, v1
	s_waitcnt lgkmcnt(6)
	v_mul_u32_u24_e32 v58, 0x10001, v67
	s_waitcnt lgkmcnt(0)
	v_pk_fma_f16 v0, v62, v58, v0
	v_pk_fma_f16 v1, v63, v58, v1
	ds_read2st64_b64 v[58:61], v56 offset0:24 offset1:26
	v_mul_u32_u24_e32 v62, 0x10001, v68
	v_pk_fma_f16 v0, v64, v62, v0
	v_pk_fma_f16 v1, v65, v62, v1
	v_mul_u32_u24_e32 v62, 0x10001, v69
	s_waitcnt lgkmcnt(0)
	v_pk_fma_f16 v0, v58, v62, v0
	v_pk_fma_f16 v1, v59, v62, v1
	v_mul_u32_u24_e32 v58, 0x10001, v70
	v_pk_fma_f16 v0, v60, v58, v0
	v_pk_fma_f16 v1, v61, v58, v1
	ds_read2st64_b64 v[58:61], v56 offset0:28 offset1:30
	s_waitcnt lgkmcnt(0)
	s_barrier
	s_load_dword s10, s[8:9], 0x4
	v_mul_u32_u24_e32 v62, 0x10001, v71
	v_pk_fma_f16 v0, v58, v62, v0
	v_pk_fma_f16 v1, v59, v62, v1
	v_mul_u32_u24_e32 v58, 0x10001, v72
	s_waitcnt lgkmcnt(0)
	s_lshl_b32 s10, s10, 7
	s_add_i32 s14, s10, s14
	v_pk_fma_f16 v0, v60, v58, v0
	s_cmp_lt_i32 s14, s29
	v_pk_fma_f16 v1, v61, v58, v1
	s_cbranch_scc0 .LBB68_17
; %bb.15:                               ;   in Loop: Header=BB68_10 Depth=1
	v_mov_b32_e32 v58, v2
	s_branch .LBB68_10
.LBB68_16:
	v_mov_b32_e32 v1, 0
	v_mov_b32_e32 v19, 0
	;; [unrolled: 1-line block ×4, first 2 shown]
.LBB68_17:
	s_cmp_gt_i32 s38, s14
	s_cbranch_scc1 .LBB68_19
; %bb.18:
	v_mbcnt_hi_u32_b32 v8, -1, v39
	v_and_b32_e32 v9, 0x60, v8
	v_add_u32_e32 v9, 32, v9
	v_xor_b32_e32 v10, 16, v8
	v_xor_b32_e32 v11, 8, v8
	;; [unrolled: 1-line block ×5, first 2 shown]
	s_cbranch_execz .LBB68_20
	s_branch .LBB68_27
.LBB68_19:
                                        ; implicit-def: $vgpr8
                                        ; implicit-def: $vgpr9
                                        ; implicit-def: $vgpr10
                                        ; implicit-def: $vgpr11
                                        ; implicit-def: $vgpr12
                                        ; implicit-def: $vgpr13
                                        ; implicit-def: $vgpr14
.LBB68_20:
	s_mul_hi_i32 s5, s14, s18
	s_mul_i32 s4, s14, s18
	s_sub_i32 s10, s38, s14
	s_lshl_b64 s[4:5], s[4:5], 2
	v_lshl_add_u32 v11, v33, 2, v7
	s_mov_b64 s[6:7], src_private_base
	s_add_u32 s30, s19, s4
	v_mul_lo_u32 v16, s18, v11
	s_mov_b32 s4, 0
	s_addc_u32 s31, s28, s5
	v_ashrrev_i32_e32 v17, 31, v16
	s_mov_b32 s6, s4
	v_lshlrev_b32_e32 v6, 2, v6
	v_mov_b32_e32 v7, 0
	s_mov_b32 s5, s4
	v_mov_b32_e32 v10, s6
	v_lshl_add_u64 v[12:13], v[16:17], 2, s[30:31]
	v_mov_b32_e32 v9, s5
	v_mov_b32_e32 v8, s4
	v_lshl_add_u64 v[28:29], v[12:13], 0, v[6:7]
	v_mov_b32_e32 v18, s7
	v_cmp_gt_i32_e32 vcc, s10, v11
	v_mov_b32_e32 v41, 0
	scratch_store_dword off, v7, off
	scratch_store_dwordx3 off, v[8:10], off offset:4
	v_cndmask_b32_e32 v13, v18, v29, vcc
	v_cndmask_b32_e32 v12, v41, v28, vcc
	flat_load_dwordx4 v[12:15], v[12:13]
	s_lshl_b32 s6, s18, 5
	v_add_u32_e32 v16, s6, v16
	v_ashrrev_i32_e32 v17, 31, v16
	s_movk_i32 s4, 0x90
	v_add_u32_e32 v22, 32, v11
	v_lshl_add_u64 v[20:21], v[16:17], 2, s[30:31]
	v_mad_u32_u24 v48, v11, s4, v6
	v_lshl_add_u64 v[42:43], v[20:21], 0, v[6:7]
	v_cmp_gt_i32_e64 s[8:9], s10, v22
	scratch_store_dword off, v7, off
	scratch_store_dwordx3 off, v[8:10], off offset:4
	v_cndmask_b32_e64 v21, v18, v43, s[8:9]
	v_cndmask_b32_e64 v20, v41, v42, s[8:9]
	v_add_u32_e32 v16, s6, v16
	v_ashrrev_i32_e32 v17, 31, v16
	v_add_u32_e32 v22, 64, v11
	v_cmp_gt_i32_e64 s[4:5], s10, v22
	v_add_u32_e32 v11, 0x60, v11
	s_mov_b64 s[18:19], 0x80
	s_waitcnt vmcnt(0) lgkmcnt(0)
	ds_write_b128 v48, v[12:15]
	flat_load_dwordx4 v[12:15], v[20:21]
	v_lshl_add_u64 v[20:21], v[16:17], 2, s[30:31]
	v_lshl_add_u64 v[44:45], v[20:21], 0, v[6:7]
	v_cndmask_b32_e64 v21, v18, v45, s[4:5]
	v_cndmask_b32_e64 v20, v41, v44, s[4:5]
	scratch_store_dword off, v7, off
	scratch_store_dwordx3 off, v[8:10], off offset:4
	v_add_u32_e32 v16, s6, v16
	v_ashrrev_i32_e32 v17, 31, v16
	v_lshl_add_u64 v[16:17], v[16:17], 2, s[30:31]
	v_lshl_add_u64 v[46:47], v[16:17], 0, v[6:7]
	v_cmp_gt_i32_e64 s[6:7], s10, v11
	v_and_b32_e32 v6, 0xff00, v40
	s_waitcnt vmcnt(0) lgkmcnt(0)
	ds_write_b128 v48, v[12:15] offset:4608
	flat_load_dwordx4 v[12:15], v[20:21]
	v_cndmask_b32_e64 v17, v18, v47, s[6:7]
	v_cndmask_b32_e64 v16, v41, v46, s[6:7]
	scratch_store_dword off, v7, off
	scratch_store_dwordx3 off, v[8:10], off offset:4
	s_waitcnt vmcnt(0) lgkmcnt(0)
	ds_write_b128 v48, v[12:15] offset:9216
	flat_load_dwordx4 v[20:23], v[16:17]
	v_and_b32_e32 v15, 0x60, v37
	v_add_u32_e32 v16, v15, v30
	v_mul_u32_u24_e32 v14, 0x90, v16
	v_mov_b32_e32 v17, v7
	v_lshl_add_u64 v[12:13], v[28:29], 0, s[18:19]
	v_cndmask_b32_e32 v13, v18, v13, vcc
	v_cndmask_b32_e32 v12, v41, v12, vcc
	v_cmp_gt_i32_e32 vcc, s10, v16
	s_waitcnt vmcnt(0) lgkmcnt(0)
	ds_write_b128 v48, v[20:23] offset:13824
	s_waitcnt lgkmcnt(0)
	s_barrier
	ds_read_b128 v[20:23], v14
	ds_read_b128 v[24:27], v6 offset:18944
	s_waitcnt lgkmcnt(0)
	;;#ASMSTART
	v_dot2_f32_f16 v17, v20, v24, v17
	;;#ASMEND
	s_nop 0
	;;#ASMSTART
	v_dot2_f32_f16 v17, v21, v25, v17
	;;#ASMEND
	s_nop 0
	;;#ASMSTART
	v_dot2_f32_f16 v17, v22, v26, v17
	;;#ASMEND
	s_nop 0
	;;#ASMSTART
	v_dot2_f32_f16 v17, v23, v27, v17
	;;#ASMEND
	ds_read_b128 v[20:23], v14 offset:16
	ds_read_b128 v[24:27], v6 offset:18960
	s_waitcnt lgkmcnt(0)
	;;#ASMSTART
	v_dot2_f32_f16 v17, v20, v24, v17
	;;#ASMEND
	s_nop 0
	;;#ASMSTART
	v_dot2_f32_f16 v17, v21, v25, v17
	;;#ASMEND
	s_nop 0
	;;#ASMSTART
	v_dot2_f32_f16 v17, v22, v26, v17
	;;#ASMEND
	s_nop 0
	;;#ASMSTART
	v_dot2_f32_f16 v17, v23, v27, v17
	;;#ASMEND
	ds_read_b128 v[20:23], v14 offset:32
	;; [unrolled: 18-line block ×7, first 2 shown]
	ds_read_b128 v[24:27], v6 offset:19056
	s_waitcnt lgkmcnt(0)
	;;#ASMSTART
	v_dot2_f32_f16 v17, v20, v24, v17
	;;#ASMEND
	s_nop 0
	;;#ASMSTART
	v_dot2_f32_f16 v17, v21, v25, v17
	;;#ASMEND
	s_nop 0
	;; [unrolled: 4-line block ×3, first 2 shown]
	;;#ASMSTART
	v_dot2_f32_f16 v17, v23, v27, v17
	;;#ASMEND
	s_barrier
	scratch_store_dword off, v7, off
	scratch_store_dwordx3 off, v[8:10], off offset:4
	flat_load_dwordx4 v[20:23], v[12:13]
	v_lshl_add_u64 v[12:13], v[42:43], 0, s[18:19]
	v_cndmask_b32_e64 v13, v18, v13, s[8:9]
	v_cndmask_b32_e64 v12, v41, v12, s[8:9]
	scratch_store_dword off, v7, off
	scratch_store_dwordx3 off, v[8:10], off offset:4
	s_waitcnt vmcnt(0) lgkmcnt(0)
	ds_write_b128 v48, v[20:23]
	flat_load_dwordx4 v[20:23], v[12:13]
	v_lshl_add_u64 v[12:13], v[44:45], 0, s[18:19]
	v_cndmask_b32_e64 v13, v18, v13, s[4:5]
	v_cndmask_b32_e64 v12, v41, v12, s[4:5]
	scratch_store_dword off, v7, off
	scratch_store_dwordx3 off, v[8:10], off offset:4
	s_waitcnt vmcnt(0) lgkmcnt(0)
	ds_write_b128 v48, v[20:23] offset:4608
	flat_load_dwordx4 v[20:23], v[12:13]
	v_lshl_add_u64 v[12:13], v[46:47], 0, s[18:19]
	v_cndmask_b32_e64 v13, v18, v13, s[6:7]
	v_cndmask_b32_e64 v12, v41, v12, s[6:7]
	scratch_store_dword off, v7, off
	scratch_store_dwordx3 off, v[8:10], off offset:4
	s_waitcnt vmcnt(0) lgkmcnt(0)
	ds_write_b128 v48, v[20:23] offset:9216
	flat_load_dwordx4 v[8:11], v[12:13]
	s_waitcnt vmcnt(0) lgkmcnt(0)
	ds_write_b128 v48, v[8:11] offset:13824
	s_waitcnt lgkmcnt(0)
	s_barrier
	ds_read_b128 v[8:11], v14
	ds_read_b128 v[20:23], v6 offset:19072
	s_waitcnt lgkmcnt(0)
	;;#ASMSTART
	v_dot2_f32_f16 v17, v8, v20, v17
	;;#ASMEND
	s_nop 0
	;;#ASMSTART
	v_dot2_f32_f16 v17, v9, v21, v17
	;;#ASMEND
	s_nop 0
	;;#ASMSTART
	v_dot2_f32_f16 v17, v10, v22, v17
	;;#ASMEND
	s_nop 0
	;;#ASMSTART
	v_dot2_f32_f16 v17, v11, v23, v17
	;;#ASMEND
	ds_read_b128 v[8:11], v14 offset:16
	ds_read_b128 v[20:23], v6 offset:19088
	s_waitcnt lgkmcnt(0)
	;;#ASMSTART
	v_dot2_f32_f16 v17, v8, v20, v17
	;;#ASMEND
	s_nop 0
	;;#ASMSTART
	v_dot2_f32_f16 v17, v9, v21, v17
	;;#ASMEND
	s_nop 0
	;;#ASMSTART
	v_dot2_f32_f16 v17, v10, v22, v17
	;;#ASMEND
	s_nop 0
	;;#ASMSTART
	v_dot2_f32_f16 v17, v11, v23, v17
	;;#ASMEND
	ds_read_b128 v[8:11], v14 offset:32
	;; [unrolled: 18-line block ×7, first 2 shown]
	ds_read_b128 v[20:23], v6 offset:19184
	s_waitcnt lgkmcnt(0)
	;;#ASMSTART
	v_dot2_f32_f16 v17, v8, v20, v17
	;;#ASMEND
	s_nop 0
	;;#ASMSTART
	v_dot2_f32_f16 v17, v9, v21, v17
	;;#ASMEND
	v_mov_b32_e32 v6, v2
	;;#ASMSTART
	v_dot2_f32_f16 v17, v10, v22, v17
	;;#ASMEND
	s_nop 0
	;;#ASMSTART
	v_dot2_f32_f16 v17, v11, v23, v17
	;;#ASMEND
	s_and_saveexec_b64 s[4:5], vcc
	s_cbranch_execz .LBB68_24
; %bb.21:
	s_cmp_eq_u64 s[36:37], 0
	s_cbranch_scc1 .LBB68_23
; %bb.22:
	v_mul_hi_u32 v6, s24, v32
	v_add_u32_e32 v6, v32, v6
	v_lshrrev_b32_e32 v6, s25, v6
	v_mul_lo_u32 v6, v6, s26
	v_sub_u32_e32 v6, v32, v6
	v_mul_lo_u32 v6, v6, s15
	v_add3_u32 v6, v6, v16, s14
	v_ashrrev_i32_e32 v7, 31, v6
	v_lshl_add_u64 v[6:7], v[6:7], 1, s[36:37]
	global_load_ushort v6, v[6:7], off
	s_waitcnt vmcnt(0)
	v_cvt_f32_f16_e32 v6, v6
	v_mul_f32_e32 v7, v5, v6
.LBB68_23:
	v_add_f32_e32 v17, v17, v7
	v_add_f32_e32 v5, 0x40051340, v17
	v_max_f32_e32 v6, v2, v2
	v_max_f32_e32 v6, v6, v5
.LBB68_24:
	s_or_b64 exec, exec, s[4:5]
	v_mbcnt_hi_u32_b32 v8, -1, v39
	v_and_b32_e32 v5, 0x60, v8
	v_add_u32_e32 v9, 32, v5
	v_xor_b32_e32 v10, 16, v8
	v_cmp_lt_i32_e32 vcc, v10, v9
	v_xor_b32_e32 v11, 8, v8
	v_xor_b32_e32 v12, 4, v8
	v_cndmask_b32_e32 v5, v8, v10, vcc
	v_lshlrev_b32_e32 v5, 2, v5
	ds_bpermute_b32 v5, v5, v6
	v_cmp_lt_i32_e32 vcc, v11, v9
	v_max_f32_e32 v6, v6, v6
	v_xor_b32_e32 v13, 2, v8
	v_cndmask_b32_e32 v7, v8, v11, vcc
	s_waitcnt lgkmcnt(0)
	v_max_f32_e32 v5, v5, v5
	v_lshlrev_b32_e32 v7, 2, v7
	v_max_f32_e32 v5, v6, v5
	ds_bpermute_b32 v6, v7, v5
	v_cmp_lt_i32_e32 vcc, v12, v9
	v_xor_b32_e32 v14, 1, v8
	s_waitcnt lgkmcnt(0)
	v_max_f32_e32 v6, v6, v6
	v_cndmask_b32_e32 v7, v8, v12, vcc
	v_lshlrev_b32_e32 v7, 2, v7
	v_max_f32_e32 v5, v5, v6
	ds_bpermute_b32 v6, v7, v5
	v_cmp_lt_i32_e32 vcc, v13, v9
	s_waitcnt lgkmcnt(0)
	v_max_f32_e32 v6, v6, v6
	v_cndmask_b32_e32 v7, v8, v13, vcc
	v_lshlrev_b32_e32 v7, 2, v7
	v_max_f32_e32 v5, v5, v6
	ds_bpermute_b32 v6, v7, v5
	v_cmp_lt_i32_e32 vcc, v14, v9
	s_waitcnt lgkmcnt(0)
	v_max_f32_e32 v6, v6, v6
	v_cndmask_b32_e32 v7, v8, v14, vcc
	v_lshlrev_b32_e32 v7, 2, v7
	v_max_f32_e32 v5, v5, v6
	ds_bpermute_b32 v6, v7, v5
	v_cmp_eq_u32_e32 vcc, 0, v30
	s_and_saveexec_b64 s[4:5], vcc
	s_cbranch_execz .LBB68_26
; %bb.25:
	s_waitcnt lgkmcnt(0)
	v_max_f32_e32 v6, v6, v6
	v_max_f32_e32 v5, v5, v5
	;; [unrolled: 1-line block ×3, first 2 shown]
	ds_write_b32 v35, v5 offset:19488
.LBB68_26:
	s_or_b64 exec, exec, s[4:5]
	s_mov_b64 s[4:5], src_private_base
	s_movk_i32 s4, 0x3fc
	v_and_or_b32 v5, v33, s4, v38
	v_lshlrev_b32_e32 v5, 2, v5
	s_waitcnt lgkmcnt(0)
	s_barrier
	ds_read_b32 v5, v5 offset:19488
	v_and_b32_e32 v6, 0x7c, v8
	v_add_u32_e32 v6, 4, v6
	v_cmp_lt_i32_e32 vcc, v13, v6
	s_mov_b32 s4, 0x3fb8aa3b
	s_mov_b32 s6, 0xc2ce8ed0
	v_cndmask_b32_e32 v7, v8, v13, vcc
	v_lshlrev_b32_e32 v7, 2, v7
	s_waitcnt lgkmcnt(0)
	ds_bpermute_b32 v7, v7, v5
	v_cmp_lt_i32_e32 vcc, v14, v6
	v_max_f32_e32 v5, v5, v5
	s_mov_b32 s7, 0x42b17218
	v_cndmask_b32_e32 v6, v8, v14, vcc
	s_waitcnt lgkmcnt(0)
	v_max_f32_e32 v7, v7, v7
	v_max_f32_e32 v5, v5, v7
	v_lshlrev_b32_e32 v6, 2, v6
	ds_bpermute_b32 v6, v6, v5
	v_mov_b32_e32 v68, 0x7f800000
	s_mul_hi_i32 s9, s14, s2
	s_mul_i32 s8, s14, s2
	s_lshl_b32 s11, s2, 4
	s_waitcnt lgkmcnt(0)
	v_max_f32_e32 v6, v6, v6
	v_max_f32_e32 v6, v5, v6
	v_sub_f32_e32 v5, v17, v6
	v_mul_f32_e32 v7, 0x3fb8aa3b, v5
	v_fma_f32 v17, v5, s4, -v7
	v_rndne_f32_e32 v18, v7
	v_fmac_f32_e32 v17, 0x32a5705f, v5
	v_sub_f32_e32 v7, v7, v18
	v_add_f32_e32 v7, v7, v17
	v_exp_f32_e32 v7, v7
	v_cvt_i32_f32_e32 v17, v18
	v_cmp_ngt_f32_e32 vcc, s6, v5
	s_lshl_b64 s[8:9], s[8:9], 2
	s_add_u32 s8, s12, s8
	v_ldexp_f32 v7, v7, v17
	v_cndmask_b32_e32 v7, 0, v7, vcc
	v_cmp_nlt_f32_e32 vcc, s7, v5
	s_addc_u32 s9, s13, s9
	s_mov_b32 s28, 0
	v_cndmask_b32_e32 v5, v68, v7, vcc
	v_cmp_gt_u32_e32 vcc, s10, v16
	v_mov_b32_e32 v16, 0x4800
	v_lshlrev_b32_e32 v4, 2, v4
	v_cndmask_b32_e32 v7, 0, v5, vcc
	v_and_b32_e32 v5, 0x7f80, v37
	v_lshl_add_u32 v38, v5, 1, v16
	v_cvt_f16_f32_e32 v17, v7
	v_lshl_or_b32 v5, v15, 1, v38
	v_lshl_add_u32 v15, v33, 1, v36
	v_mul_lo_u32 v24, s2, v15
	v_ashrrev_i32_e32 v25, 31, v24
	v_lshl_add_u32 v5, v30, 1, v5
	v_lshlrev_b64 v[26:27], 2, v[24:25]
	ds_write_b16 v5, v17
	v_mov_b32_e32 v5, 0
	s_mov_b32 s29, s28
	s_mov_b32 s30, s28
	v_mov_b32_e32 v16, s28
	v_lshl_add_u64 v[20:21], s[8:9], 0, v[26:27]
	v_mov_b32_e32 v17, s29
	v_mov_b32_e32 v18, s30
	v_lshl_add_u64 v[20:21], v[20:21], 0, v[4:5]
	v_mov_b32_e32 v69, s5
	v_cmp_gt_i32_e32 vcc, s10, v15
	v_mov_b32_e32 v70, 0
	scratch_store_dword off, v5, off
	scratch_store_dwordx3 off, v[16:18], off offset:4
	v_cndmask_b32_e32 v21, v69, v21, vcc
	v_cndmask_b32_e32 v20, v70, v20, vcc
	flat_load_dwordx4 v[20:23], v[20:21]
	v_add_u32_e32 v24, s11, v24
	v_ashrrev_i32_e32 v25, 31, v24
	v_lshlrev_b64 v[28:29], 2, v[24:25]
	v_add_u32_e32 v72, 16, v15
	v_lshl_add_u64 v[36:37], s[8:9], 0, v[28:29]
	v_lshl_or_b32 v71, v15, 8, v4
	v_lshl_add_u64 v[36:37], v[36:37], 0, v[4:5]
	v_cmp_gt_i32_e32 vcc, s10, v72
	scratch_store_dword off, v5, off
	scratch_store_dwordx3 off, v[16:18], off offset:4
	v_cndmask_b32_e32 v37, v69, v37, vcc
	v_cndmask_b32_e32 v36, v70, v36, vcc
	v_add_u32_e32 v24, s11, v24
	v_ashrrev_i32_e32 v25, 31, v24
	v_lshlrev_b64 v[64:65], 2, v[24:25]
	v_add_u32_e32 v73, 32, v15
	v_lshl_or_b32 v74, v72, 8, v4
	v_cmp_gt_i32_e32 vcc, s10, v73
	v_add_u32_e32 v24, s11, v24
	v_ashrrev_i32_e32 v25, 31, v24
	v_lshlrev_b64 v[66:67], 2, v[24:25]
	v_add_u32_e32 v75, 48, v15
	v_lshl_add_u64 v[24:25], s[8:9], 0, v[66:67]
	v_lshl_or_b32 v76, v73, 8, v4
	v_lshl_add_u64 v[24:25], v[24:25], 0, v[4:5]
	s_or_b32 s5, s14, 64
	v_lshl_add_u32 v77, v3, 8, v34
	v_lshl_or_b32 v78, v75, 8, v4
	v_lshl_or_b32 v79, v3, 1, v38
	v_sub_f32_e32 v2, v2, v6
	s_waitcnt vmcnt(0) lgkmcnt(0)
	ds_write_b128 v71, v[20:23]
	flat_load_dwordx4 v[20:23], v[36:37]
	v_lshl_add_u64 v[36:37], s[8:9], 0, v[64:65]
	v_lshl_add_u64 v[36:37], v[36:37], 0, v[4:5]
	v_cndmask_b32_e32 v37, v69, v37, vcc
	v_cndmask_b32_e32 v36, v70, v36, vcc
	scratch_store_dword off, v5, off
	scratch_store_dwordx3 off, v[16:18], off offset:4
	v_cmp_gt_i32_e32 vcc, s10, v75
	s_mul_hi_i32 s9, s5, s2
	s_mul_i32 s8, s5, s2
	v_cndmask_b32_e32 v25, v69, v25, vcc
	v_cndmask_b32_e32 v24, v70, v24, vcc
	s_lshl_b64 s[8:9], s[8:9], 2
	s_add_u32 s8, s12, s8
	s_addc_u32 s9, s13, s9
	s_sub_i32 s2, s10, 64
	v_cmp_gt_i32_e32 vcc, s2, v15
	v_lshl_add_u64 v[28:29], s[8:9], 0, v[28:29]
	v_lshl_add_u64 v[28:29], v[28:29], 0, v[4:5]
	s_waitcnt vmcnt(0) lgkmcnt(0)
	ds_write_b128 v74, v[20:23]
	flat_load_dwordx4 v[20:23], v[36:37]
	s_nop 0
	scratch_store_dword off, v5, off
	scratch_store_dwordx3 off, v[16:18], off offset:4
	s_waitcnt vmcnt(0) lgkmcnt(0)
	ds_write_b128 v76, v[20:23]
	flat_load_dwordx4 v[20:23], v[24:25]
	v_lshl_add_u64 v[24:25], s[8:9], 0, v[26:27]
	v_lshl_add_u64 v[24:25], v[24:25], 0, v[4:5]
	v_cndmask_b32_e32 v61, v69, v25, vcc
	v_cndmask_b32_e32 v60, v70, v24, vcc
	v_cmp_gt_i32_e32 vcc, s2, v72
	s_waitcnt vmcnt(0) lgkmcnt(0)
	ds_write_b128 v78, v[20:23]
	s_waitcnt lgkmcnt(0)
	s_barrier
	ds_read2st64_b64 v[20:23], v77 offset1:2
	ds_read_u16 v15, v79
	ds_read_u16 v80, v79 offset:8
	ds_read_u16 v81, v79 offset:16
	;; [unrolled: 1-line block ×7, first 2 shown]
	ds_read2st64_b64 v[24:27], v77 offset0:4 offset1:6
	ds_read2st64_b64 v[36:39], v77 offset0:8 offset1:10
	;; [unrolled: 1-line block ×7, first 2 shown]
	ds_read_u16 v87, v79 offset:64
	ds_read_u16 v88, v79 offset:72
	;; [unrolled: 1-line block ×8, first 2 shown]
	s_waitcnt lgkmcnt(0)
	s_barrier
	scratch_store_dword off, v5, off
	scratch_store_dwordx3 off, v[16:18], off offset:4
	flat_load_dwordx4 v[60:63], v[60:61]
	v_cndmask_b32_e32 v29, v69, v29, vcc
	v_cndmask_b32_e32 v28, v70, v28, vcc
	scratch_store_dword off, v5, off
	scratch_store_dwordx3 off, v[16:18], off offset:4
	v_cmp_gt_i32_e32 vcc, s2, v73
	s_waitcnt vmcnt(0) lgkmcnt(0)
	ds_write_b128 v71, v[60:63]
	flat_load_dwordx4 v[60:63], v[28:29]
	v_lshl_add_u64 v[28:29], s[8:9], 0, v[64:65]
	v_lshl_add_u64 v[28:29], v[28:29], 0, v[4:5]
	v_cndmask_b32_e32 v29, v69, v29, vcc
	v_cndmask_b32_e32 v28, v70, v28, vcc
	scratch_store_dword off, v5, off
	scratch_store_dwordx3 off, v[16:18], off offset:4
	v_cmp_gt_i32_e32 vcc, s2, v75
	v_mul_u32_u24_e32 v64, 0x10001, v88
	v_mul_u32_u24_e32 v65, 0x10001, v89
	s_waitcnt vmcnt(0) lgkmcnt(0)
	ds_write_b128 v74, v[60:63]
	flat_load_dwordx4 v[60:63], v[28:29]
	v_lshl_add_u64 v[28:29], s[8:9], 0, v[66:67]
	v_lshl_add_u64 v[28:29], v[28:29], 0, v[4:5]
	v_cndmask_b32_e32 v29, v69, v29, vcc
	v_cndmask_b32_e32 v28, v70, v28, vcc
	scratch_store_dword off, v5, off
	scratch_store_dwordx3 off, v[16:18], off offset:4
	v_mul_f32_e32 v4, 0x3fb8aa3b, v2
	v_fma_f32 v5, v2, s4, -v4
	v_rndne_f32_e32 v16, v4
	v_fmac_f32_e32 v5, 0x32a5705f, v2
	v_sub_f32_e32 v4, v4, v16
	v_add_f32_e32 v4, v4, v5
	v_cvt_i32_f32_e32 v16, v16
	v_exp_f32_e32 v4, v4
	v_cmp_ngt_f32_e32 vcc, s6, v2
	v_mul_u32_u24_e32 v5, 0x10001, v80
	v_mul_u32_u24_e32 v17, 0x10001, v84
	v_ldexp_f32 v4, v4, v16
	v_cndmask_b32_e32 v4, 0, v4, vcc
	v_cmp_nlt_f32_e32 vcc, s7, v2
	v_mul_u32_u24_e32 v16, 0x10001, v83
	v_mul_u32_u24_e32 v18, 0x10001, v85
	v_cndmask_b32_e32 v2, v68, v4, vcc
	v_cvt_f16_f32_e32 v4, v2
	v_fma_f32 v19, v19, v2, v7
	v_mul_u32_u24_e32 v7, 0x10001, v81
	v_mul_u32_u24_e32 v66, 0x10001, v90
	;; [unrolled: 1-line block ×4, first 2 shown]
	v_pk_mul_f16 v20, v20, v4
	v_pk_mul_f16 v4, v21, v4
	v_pk_fma_f16 v0, v0, v2, v20
	v_pk_fma_f16 v1, v1, v2, v4
	;; [unrolled: 1-line block ×4, first 2 shown]
	v_mul_u32_u24_e32 v15, 0x10001, v82
	v_pk_fma_f16 v0, v24, v7, v0
	v_pk_fma_f16 v1, v25, v7, v1
	v_pk_fma_f16 v0, v26, v15, v0
	v_pk_fma_f16 v1, v27, v15, v1
	v_pk_fma_f16 v0, v36, v16, v0
	v_pk_fma_f16 v1, v37, v16, v1
	v_pk_fma_f16 v0, v38, v17, v0
	v_pk_fma_f16 v1, v39, v17, v1
	v_pk_fma_f16 v0, v40, v18, v0
	v_pk_fma_f16 v1, v41, v18, v1
	v_mul_u32_u24_e32 v67, 0x10001, v91
	v_mul_u32_u24_e32 v68, 0x10001, v92
	;; [unrolled: 1-line block ×4, first 2 shown]
	s_waitcnt vmcnt(0) lgkmcnt(0)
	ds_write_b128 v76, v[60:63]
	flat_load_dwordx4 v[60:63], v[28:29]
	v_mul_u32_u24_e32 v28, 0x10001, v86
	v_mul_u32_u24_e32 v29, 0x10001, v87
	v_pk_fma_f16 v0, v42, v28, v0
	v_pk_fma_f16 v1, v43, v28, v1
	;; [unrolled: 1-line block ×18, first 2 shown]
	s_waitcnt vmcnt(0) lgkmcnt(0)
	ds_write_b128 v78, v[60:63]
	s_waitcnt lgkmcnt(0)
	s_barrier
	ds_read2st64_b64 v[20:23], v77 offset1:2
	ds_read_u16 v2, v79 offset:128
	ds_read_u16 v4, v79 offset:136
	;; [unrolled: 1-line block ×8, first 2 shown]
	ds_read2st64_b64 v[24:27], v77 offset0:4 offset1:6
	ds_read2st64_b64 v[36:39], v77 offset0:8 offset1:10
	;; [unrolled: 1-line block ×7, first 2 shown]
	ds_read_u16 v28, v79 offset:192
	ds_read_u16 v29, v79 offset:200
	;; [unrolled: 1-line block ×8, first 2 shown]
	s_waitcnt lgkmcnt(14)
	v_mul_u32_u24_e32 v2, 0x10001, v2
	v_mul_u32_u24_e32 v4, 0x10001, v4
	v_pk_fma_f16 v0, v20, v2, v0
	v_pk_fma_f16 v1, v21, v2, v1
	v_mul_u32_u24_e32 v5, 0x10001, v5
	v_pk_fma_f16 v0, v22, v4, v0
	v_pk_fma_f16 v1, v23, v4, v1
	;; [unrolled: 3-line block ×4, first 2 shown]
	v_mul_u32_u24_e32 v16, 0x10001, v16
	s_waitcnt lgkmcnt(13)
	v_pk_fma_f16 v0, v36, v15, v0
	v_pk_fma_f16 v1, v37, v15, v1
	v_mul_u32_u24_e32 v17, 0x10001, v17
	v_pk_fma_f16 v0, v38, v16, v0
	v_pk_fma_f16 v1, v39, v16, v1
	v_mul_u32_u24_e32 v18, 0x10001, v18
	s_waitcnt lgkmcnt(12)
	v_pk_fma_f16 v0, v40, v17, v0
	v_pk_fma_f16 v1, v41, v17, v1
	s_waitcnt lgkmcnt(7)
	v_mul_u32_u24_e32 v28, 0x10001, v28
	v_pk_fma_f16 v0, v42, v18, v0
	v_pk_fma_f16 v1, v43, v18, v1
	s_waitcnt lgkmcnt(6)
	v_mul_u32_u24_e32 v29, 0x10001, v29
	;; [unrolled: 4-line block ×8, first 2 shown]
	v_pk_fma_f16 v0, v56, v64, v0
	v_pk_fma_f16 v1, v57, v64, v1
	v_pk_fma_f16 v0, v58, v65, v0
	v_pk_fma_f16 v1, v59, v65, v1
	v_mov_b32_e32 v2, v6
	s_barrier
.LBB68_27:
	v_cmp_lt_i32_e32 vcc, v10, v9
	v_cmp_ne_u32_e64 s[4:5], 0, v3
	s_nop 0
	v_cndmask_b32_e32 v4, v8, v10, vcc
	v_lshlrev_b32_e32 v4, 2, v4
	ds_bpermute_b32 v4, v4, v19
	v_cmp_lt_i32_e32 vcc, v11, v9
	s_waitcnt lgkmcnt(0)
	v_add_f32_e32 v4, v19, v4
	v_cndmask_b32_e32 v5, v8, v11, vcc
	v_lshlrev_b32_e32 v5, 2, v5
	ds_bpermute_b32 v5, v5, v4
	v_cmp_lt_i32_e32 vcc, v12, v9
	s_waitcnt lgkmcnt(0)
	v_add_f32_e32 v4, v4, v5
	;; [unrolled: 6-line block ×4, first 2 shown]
	v_cndmask_b32_e32 v6, v8, v14, vcc
	v_lshlrev_b32_e32 v6, 2, v6
	ds_bpermute_b32 v5, v6, v4
	v_cmp_eq_u32_e32 vcc, 0, v3
	s_waitcnt lgkmcnt(0)
	v_add_f32_e32 v3, v4, v5
	v_lshl_add_u32 v4, v33, 8, v34
	s_and_saveexec_b64 s[6:7], s[4:5]
	s_xor_b64 s[6:7], exec, s[6:7]
	s_cbranch_execnz .LBB68_31
; %bb.28:
	s_andn2_saveexec_b64 s[4:5], s[6:7]
	s_cbranch_execnz .LBB68_34
.LBB68_29:
	s_or_b64 exec, exec, s[4:5]
	s_and_saveexec_b64 s[4:5], vcc
	s_cbranch_execnz .LBB68_35
.LBB68_30:
	s_endpgm
.LBB68_31:
	v_cmp_eq_u32_e64 s[4:5], 0, v30
	ds_write_b64 v4, v[0:1]
	s_and_saveexec_b64 s[8:9], s[4:5]
; %bb.32:
	ds_write_b32 v35, v3 offset:18944
; %bb.33:
	s_or_b64 exec, exec, s[8:9]
                                        ; implicit-def: $vgpr4
                                        ; implicit-def: $vgpr35
	s_andn2_saveexec_b64 s[4:5], s[6:7]
	s_cbranch_execz .LBB68_29
.LBB68_34:
	s_waitcnt lgkmcnt(0)
	s_barrier
	ds_read2_b64 v[6:9], v4 offset0:32 offset1:64
	v_add_u32_e32 v5, 0x4a04, v35
	ds_read2_b32 v[10:11], v5 offset1:1
	s_waitcnt lgkmcnt(1)
	v_pk_add_f16 v5, v6, v0
	v_pk_add_f16 v6, v7, v1
	ds_read_b64 v[0:1], v4 offset:768
	ds_read_b32 v4, v35 offset:18956
	s_waitcnt lgkmcnt(2)
	v_add_f32_e32 v3, v3, v10
	v_pk_add_f16 v5, v8, v5
	v_pk_add_f16 v6, v9, v6
	v_add_f32_e32 v3, v3, v11
	s_waitcnt lgkmcnt(1)
	v_pk_add_f16 v0, v0, v5
	v_pk_add_f16 v1, v1, v6
	s_waitcnt lgkmcnt(0)
	v_add_f32_e32 v3, v3, v4
	s_or_b64 exec, exec, s[4:5]
	s_and_saveexec_b64 s[4:5], vcc
	s_cbranch_execz .LBB68_30
.LBB68_35:
	s_cmp_eq_u64 s[16:17], 0
	s_cselect_b64 s[4:5], -1, 0
	s_cmp_lg_u32 s3, 0
	s_cselect_b64 s[6:7], -1, 0
	s_or_b64 s[4:5], s[6:7], s[4:5]
	s_and_b64 vcc, exec, s[4:5]
	s_cbranch_vccnz .LBB68_37
; %bb.36:
	s_lshl_b64 s[4:5], s[34:35], 2
	s_add_u32 s4, s16, s4
	s_addc_u32 s5, s17, s5
	v_mov_b32_e32 v4, 0
	global_load_dword v5, v4, s[4:5]
	v_max_f32_e32 v4, v2, v2
	s_mov_b32 s2, 0x3fb8aa3b
	s_mov_b32 s4, 0xc2ce8ed0
	s_waitcnt vmcnt(0)
	v_max_f32_e32 v6, v5, v5
	v_max_f32_e32 v4, v4, v6
	v_sub_f32_e32 v2, v2, v4
	v_sub_f32_e32 v5, v5, v4
	v_mul_f32_e32 v6, 0x3fb8aa3b, v2
	v_mul_f32_e32 v7, 0x3fb8aa3b, v5
	v_fma_f32 v8, v2, s2, -v6
	v_rndne_f32_e32 v9, v6
	v_fma_f32 v10, v5, s2, -v7
	v_rndne_f32_e32 v11, v7
	v_fmac_f32_e32 v8, 0x32a5705f, v2
	v_sub_f32_e32 v6, v6, v9
	v_fmac_f32_e32 v10, 0x32a5705f, v5
	v_sub_f32_e32 v7, v7, v11
	v_add_f32_e32 v6, v6, v8
	v_cvt_i32_f32_e32 v9, v9
	v_add_f32_e32 v7, v7, v10
	v_exp_f32_e32 v6, v6
	v_cvt_i32_f32_e32 v11, v11
	v_exp_f32_e32 v7, v7
	v_cmp_ngt_f32_e32 vcc, s4, v2
	v_ldexp_f32 v6, v6, v9
	s_mov_b32 s2, 0x42b17218
	v_ldexp_f32 v7, v7, v11
	v_cndmask_b32_e32 v6, 0, v6, vcc
	v_cmp_ngt_f32_e32 vcc, s4, v5
	v_mov_b32_e32 v8, 0x7f800000
	s_nop 0
	v_cndmask_b32_e32 v7, 0, v7, vcc
	v_cmp_nlt_f32_e32 vcc, s2, v2
	s_nop 1
	v_cndmask_b32_e32 v2, v8, v6, vcc
	v_cvt_f16_f32_e32 v6, v2
	v_cmp_nlt_f32_e32 vcc, s2, v5
	s_nop 1
	v_cndmask_b32_e32 v5, v8, v7, vcc
	v_fmac_f32_e32 v5, v3, v2
	v_mul_u32_u24_e32 v2, 0x10001, v6
	v_pk_mul_f16 v0, v0, v2
	v_pk_mul_f16 v1, v1, v2
	v_mov_b64_e32 v[2:3], v[4:5]
	v_cmp_gt_i32_e32 vcc, s26, v32
	s_and_b64 exec, exec, vcc
	s_cbranch_execz .LBB68_30
	s_branch .LBB68_38
.LBB68_37:
	v_mov_b32_e32 v5, v3
	v_cmp_gt_i32_e32 vcc, s26, v32
	s_and_b64 exec, exec, vcc
	s_cbranch_execz .LBB68_30
.LBB68_38:
	s_load_dword s2, s[0:1], 0xd4
	v_div_scale_f32 v4, s[0:1], v5, v5, 1.0
	v_rcp_f32_e32 v8, v4
	s_mul_i32 s33, s33, s26
	s_waitcnt lgkmcnt(0)
	s_cmp_lg_u32 s2, 1
	s_cselect_b64 s[0:1], -1, 0
	v_fma_f32 v9, -v4, v8, 1.0
	v_fmac_f32_e32 v8, v9, v8
	v_div_scale_f32 v9, vcc, 1.0, v5, 1.0
	v_mul_f32_e32 v10, v9, v8
	v_fma_f32 v11, -v4, v10, v9
	v_fmac_f32_e32 v10, v11, v8
	v_fma_f32 v4, -v4, v10, v9
	v_div_fmas_f32 v4, v4, v8, v10
	v_div_fixup_f32 v4, v4, v5, 1.0
	v_cndmask_b32_e64 v8, v4, 1.0, s[0:1]
	v_add_u32_e32 v4, s33, v32
	v_mul_lo_u32 v4, v4, s27
	v_add_u32_e32 v4, s34, v4
	v_mul_lo_u32 v4, s2, v4
	v_add_u32_e32 v4, s3, v4
	v_mov_b32_e32 v6, s20
	v_mov_b32_e32 v7, s21
	v_lshl_add_u32 v10, v4, 7, v31
	v_mov_b32_e32 v11, 0
	v_lshl_add_u64 v[10:11], v[10:11], 2, v[6:7]
	v_cvt_f32_f16_sdwa v7, v0 dst_sel:DWORD dst_unused:UNUSED_PAD src0_sel:WORD_1
	v_cvt_f32_f16_e32 v6, v0
	v_cvt_f32_f16_sdwa v13, v1 dst_sel:DWORD dst_unused:UNUSED_PAD src0_sel:WORD_1
	v_cvt_f32_f16_e32 v12, v1
	v_cmp_eq_u32_e32 vcc, 0, v30
	s_and_b64 s[0:1], vcc, s[0:1]
	v_pk_mul_f32 v[6:7], v[8:9], v[6:7] op_sel_hi:[0,1]
	v_pk_mul_f32 v[8:9], v[8:9], v[12:13] op_sel_hi:[0,1]
	global_store_dwordx4 v[10:11], v[6:9], off
	s_and_b64 exec, exec, s[0:1]
	s_cbranch_execz .LBB68_30
; %bb.39:
	v_mov_b32_e32 v0, s22
	v_mov_b32_e32 v1, s23
	v_ashrrev_i32_e32 v5, 31, v4
	v_lshl_add_u64 v[0:1], v[4:5], 3, v[0:1]
	global_store_dwordx2 v[0:1], v[2:3], off
	s_endpgm
	.section	.rodata,"a",@progbits
	.p2align	6, 0x0
	.amdhsa_kernel _ZL15flash_attn_tileILi128ELi128ELi2ELi1ELb0EEvPKcS1_S1_S1_S1_PKiPfP15HIP_vector_typeIfLj2EEffffjfiS5_IjLj3EEiiiiiiiiiiiliiliiiiil
		.amdhsa_group_segment_fixed_size 19520
		.amdhsa_private_segment_fixed_size 32
		.amdhsa_kernarg_size 464
		.amdhsa_user_sgpr_count 2
		.amdhsa_user_sgpr_dispatch_ptr 0
		.amdhsa_user_sgpr_queue_ptr 0
		.amdhsa_user_sgpr_kernarg_segment_ptr 1
		.amdhsa_user_sgpr_dispatch_id 0
		.amdhsa_user_sgpr_kernarg_preload_length 0
		.amdhsa_user_sgpr_kernarg_preload_offset 0
		.amdhsa_user_sgpr_private_segment_size 0
		.amdhsa_uses_dynamic_stack 0
		.amdhsa_enable_private_segment 1
		.amdhsa_system_sgpr_workgroup_id_x 1
		.amdhsa_system_sgpr_workgroup_id_y 1
		.amdhsa_system_sgpr_workgroup_id_z 1
		.amdhsa_system_sgpr_workgroup_info 0
		.amdhsa_system_vgpr_workitem_id 1
		.amdhsa_next_free_vgpr 128
		.amdhsa_next_free_sgpr 48
		.amdhsa_accum_offset 128
		.amdhsa_reserve_vcc 1
		.amdhsa_float_round_mode_32 0
		.amdhsa_float_round_mode_16_64 0
		.amdhsa_float_denorm_mode_32 3
		.amdhsa_float_denorm_mode_16_64 3
		.amdhsa_dx10_clamp 1
		.amdhsa_ieee_mode 1
		.amdhsa_fp16_overflow 0
		.amdhsa_tg_split 0
		.amdhsa_exception_fp_ieee_invalid_op 0
		.amdhsa_exception_fp_denorm_src 0
		.amdhsa_exception_fp_ieee_div_zero 0
		.amdhsa_exception_fp_ieee_overflow 0
		.amdhsa_exception_fp_ieee_underflow 0
		.amdhsa_exception_fp_ieee_inexact 0
		.amdhsa_exception_int_div_zero 0
	.end_amdhsa_kernel
	.section	.text._ZL15flash_attn_tileILi128ELi128ELi2ELi1ELb0EEvPKcS1_S1_S1_S1_PKiPfP15HIP_vector_typeIfLj2EEffffjfiS5_IjLj3EEiiiiiiiiiiiliiliiiiil,"axG",@progbits,_ZL15flash_attn_tileILi128ELi128ELi2ELi1ELb0EEvPKcS1_S1_S1_S1_PKiPfP15HIP_vector_typeIfLj2EEffffjfiS5_IjLj3EEiiiiiiiiiiiliiliiiiil,comdat
.Lfunc_end68:
	.size	_ZL15flash_attn_tileILi128ELi128ELi2ELi1ELb0EEvPKcS1_S1_S1_S1_PKiPfP15HIP_vector_typeIfLj2EEffffjfiS5_IjLj3EEiiiiiiiiiiiliiliiiiil, .Lfunc_end68-_ZL15flash_attn_tileILi128ELi128ELi2ELi1ELb0EEvPKcS1_S1_S1_S1_PKiPfP15HIP_vector_typeIfLj2EEffffjfiS5_IjLj3EEiiiiiiiiiiiliiliiiiil
                                        ; -- End function
	.set _ZL15flash_attn_tileILi128ELi128ELi2ELi1ELb0EEvPKcS1_S1_S1_S1_PKiPfP15HIP_vector_typeIfLj2EEffffjfiS5_IjLj3EEiiiiiiiiiiiliiliiiiil.num_vgpr, 128
	.set _ZL15flash_attn_tileILi128ELi128ELi2ELi1ELb0EEvPKcS1_S1_S1_S1_PKiPfP15HIP_vector_typeIfLj2EEffffjfiS5_IjLj3EEiiiiiiiiiiiliiliiiiil.num_agpr, 0
	.set _ZL15flash_attn_tileILi128ELi128ELi2ELi1ELb0EEvPKcS1_S1_S1_S1_PKiPfP15HIP_vector_typeIfLj2EEffffjfiS5_IjLj3EEiiiiiiiiiiiliiliiiiil.numbered_sgpr, 48
	.set _ZL15flash_attn_tileILi128ELi128ELi2ELi1ELb0EEvPKcS1_S1_S1_S1_PKiPfP15HIP_vector_typeIfLj2EEffffjfiS5_IjLj3EEiiiiiiiiiiiliiliiiiil.num_named_barrier, 0
	.set _ZL15flash_attn_tileILi128ELi128ELi2ELi1ELb0EEvPKcS1_S1_S1_S1_PKiPfP15HIP_vector_typeIfLj2EEffffjfiS5_IjLj3EEiiiiiiiiiiiliiliiiiil.private_seg_size, 32
	.set _ZL15flash_attn_tileILi128ELi128ELi2ELi1ELb0EEvPKcS1_S1_S1_S1_PKiPfP15HIP_vector_typeIfLj2EEffffjfiS5_IjLj3EEiiiiiiiiiiiliiliiiiil.uses_vcc, 1
	.set _ZL15flash_attn_tileILi128ELi128ELi2ELi1ELb0EEvPKcS1_S1_S1_S1_PKiPfP15HIP_vector_typeIfLj2EEffffjfiS5_IjLj3EEiiiiiiiiiiiliiliiiiil.uses_flat_scratch, 0
	.set _ZL15flash_attn_tileILi128ELi128ELi2ELi1ELb0EEvPKcS1_S1_S1_S1_PKiPfP15HIP_vector_typeIfLj2EEffffjfiS5_IjLj3EEiiiiiiiiiiiliiliiiiil.has_dyn_sized_stack, 0
	.set _ZL15flash_attn_tileILi128ELi128ELi2ELi1ELb0EEvPKcS1_S1_S1_S1_PKiPfP15HIP_vector_typeIfLj2EEffffjfiS5_IjLj3EEiiiiiiiiiiiliiliiiiil.has_recursion, 0
	.set _ZL15flash_attn_tileILi128ELi128ELi2ELi1ELb0EEvPKcS1_S1_S1_S1_PKiPfP15HIP_vector_typeIfLj2EEffffjfiS5_IjLj3EEiiiiiiiiiiiliiliiiiil.has_indirect_call, 0
	.section	.AMDGPU.csdata,"",@progbits
; Kernel info:
; codeLenInByte = 12692
; TotalNumSgprs: 54
; NumVgprs: 128
; NumAgprs: 0
; TotalNumVgprs: 128
; ScratchSize: 32
; MemoryBound: 0
; FloatMode: 240
; IeeeMode: 1
; LDSByteSize: 19520 bytes/workgroup (compile time only)
; SGPRBlocks: 6
; VGPRBlocks: 15
; NumSGPRsForWavesPerEU: 54
; NumVGPRsForWavesPerEU: 128
; AccumOffset: 128
; Occupancy: 4
; WaveLimiterHint : 1
; COMPUTE_PGM_RSRC2:SCRATCH_EN: 1
; COMPUTE_PGM_RSRC2:USER_SGPR: 2
; COMPUTE_PGM_RSRC2:TRAP_HANDLER: 0
; COMPUTE_PGM_RSRC2:TGID_X_EN: 1
; COMPUTE_PGM_RSRC2:TGID_Y_EN: 1
; COMPUTE_PGM_RSRC2:TGID_Z_EN: 1
; COMPUTE_PGM_RSRC2:TIDIG_COMP_CNT: 1
; COMPUTE_PGM_RSRC3_GFX90A:ACCUM_OFFSET: 31
; COMPUTE_PGM_RSRC3_GFX90A:TG_SPLIT: 0
	.section	.text._ZL33flash_attn_stream_k_fixup_uniformILi128ELi2ELi1EEvPfPK15HIP_vector_typeIfLj2EEiiiiiiS1_IjLj3EES5_S5_,"axG",@progbits,_ZL33flash_attn_stream_k_fixup_uniformILi128ELi2ELi1EEvPfPK15HIP_vector_typeIfLj2EEiiiiiiS1_IjLj3EES5_S5_,comdat
	.globl	_ZL33flash_attn_stream_k_fixup_uniformILi128ELi2ELi1EEvPfPK15HIP_vector_typeIfLj2EEiiiiiiS1_IjLj3EES5_S5_ ; -- Begin function _ZL33flash_attn_stream_k_fixup_uniformILi128ELi2ELi1EEvPfPK15HIP_vector_typeIfLj2EEiiiiiiS1_IjLj3EES5_S5_
	.p2align	8
	.type	_ZL33flash_attn_stream_k_fixup_uniformILi128ELi2ELi1EEvPfPK15HIP_vector_typeIfLj2EEiiiiiiS1_IjLj3EES5_S5_,@function
_ZL33flash_attn_stream_k_fixup_uniformILi128ELi2ELi1EEvPfPK15HIP_vector_typeIfLj2EEiiiiiiS1_IjLj3EES5_S5_: ; @_ZL33flash_attn_stream_k_fixup_uniformILi128ELi2ELi1EEvPfPK15HIP_vector_typeIfLj2EEiiiiiiS1_IjLj3EES5_S5_
; %bb.0:
	s_load_dwordx8 s[8:15], s[0:1], 0x1c
	s_load_dwordx2 s[6:7], s[0:1], 0x10
	s_load_dwordx4 s[20:23], s[0:1], 0x3c
	s_waitcnt lgkmcnt(0)
	s_mul_hi_u32 s5, s11, s2
	s_add_i32 s5, s2, s5
	s_lshr_b32 s5, s5, s12
	s_mul_i32 s11, s5, s13
	s_sub_i32 s11, s2, s11
	s_mul_hi_u32 s12, s11, s14
	s_add_i32 s12, s11, s12
	s_lshr_b32 s16, s12, s15
	s_mul_i32 s12, s16, s20
	s_sub_i32 s12, s11, s12
	;; [unrolled: 5-line block ×3, first 2 shown]
	s_lshl_b32 s12, s17, 1
	s_add_i32 s12, s12, s3
	s_cmp_lt_i32 s12, s6
	s_cselect_b64 s[12:13], -1, 0
	s_add_i32 s14, s11, s4
	s_cmp_lt_i32 s14, s9
	s_cselect_b64 s[14:15], -1, 0
	s_and_b64 s[12:13], s[12:13], s[14:15]
	s_andn2_b64 vcc, exec, s[12:13]
	s_cbranch_vccnz .LBB69_6
; %bb.1:
	s_load_dwordx4 s[12:15], s[0:1], 0x0
	s_mul_i32 s0, s5, s6
	s_add_i32 s0, s0, s3
	s_mul_i32 s0, s0, s7
	s_mul_i32 s16, s16, s9
	s_add_i32 s0, s0, s4
	s_add_i32 s0, s0, s16
	s_mul_i32 s1, s7, s17
	s_add_i32 s0, s0, s11
	s_lshl_b32 s1, s1, 8
	s_lshl_b32 s0, s0, 7
	s_add_i32 s1, s1, s0
	v_or_b32_e32 v4, s1, v0
	s_waitcnt lgkmcnt(0)
	v_mov_b32_e32 v2, s12
	v_mov_b32_e32 v3, s13
	v_ashrrev_i32_e32 v5, 31, v4
	v_lshl_add_u64 v[2:3], v[4:5], 2, v[2:3]
	global_load_dword v5, v[2:3], off
	s_mul_i32 s6, s10, s2
	s_add_i32 s7, s6, s10
	s_add_i32 s3, s3, s4
	s_lshl_b32 s0, s7, 1
	s_add_i32 s0, s3, s0
	s_add_i32 s0, s0, -2
	s_ashr_i32 s1, s0, 31
	s_lshl_b64 s[0:1], s[0:1], 3
	s_add_u32 s0, s14, s0
	s_addc_u32 s1, s15, s1
	s_load_dword s9, s[0:1], 0x4
	s_add_i32 s4, s7, -2
	s_cmp_lt_i32 s4, s6
	s_cbranch_scc1 .LBB69_4
; %bb.2:
	s_lshl_b32 s4, s8, 3
	s_ashr_i32 s5, s4, 31
	s_lshl_b64 s[4:5], s[4:5], 2
	s_add_u32 s4, s14, s4
	s_addc_u32 s5, s15, s5
	s_add_i32 s2, s2, 1
	s_mul_i32 s2, s10, s2
	s_load_dword s0, s[0:1], 0x0
	s_lshl_b32 s1, s3, 7
	s_lshl_b32 s10, s2, 8
	s_add_i32 s1, s1, s10
	v_or_b32_e32 v0, s1, v0
	s_lshl_b32 s1, s2, 1
	s_add_i32 s1, s3, s1
	s_lshl_b32 s2, s8, 1
	s_add_i32 s1, s1, s2
	s_add_i32 s7, s7, -1
	v_add_u32_e32 v0, 0xfffffe00, v0
	s_add_i32 s2, s1, -4
	s_waitcnt lgkmcnt(0)
	v_mov_b32_e32 v7, s0
	v_mov_b32_e32 v4, s9
	s_mov_b32 s8, 0x3fb8aa3b
	s_mov_b32 s9, 0xc2ce8ed0
	;; [unrolled: 1-line block ×3, first 2 shown]
	v_mov_b32_e32 v6, 0x7f800000
	s_mov_b32 s11, 0xc1a00000
.LBB69_3:                               ; =>This Inner Loop Header: Depth=1
	v_ashrrev_i32_e32 v1, 31, v0
	v_lshl_add_u64 v[8:9], v[0:1], 2, s[4:5]
	global_load_dword v9, v[8:9], off
	s_ashr_i32 s3, s2, 31
	s_lshl_b64 s[0:1], s[2:3], 3
	s_add_u32 s0, s14, s0
	s_addc_u32 s1, s15, s1
	s_load_dwordx2 s[0:1], s[0:1], 0x0
	v_max_f32_e32 v1, v7, v7
	s_add_i32 s7, s7, -1
	s_add_i32 s2, s2, -2
	v_add_u32_e32 v0, 0xffffff00, v0
	s_waitcnt lgkmcnt(0)
	v_max_f32_e64 v10, s0, s0
	v_max_f32_e32 v1, v1, v10
	v_sub_f32_e32 v11, s0, v1
	v_sub_f32_e32 v10, v7, v1
	v_mul_f32_e32 v12, 0x3fb8aa3b, v11
	v_mov_b32_e32 v7, v1
	v_mul_f32_e32 v1, 0x3fb8aa3b, v10
	v_fma_f32 v15, v11, s8, -v12
	v_rndne_f32_e32 v16, v12
	v_fma_f32 v13, v10, s8, -v1
	v_rndne_f32_e32 v14, v1
	v_fmac_f32_e32 v15, 0x32a5705f, v11
	v_sub_f32_e32 v12, v12, v16
	v_fmac_f32_e32 v13, 0x32a5705f, v10
	v_sub_f32_e32 v1, v1, v14
	v_add_f32_e32 v12, v12, v15
	v_cvt_i32_f32_e32 v16, v16
	v_add_f32_e32 v1, v1, v13
	v_exp_f32_e32 v12, v12
	v_cvt_i32_f32_e32 v14, v14
	v_exp_f32_e32 v1, v1
	v_cmp_ngt_f32_e32 vcc, s9, v11
	v_ldexp_f32 v12, v12, v16
	v_mov_b32_e32 v8, s1
	v_ldexp_f32 v1, v1, v14
	v_cmp_ngt_f32_e64 s[0:1], s9, v10
	v_cndmask_b32_e32 v12, 0, v12, vcc
	v_cmp_nlt_f32_e32 vcc, s10, v11
	v_cndmask_b32_e64 v1, 0, v1, s[0:1]
	v_cmp_nlt_f32_e64 s[0:1], s10, v10
	v_cndmask_b32_e32 v12, v6, v12, vcc
	v_cmp_le_f32_e32 vcc, s11, v11
	v_cndmask_b32_e64 v1, v6, v1, s[0:1]
	v_cmp_le_f32_e64 s[0:1], s11, v10
	v_cndmask_b32_e32 v12, 0, v12, vcc
	s_cmp_le_i32 s7, s6
	v_cndmask_b32_e64 v10, 0, v1, s[0:1]
	s_waitcnt vmcnt(0)
	v_pk_mul_f32 v[8:9], v[8:9], v[12:13] op_sel_hi:[1,0]
	s_nop 0
	v_pk_fma_f32 v[4:5], v[4:5], v[10:11], v[8:9] op_sel_hi:[1,0,1]
	s_cbranch_scc0 .LBB69_3
	s_branch .LBB69_5
.LBB69_4:
	s_waitcnt lgkmcnt(0)
	v_mov_b32_e32 v4, s9
.LBB69_5:
	s_waitcnt vmcnt(0)
	v_div_scale_f32 v0, s[0:1], v4, v4, v5
	v_rcp_f32_e32 v1, v0
	v_div_scale_f32 v6, vcc, v5, v4, v5
	v_fma_f32 v7, -v0, v1, 1.0
	v_fmac_f32_e32 v1, v7, v1
	v_mul_f32_e32 v7, v6, v1
	v_fma_f32 v8, -v0, v7, v6
	v_fmac_f32_e32 v7, v8, v1
	v_fma_f32 v0, -v0, v7, v6
	v_div_fmas_f32 v0, v0, v1, v7
	v_div_fixup_f32 v0, v0, v4, v5
	global_store_dword v[2:3], v0, off
.LBB69_6:
	s_endpgm
	.section	.rodata,"a",@progbits
	.p2align	6, 0x0
	.amdhsa_kernel _ZL33flash_attn_stream_k_fixup_uniformILi128ELi2ELi1EEvPfPK15HIP_vector_typeIfLj2EEiiiiiiS1_IjLj3EES5_S5_
		.amdhsa_group_segment_fixed_size 0
		.amdhsa_private_segment_fixed_size 0
		.amdhsa_kernarg_size 76
		.amdhsa_user_sgpr_count 2
		.amdhsa_user_sgpr_dispatch_ptr 0
		.amdhsa_user_sgpr_queue_ptr 0
		.amdhsa_user_sgpr_kernarg_segment_ptr 1
		.amdhsa_user_sgpr_dispatch_id 0
		.amdhsa_user_sgpr_kernarg_preload_length 0
		.amdhsa_user_sgpr_kernarg_preload_offset 0
		.amdhsa_user_sgpr_private_segment_size 0
		.amdhsa_uses_dynamic_stack 0
		.amdhsa_enable_private_segment 0
		.amdhsa_system_sgpr_workgroup_id_x 1
		.amdhsa_system_sgpr_workgroup_id_y 1
		.amdhsa_system_sgpr_workgroup_id_z 1
		.amdhsa_system_sgpr_workgroup_info 0
		.amdhsa_system_vgpr_workitem_id 0
		.amdhsa_next_free_vgpr 17
		.amdhsa_next_free_sgpr 24
		.amdhsa_accum_offset 20
		.amdhsa_reserve_vcc 1
		.amdhsa_float_round_mode_32 0
		.amdhsa_float_round_mode_16_64 0
		.amdhsa_float_denorm_mode_32 3
		.amdhsa_float_denorm_mode_16_64 3
		.amdhsa_dx10_clamp 1
		.amdhsa_ieee_mode 1
		.amdhsa_fp16_overflow 0
		.amdhsa_tg_split 0
		.amdhsa_exception_fp_ieee_invalid_op 0
		.amdhsa_exception_fp_denorm_src 0
		.amdhsa_exception_fp_ieee_div_zero 0
		.amdhsa_exception_fp_ieee_overflow 0
		.amdhsa_exception_fp_ieee_underflow 0
		.amdhsa_exception_fp_ieee_inexact 0
		.amdhsa_exception_int_div_zero 0
	.end_amdhsa_kernel
	.section	.text._ZL33flash_attn_stream_k_fixup_uniformILi128ELi2ELi1EEvPfPK15HIP_vector_typeIfLj2EEiiiiiiS1_IjLj3EES5_S5_,"axG",@progbits,_ZL33flash_attn_stream_k_fixup_uniformILi128ELi2ELi1EEvPfPK15HIP_vector_typeIfLj2EEiiiiiiS1_IjLj3EES5_S5_,comdat
.Lfunc_end69:
	.size	_ZL33flash_attn_stream_k_fixup_uniformILi128ELi2ELi1EEvPfPK15HIP_vector_typeIfLj2EEiiiiiiS1_IjLj3EES5_S5_, .Lfunc_end69-_ZL33flash_attn_stream_k_fixup_uniformILi128ELi2ELi1EEvPfPK15HIP_vector_typeIfLj2EEiiiiiiS1_IjLj3EES5_S5_
                                        ; -- End function
	.set _ZL33flash_attn_stream_k_fixup_uniformILi128ELi2ELi1EEvPfPK15HIP_vector_typeIfLj2EEiiiiiiS1_IjLj3EES5_S5_.num_vgpr, 17
	.set _ZL33flash_attn_stream_k_fixup_uniformILi128ELi2ELi1EEvPfPK15HIP_vector_typeIfLj2EEiiiiiiS1_IjLj3EES5_S5_.num_agpr, 0
	.set _ZL33flash_attn_stream_k_fixup_uniformILi128ELi2ELi1EEvPfPK15HIP_vector_typeIfLj2EEiiiiiiS1_IjLj3EES5_S5_.numbered_sgpr, 24
	.set _ZL33flash_attn_stream_k_fixup_uniformILi128ELi2ELi1EEvPfPK15HIP_vector_typeIfLj2EEiiiiiiS1_IjLj3EES5_S5_.num_named_barrier, 0
	.set _ZL33flash_attn_stream_k_fixup_uniformILi128ELi2ELi1EEvPfPK15HIP_vector_typeIfLj2EEiiiiiiS1_IjLj3EES5_S5_.private_seg_size, 0
	.set _ZL33flash_attn_stream_k_fixup_uniformILi128ELi2ELi1EEvPfPK15HIP_vector_typeIfLj2EEiiiiiiS1_IjLj3EES5_S5_.uses_vcc, 1
	.set _ZL33flash_attn_stream_k_fixup_uniformILi128ELi2ELi1EEvPfPK15HIP_vector_typeIfLj2EEiiiiiiS1_IjLj3EES5_S5_.uses_flat_scratch, 0
	.set _ZL33flash_attn_stream_k_fixup_uniformILi128ELi2ELi1EEvPfPK15HIP_vector_typeIfLj2EEiiiiiiS1_IjLj3EES5_S5_.has_dyn_sized_stack, 0
	.set _ZL33flash_attn_stream_k_fixup_uniformILi128ELi2ELi1EEvPfPK15HIP_vector_typeIfLj2EEiiiiiiS1_IjLj3EES5_S5_.has_recursion, 0
	.set _ZL33flash_attn_stream_k_fixup_uniformILi128ELi2ELi1EEvPfPK15HIP_vector_typeIfLj2EEiiiiiiS1_IjLj3EES5_S5_.has_indirect_call, 0
	.section	.AMDGPU.csdata,"",@progbits
; Kernel info:
; codeLenInByte = 816
; TotalNumSgprs: 30
; NumVgprs: 17
; NumAgprs: 0
; TotalNumVgprs: 17
; ScratchSize: 0
; MemoryBound: 0
; FloatMode: 240
; IeeeMode: 1
; LDSByteSize: 0 bytes/workgroup (compile time only)
; SGPRBlocks: 3
; VGPRBlocks: 2
; NumSGPRsForWavesPerEU: 30
; NumVGPRsForWavesPerEU: 17
; AccumOffset: 20
; Occupancy: 8
; WaveLimiterHint : 0
; COMPUTE_PGM_RSRC2:SCRATCH_EN: 0
; COMPUTE_PGM_RSRC2:USER_SGPR: 2
; COMPUTE_PGM_RSRC2:TRAP_HANDLER: 0
; COMPUTE_PGM_RSRC2:TGID_X_EN: 1
; COMPUTE_PGM_RSRC2:TGID_Y_EN: 1
; COMPUTE_PGM_RSRC2:TGID_Z_EN: 1
; COMPUTE_PGM_RSRC2:TIDIG_COMP_CNT: 0
; COMPUTE_PGM_RSRC3_GFX90A:ACCUM_OFFSET: 4
; COMPUTE_PGM_RSRC3_GFX90A:TG_SPLIT: 0
	.section	.text._ZL33flash_attn_stream_k_fixup_generalILi128ELi2ELi1EEvPfPK15HIP_vector_typeIfLj2EEiiiiS1_IjLj3EES5_S5_S5_,"axG",@progbits,_ZL33flash_attn_stream_k_fixup_generalILi128ELi2ELi1EEvPfPK15HIP_vector_typeIfLj2EEiiiiS1_IjLj3EES5_S5_S5_,comdat
	.globl	_ZL33flash_attn_stream_k_fixup_generalILi128ELi2ELi1EEvPfPK15HIP_vector_typeIfLj2EEiiiiS1_IjLj3EES5_S5_S5_ ; -- Begin function _ZL33flash_attn_stream_k_fixup_generalILi128ELi2ELi1EEvPfPK15HIP_vector_typeIfLj2EEiiiiS1_IjLj3EES5_S5_S5_
	.p2align	8
	.type	_ZL33flash_attn_stream_k_fixup_generalILi128ELi2ELi1EEvPfPK15HIP_vector_typeIfLj2EEiiiiS1_IjLj3EES5_S5_S5_,@function
_ZL33flash_attn_stream_k_fixup_generalILi128ELi2ELi1EEvPfPK15HIP_vector_typeIfLj2EEiiiiS1_IjLj3EES5_S5_S5_: ; @_ZL33flash_attn_stream_k_fixup_generalILi128ELi2ELi1EEvPfPK15HIP_vector_typeIfLj2EEiiiiS1_IjLj3EES5_S5_S5_
; %bb.0:
	s_load_dwordx4 s[8:11], s[0:1], 0x10
	s_load_dword s22, s[0:1], 0x50
	s_mov_b32 s12, 0
	s_waitcnt lgkmcnt(0)
	s_mul_hi_i32 s13, s11, s2
	s_cmp_lg_u64 s[12:13], 0
	s_mul_i32 s5, s11, s2
	s_cbranch_scc0 .LBB70_20
; %bb.1:
	s_add_u32 s6, s22, 0
	s_addc_u32 s7, 0, 0
	s_xor_b64 s[6:7], s[6:7], 0
	v_cvt_f32_u32_e32 v1, s6
	v_cvt_f32_u32_e32 v2, s7
	s_sub_u32 s12, 0, s6
	s_subb_u32 s18, 0, s7
	v_fmamk_f32 v1, v2, 0x4f800000, v1
	v_rcp_f32_e32 v1, v1
	s_nop 0
	v_mul_f32_e32 v1, 0x5f7ffffc, v1
	v_mul_f32_e32 v2, 0x2f800000, v1
	v_trunc_f32_e32 v2, v2
	v_fmamk_f32 v1, v2, 0xcf800000, v1
	v_cvt_u32_f32_e32 v2, v2
	v_cvt_u32_f32_e32 v1, v1
	v_readfirstlane_b32 s19, v2
	v_readfirstlane_b32 s14, v1
	s_mul_i32 s15, s12, s19
	s_mul_hi_u32 s21, s12, s14
	s_mul_i32 s20, s18, s14
	s_add_i32 s15, s21, s15
	s_add_i32 s15, s15, s20
	s_mul_i32 s23, s12, s14
	s_mul_i32 s21, s14, s15
	s_mul_hi_u32 s24, s14, s23
	s_mul_hi_u32 s20, s14, s15
	s_add_u32 s21, s24, s21
	s_addc_u32 s20, 0, s20
	s_mul_hi_u32 s25, s19, s23
	s_mul_i32 s23, s19, s23
	s_add_u32 s21, s21, s23
	s_mul_hi_u32 s24, s19, s15
	s_addc_u32 s20, s20, s25
	s_addc_u32 s21, s24, 0
	s_mul_i32 s15, s19, s15
	s_add_u32 s15, s20, s15
	s_addc_u32 s20, 0, s21
	s_add_u32 s21, s14, s15
	s_cselect_b64 s[14:15], -1, 0
	s_cmp_lg_u64 s[14:15], 0
	s_addc_u32 s19, s19, s20
	s_mul_i32 s14, s12, s19
	s_mul_hi_u32 s15, s12, s21
	s_add_i32 s14, s15, s14
	s_mul_i32 s18, s18, s21
	s_add_i32 s14, s14, s18
	s_mul_i32 s12, s12, s21
	s_mul_hi_u32 s18, s19, s12
	s_mul_i32 s20, s19, s12
	s_mul_i32 s24, s21, s14
	s_mul_hi_u32 s12, s21, s12
	s_mul_hi_u32 s23, s21, s14
	s_add_u32 s12, s12, s24
	s_addc_u32 s23, 0, s23
	s_add_u32 s12, s12, s20
	s_mul_hi_u32 s15, s19, s14
	s_addc_u32 s12, s23, s18
	s_addc_u32 s15, s15, 0
	s_mul_i32 s14, s19, s14
	s_add_u32 s12, s12, s14
	s_addc_u32 s18, 0, s15
	s_add_u32 s20, s21, s12
	s_cselect_b64 s[14:15], -1, 0
	s_cmp_lg_u64 s[14:15], 0
	s_addc_u32 s18, s19, s18
	s_ashr_i32 s14, s13, 31
	s_add_u32 s12, s5, s14
	s_mov_b32 s15, s14
	s_addc_u32 s13, s13, s14
	s_xor_b64 s[12:13], s[12:13], s[14:15]
	s_mul_i32 s21, s12, s18
	s_mul_hi_u32 s23, s12, s20
	s_mul_hi_u32 s19, s12, s18
	s_add_u32 s21, s23, s21
	s_addc_u32 s19, 0, s19
	s_mul_hi_u32 s24, s13, s20
	s_mul_i32 s20, s13, s20
	s_add_u32 s20, s21, s20
	s_mul_hi_u32 s23, s13, s18
	s_addc_u32 s19, s19, s24
	s_addc_u32 s20, s23, 0
	s_mul_i32 s18, s13, s18
	s_add_u32 s23, s19, s18
	s_addc_u32 s24, 0, s20
	s_mul_i32 s18, s6, s24
	s_mul_hi_u32 s19, s6, s23
	s_add_i32 s18, s19, s18
	s_mul_i32 s19, s7, s23
	s_add_i32 s25, s18, s19
	s_sub_i32 s20, s13, s25
	s_mul_i32 s18, s6, s23
	s_sub_u32 s12, s12, s18
	s_cselect_b64 s[18:19], -1, 0
	s_cmp_lg_u64 s[18:19], 0
	s_subb_u32 s26, s20, s7
	s_sub_u32 s27, s12, s6
	s_cselect_b64 s[20:21], -1, 0
	s_cmp_lg_u64 s[20:21], 0
	s_subb_u32 s20, s26, 0
	s_cmp_ge_u32 s20, s7
	s_cselect_b32 s21, -1, 0
	s_cmp_ge_u32 s27, s6
	s_cselect_b32 s26, -1, 0
	s_cmp_eq_u32 s20, s7
	s_cselect_b32 s20, s26, s21
	s_add_u32 s21, s23, 1
	s_addc_u32 s26, s24, 0
	s_add_u32 s27, s23, 2
	s_addc_u32 s28, s24, 0
	s_cmp_lg_u32 s20, 0
	s_cselect_b32 s20, s27, s21
	s_cselect_b32 s21, s28, s26
	s_cmp_lg_u64 s[18:19], 0
	s_subb_u32 s13, s13, s25
	s_cmp_ge_u32 s13, s7
	s_cselect_b32 s18, -1, 0
	s_cmp_ge_u32 s12, s6
	s_cselect_b32 s6, -1, 0
	s_cmp_eq_u32 s13, s7
	s_cselect_b32 s6, s6, s18
	s_cmp_lg_u32 s6, 0
	s_cselect_b32 s7, s21, s24
	s_cselect_b32 s6, s20, s23
	s_xor_b64 s[12:13], s[14:15], 0
	s_xor_b64 s[6:7], s[6:7], s[12:13]
	s_sub_u32 s6, s6, s12
	s_load_dwordx4 s[12:15], s[0:1], 0x44
	s_cbranch_execnz .LBB70_3
.LBB70_2:
	v_cvt_f32_u32_e32 v1, s22
	s_sub_i32 s6, 0, s22
	v_rcp_iflag_f32_e32 v1, v1
	s_nop 0
	v_mul_f32_e32 v1, 0x4f7ffffe, v1
	v_cvt_u32_f32_e32 v1, v1
	s_nop 0
	v_readfirstlane_b32 s7, v1
	s_mul_i32 s6, s6, s7
	s_mul_hi_u32 s6, s7, s6
	s_add_i32 s7, s7, s6
	s_mul_hi_u32 s6, s5, s7
	s_waitcnt lgkmcnt(0)
	s_mul_i32 s15, s6, s22
	s_sub_i32 s5, s5, s15
	s_add_i32 s7, s6, 1
	s_sub_i32 s15, s5, s22
	s_cmp_ge_u32 s5, s22
	s_cselect_b32 s6, s7, s6
	s_cselect_b32 s5, s15, s5
	s_add_i32 s7, s6, 1
	s_cmp_ge_u32 s5, s22
	s_cselect_b32 s6, s7, s6
.LBB70_3:
	s_add_i32 s5, s2, 1
	s_mul_hi_i32 s21, s11, s5
	s_mov_b32 s20, 0
	s_cmp_lg_u64 s[20:21], 0
	s_mul_i32 s5, s11, s5
	s_cbranch_scc0 .LBB70_21
; %bb.4:
	s_add_u32 s16, s22, 0
	s_addc_u32 s17, 0, 0
	s_xor_b64 s[18:19], s[16:17], 0
	v_cvt_f32_u32_e32 v1, s18
	v_cvt_f32_u32_e32 v2, s19
	s_sub_u32 s7, 0, s18
	s_waitcnt lgkmcnt(0)
	s_subb_u32 s15, 0, s19
	v_fmamk_f32 v1, v2, 0x4f800000, v1
	v_rcp_f32_e32 v1, v1
	s_nop 0
	v_mul_f32_e32 v1, 0x5f7ffffc, v1
	v_mul_f32_e32 v2, 0x2f800000, v1
	v_trunc_f32_e32 v2, v2
	v_fmamk_f32 v1, v2, 0xcf800000, v1
	v_cvt_u32_f32_e32 v2, v2
	v_cvt_u32_f32_e32 v1, v1
	v_readfirstlane_b32 s20, v2
	v_readfirstlane_b32 s23, v1
	s_mul_i32 s24, s7, s20
	s_mul_hi_u32 s26, s7, s23
	s_mul_i32 s25, s15, s23
	s_add_i32 s24, s26, s24
	s_add_i32 s24, s24, s25
	s_mul_i32 s27, s7, s23
	s_mul_i32 s26, s23, s24
	s_mul_hi_u32 s28, s23, s27
	s_mul_hi_u32 s25, s23, s24
	s_add_u32 s26, s28, s26
	s_addc_u32 s25, 0, s25
	s_mul_hi_u32 s29, s20, s27
	s_mul_i32 s27, s20, s27
	s_add_u32 s26, s26, s27
	s_mul_hi_u32 s28, s20, s24
	s_addc_u32 s25, s25, s29
	s_addc_u32 s26, s28, 0
	s_mul_i32 s24, s20, s24
	s_add_u32 s24, s25, s24
	s_addc_u32 s26, 0, s26
	s_add_u32 s23, s23, s24
	s_cselect_b64 s[24:25], -1, 0
	s_cmp_lg_u64 s[24:25], 0
	s_addc_u32 s20, s20, s26
	s_mul_i32 s24, s7, s20
	s_mul_hi_u32 s25, s7, s23
	s_add_i32 s24, s25, s24
	s_mul_i32 s15, s15, s23
	s_add_i32 s24, s24, s15
	s_mul_i32 s7, s7, s23
	s_mul_hi_u32 s25, s20, s7
	s_mul_i32 s26, s20, s7
	s_mul_i32 s28, s23, s24
	s_mul_hi_u32 s7, s23, s7
	s_mul_hi_u32 s27, s23, s24
	s_add_u32 s7, s7, s28
	s_addc_u32 s27, 0, s27
	s_add_u32 s7, s7, s26
	s_mul_hi_u32 s15, s20, s24
	s_addc_u32 s7, s27, s25
	s_addc_u32 s15, s15, 0
	s_mul_i32 s24, s20, s24
	s_add_u32 s7, s7, s24
	s_addc_u32 s15, 0, s15
	s_add_u32 s7, s23, s7
	s_cselect_b64 s[24:25], -1, 0
	s_cmp_lg_u64 s[24:25], 0
	s_addc_u32 s15, s20, s15
	s_ashr_i32 s24, s21, 31
	s_add_u32 s20, s5, s24
	s_mov_b32 s25, s24
	s_addc_u32 s21, s21, s24
	s_xor_b64 s[20:21], s[20:21], s[24:25]
	s_mul_i32 s26, s20, s15
	s_mul_hi_u32 s27, s20, s7
	s_mul_hi_u32 s23, s20, s15
	s_add_u32 s26, s27, s26
	s_addc_u32 s23, 0, s23
	s_mul_hi_u32 s28, s21, s7
	s_mul_i32 s7, s21, s7
	s_add_u32 s7, s26, s7
	s_mul_hi_u32 s27, s21, s15
	s_addc_u32 s7, s23, s28
	s_addc_u32 s23, s27, 0
	s_mul_i32 s15, s21, s15
	s_add_u32 s7, s7, s15
	s_addc_u32 s15, 0, s23
	s_mul_i32 s23, s18, s15
	s_mul_hi_u32 s26, s18, s7
	s_add_i32 s23, s26, s23
	s_mul_i32 s26, s19, s7
	s_add_i32 s23, s23, s26
	s_sub_i32 s28, s21, s23
	s_mul_i32 s26, s18, s7
	s_sub_u32 s20, s20, s26
	s_cselect_b64 s[26:27], -1, 0
	s_cmp_lg_u64 s[26:27], 0
	s_subb_u32 s30, s28, s19
	s_sub_u32 s31, s20, s18
	s_cselect_b64 s[28:29], -1, 0
	s_cmp_lg_u64 s[28:29], 0
	s_subb_u32 s28, s30, 0
	s_cmp_ge_u32 s28, s19
	s_cselect_b32 s29, -1, 0
	s_cmp_ge_u32 s31, s18
	s_cselect_b32 s30, -1, 0
	s_cmp_eq_u32 s28, s19
	s_cselect_b32 s28, s30, s29
	s_add_u32 s29, s7, 1
	s_addc_u32 s30, s15, 0
	s_add_u32 s31, s7, 2
	s_addc_u32 s33, s15, 0
	s_cmp_lg_u32 s28, 0
	s_cselect_b32 s28, s31, s29
	s_cselect_b32 s29, s33, s30
	s_cmp_lg_u64 s[26:27], 0
	s_subb_u32 s21, s21, s23
	s_cmp_ge_u32 s21, s19
	s_cselect_b32 s23, -1, 0
	s_cmp_ge_u32 s20, s18
	s_cselect_b32 s18, -1, 0
	s_cmp_eq_u32 s21, s19
	s_cselect_b32 s18, s18, s23
	s_cmp_lg_u32 s18, 0
	s_cselect_b32 s19, s29, s15
	s_cselect_b32 s18, s28, s7
	s_xor_b64 s[20:21], s[24:25], 0
	s_xor_b64 s[18:19], s[18:19], s[20:21]
	s_sub_u32 s18, s18, s20
	s_cbranch_execnz .LBB70_6
.LBB70_5:
	v_cvt_f32_u32_e32 v1, s22
	s_sub_i32 s7, 0, s22
	v_rcp_iflag_f32_e32 v1, v1
	s_nop 0
	v_mul_f32_e32 v1, 0x4f7ffffe, v1
	v_cvt_u32_f32_e32 v1, v1
	s_waitcnt lgkmcnt(0)
	v_readfirstlane_b32 s15, v1
	s_mul_i32 s7, s7, s15
	s_mul_hi_u32 s7, s15, s7
	s_add_i32 s15, s15, s7
	s_mul_hi_u32 s7, s5, s15
	s_mul_i32 s16, s7, s22
	s_sub_i32 s5, s5, s16
	s_add_i32 s15, s7, 1
	s_sub_i32 s16, s5, s22
	s_cmp_ge_u32 s5, s22
	s_cselect_b32 s7, s15, s7
	s_cselect_b32 s5, s16, s5
	s_add_i32 s15, s7, 1
	s_cmp_ge_u32 s5, s22
	s_cselect_b32 s18, s15, s7
.LBB70_6:
	s_cmp_eq_u32 s6, s18
	s_waitcnt lgkmcnt(0)
	s_mul_hi_u32 s5, s6, s12
	s_cselect_b64 s[16:17], -1, 0
	s_add_i32 s5, s5, s6
	s_lshr_b32 s7, s5, s13
	s_mul_i32 s5, s7, s14
	s_cmp_eq_u32 s5, s6
	s_mul_hi_u32 s5, s18, s12
	s_cselect_b64 s[20:21], -1, 0
	s_add_i32 s5, s5, s18
	s_lshr_b32 s5, s5, s13
	s_cmp_eq_u32 s7, s5
	s_mul_i32 s5, s5, s14
	s_cselect_b64 s[24:25], -1, 0
	s_cmp_lg_u32 s5, s18
	s_cselect_b64 s[18:19], -1, 0
	s_and_b64 s[18:19], s[24:25], s[18:19]
	s_or_b64 s[16:17], s[16:17], s[20:21]
	s_or_b64 s[16:17], s[16:17], s[18:19]
	s_and_b64 vcc, exec, s[16:17]
	s_cbranch_vccnz .LBB70_23
; %bb.7:
	s_load_dwordx8 s[24:31], s[0:1], 0x20
	s_load_dword s15, s[0:1], 0x40
	s_waitcnt lgkmcnt(0)
	s_mul_hi_u32 s5, s6, s24
	s_add_i32 s5, s5, s6
	s_lshr_b32 s5, s5, s25
	s_mul_i32 s16, s5, s26
	s_sub_i32 s16, s6, s16
	s_mul_hi_u32 s17, s16, s27
	s_add_i32 s17, s16, s17
	s_lshr_b32 s21, s17, s28
	s_mul_i32 s17, s21, s29
	s_sub_i32 s16, s16, s17
	;; [unrolled: 5-line block ×3, first 2 shown]
	s_mul_hi_u32 s16, s15, s12
	s_add_i32 s15, s15, s16
	s_lshr_b32 s23, s15, s13
	s_lshl_b32 s15, s23, 1
	s_add_i32 s15, s15, s3
	s_cmp_lt_i32 s15, s8
	s_cselect_b64 s[16:17], -1, 0
	s_add_i32 s15, s20, s4
	s_cmp_lt_i32 s15, s10
	s_cselect_b64 s[18:19], -1, 0
	s_and_b64 s[16:17], s[16:17], s[18:19]
	s_andn2_b64 vcc, exec, s[16:17]
	s_cbranch_vccnz .LBB70_23
; %bb.8:
	s_load_dwordx4 s[16:19], s[0:1], 0x0
	s_mov_b32 s0, 0
	s_lshl_b32 s24, s22, 3
	s_mov_b32 s25, s0
	s_add_i32 s15, s3, s4
	s_waitcnt lgkmcnt(0)
	v_mov_b32_e32 v2, s16
	v_mov_b32_e32 v3, s17
	s_lshl_b64 s[16:17], s[24:25], 2
	s_add_u32 s16, s18, s16
	s_mul_i32 s1, s5, s8
	s_addc_u32 s17, s19, s17
	s_add_i32 s1, s1, s3
	s_mul_i32 s1, s1, s9
	s_mul_i32 s21, s21, s10
	s_add_i32 s1, s1, s4
	s_add_i32 s1, s1, s21
	s_mul_i32 s5, s9, s23
	s_add_i32 s1, s1, s20
	s_lshl_b32 s5, s5, 8
	s_lshl_b32 s1, s1, 7
	s_add_i32 s5, s5, s1
	v_or_b32_e32 v4, s5, v0
	v_ashrrev_i32_e32 v5, 31, v4
	v_lshl_add_u64 v[2:3], v[4:5], 2, v[2:3]
	global_load_dword v1, v[2:3], off
	v_cvt_f32_u32_e32 v4, s22
	s_lshl_b32 s1, s2, 1
	s_add_i32 s4, s1, s15
	s_ashr_i32 s5, s4, 31
	s_lshl_b64 s[4:5], s[4:5], 3
	v_rcp_iflag_f32_e32 v4, v4
	s_add_u32 s4, s18, s4
	s_addc_u32 s5, s19, s5
	s_load_dwordx2 s[4:5], s[4:5], 0x0
	v_mul_f32_e32 v4, 0x4f7ffffe, v4
	v_cvt_u32_f32_e32 v7, v4
	s_add_i32 s24, s2, -1
	v_lshl_or_b32 v6, s15, 7, v0
	s_waitcnt lgkmcnt(0)
	v_mov_b32_e32 v0, s5
	v_mov_b32_e32 v9, s4
	s_mov_b32 s10, 0x3fb8aa3b
	s_mov_b32 s20, 0xc2ce8ed0
	;; [unrolled: 1-line block ×4, first 2 shown]
	v_mov_b32_e32 v8, 0x7f800000
	s_mul_hi_i32 s1, s24, s11
	s_cmp_lg_u64 s[0:1], 0
	s_mul_i32 s8, s24, s11
	s_cbranch_scc0 .LBB70_19
.LBB70_9:
	s_add_u32 s2, s22, 0
	s_addc_u32 s3, 0, 0
	s_xor_b64 s[2:3], s[2:3], 0
	v_cvt_f32_u32_e32 v4, s2
	v_cvt_f32_u32_e32 v5, s3
	s_sub_u32 s9, 0, s2
	s_subb_u32 s25, 0, s3
	v_fmac_f32_e32 v4, 0x4f800000, v5
	v_rcp_f32_e32 v4, v4
	s_nop 0
	v_mul_f32_e32 v4, 0x5f7ffffc, v4
	v_mul_f32_e32 v5, 0x2f800000, v4
	v_trunc_f32_e32 v5, v5
	v_fmac_f32_e32 v4, 0xcf800000, v5
	v_cvt_u32_f32_e32 v5, v5
	v_cvt_u32_f32_e32 v4, v4
	v_readfirstlane_b32 s26, v5
	v_readfirstlane_b32 s4, v4
	s_mul_i32 s5, s9, s26
	s_mul_hi_u32 s28, s9, s4
	s_mul_i32 s27, s25, s4
	s_add_i32 s5, s28, s5
	s_mul_i32 s29, s9, s4
	s_add_i32 s5, s5, s27
	s_mul_i32 s28, s4, s5
	s_mul_hi_u32 s30, s4, s29
	s_mul_hi_u32 s27, s4, s5
	s_add_u32 s28, s30, s28
	s_addc_u32 s27, 0, s27
	s_mul_hi_u32 s31, s26, s29
	s_mul_i32 s29, s26, s29
	s_add_u32 s28, s28, s29
	s_mul_hi_u32 s30, s26, s5
	s_addc_u32 s27, s27, s31
	s_addc_u32 s28, s30, 0
	s_mul_i32 s5, s26, s5
	s_add_u32 s5, s27, s5
	s_addc_u32 s27, 0, s28
	s_add_u32 s28, s4, s5
	s_cselect_b64 s[4:5], -1, 0
	s_cmp_lg_u64 s[4:5], 0
	s_addc_u32 s26, s26, s27
	s_mul_i32 s4, s9, s26
	s_mul_hi_u32 s5, s9, s28
	s_add_i32 s4, s5, s4
	s_mul_i32 s25, s25, s28
	s_add_i32 s4, s4, s25
	s_mul_i32 s9, s9, s28
	s_mul_hi_u32 s25, s26, s9
	s_mul_i32 s27, s26, s9
	s_mul_i32 s30, s28, s4
	s_mul_hi_u32 s9, s28, s9
	s_mul_hi_u32 s29, s28, s4
	s_add_u32 s9, s9, s30
	s_addc_u32 s29, 0, s29
	s_add_u32 s9, s9, s27
	s_mul_hi_u32 s5, s26, s4
	s_addc_u32 s9, s29, s25
	s_addc_u32 s5, s5, 0
	s_mul_i32 s4, s26, s4
	s_add_u32 s4, s9, s4
	s_addc_u32 s9, 0, s5
	s_add_u32 s25, s28, s4
	s_cselect_b64 s[4:5], -1, 0
	s_cmp_lg_u64 s[4:5], 0
	s_addc_u32 s9, s26, s9
	s_ashr_i32 s4, s1, 31
	s_add_u32 s26, s8, s4
	s_mov_b32 s5, s4
	s_addc_u32 s27, s1, s4
	s_xor_b64 s[26:27], s[26:27], s[4:5]
	s_mul_i32 s28, s26, s9
	s_mul_hi_u32 s29, s26, s25
	s_mul_hi_u32 s1, s26, s9
	s_add_u32 s28, s29, s28
	s_addc_u32 s1, 0, s1
	s_mul_hi_u32 s30, s27, s25
	s_mul_i32 s25, s27, s25
	s_add_u32 s25, s28, s25
	s_mul_hi_u32 s29, s27, s9
	s_addc_u32 s1, s1, s30
	s_addc_u32 s25, s29, 0
	s_mul_i32 s9, s27, s9
	s_add_u32 s1, s1, s9
	s_addc_u32 s9, 0, s25
	s_mul_i32 s25, s2, s9
	s_mul_hi_u32 s28, s2, s1
	s_add_i32 s25, s28, s25
	s_mul_i32 s28, s3, s1
	s_add_i32 s25, s25, s28
	s_sub_i32 s30, s27, s25
	s_mul_i32 s28, s2, s1
	s_sub_u32 s26, s26, s28
	s_cselect_b64 s[28:29], -1, 0
	s_cmp_lg_u64 s[28:29], 0
	s_subb_u32 s33, s30, s3
	s_sub_u32 s34, s26, s2
	s_cselect_b64 s[30:31], -1, 0
	s_cmp_lg_u64 s[30:31], 0
	s_subb_u32 s30, s33, 0
	s_cmp_ge_u32 s30, s3
	s_cselect_b32 s31, -1, 0
	s_cmp_ge_u32 s34, s2
	s_cselect_b32 s33, -1, 0
	s_cmp_eq_u32 s30, s3
	s_cselect_b32 s30, s33, s31
	s_add_u32 s31, s1, 1
	s_addc_u32 s33, s9, 0
	s_add_u32 s34, s1, 2
	s_addc_u32 s35, s9, 0
	s_cmp_lg_u32 s30, 0
	s_cselect_b32 s30, s34, s31
	s_cselect_b32 s31, s35, s33
	s_cmp_lg_u64 s[28:29], 0
	s_subb_u32 s25, s27, s25
	s_cmp_ge_u32 s25, s3
	s_cselect_b32 s27, -1, 0
	s_cmp_ge_u32 s26, s2
	s_cselect_b32 s2, -1, 0
	s_cmp_eq_u32 s25, s3
	s_cselect_b32 s2, s2, s27
	s_cmp_lg_u32 s2, 0
	s_cselect_b32 s3, s31, s9
	s_cselect_b32 s2, s30, s1
	s_xor_b64 s[4:5], s[4:5], 0
	s_xor_b64 s[2:3], s[2:3], s[4:5]
	s_sub_u32 s4, s2, s4
	s_cbranch_execnz .LBB70_11
.LBB70_10:
	s_sub_i32 s1, 0, s22
	v_readfirstlane_b32 s2, v7
	s_mul_i32 s1, s1, s2
	s_mul_hi_u32 s1, s2, s1
	s_add_i32 s2, s2, s1
	s_mul_hi_u32 s1, s8, s2
	s_mul_i32 s3, s1, s22
	s_sub_i32 s3, s8, s3
	s_add_i32 s2, s1, 1
	s_sub_i32 s4, s3, s22
	s_cmp_ge_u32 s3, s22
	s_cselect_b32 s1, s2, s1
	s_cselect_b32 s3, s4, s3
	s_add_i32 s2, s1, 1
	s_cmp_ge_u32 s3, s22
	s_cselect_b32 s4, s2, s1
.LBB70_11:
	s_cmp_lg_u32 s6, s4
	s_cbranch_scc0 .LBB70_15
; %bb.12:
	s_add_i32 s1, s24, s22
	s_lshl_b32 s1, s1, 1
	s_add_i32 s2, s1, s15
	s_mov_b32 s3, s0
	s_lshl_b64 s[2:3], s[2:3], 3
	s_add_u32 s8, s18, s2
	s_mul_hi_u32 s1, s4, s12
	s_addc_u32 s9, s19, s3
	s_add_i32 s1, s1, s4
	s_lshr_b32 s1, s1, s13
	s_mul_i32 s2, s1, s14
	s_cmp_eq_u32 s2, s4
	s_cselect_b64 s[2:3], -1, 0
	s_cmp_lt_u32 s1, s7
	s_cselect_b64 s[26:27], -1, 0
	s_or_b64 s[26:27], s[26:27], s[2:3]
	s_mov_b64 s[2:3], -1
	s_and_b64 vcc, exec, s[26:27]
	s_mov_b32 s1, s24
	s_mov_b32 s25, s6
	s_cbranch_vccnz .LBB70_14
; %bb.13:
	s_add_i32 s1, s24, -1
	s_mov_b64 s[2:3], 0
	s_mov_b32 s25, s4
.LBB70_14:
	v_lshl_add_u32 v4, s24, 8, v6
	v_ashrrev_i32_e32 v5, 31, v4
	v_lshl_add_u64 v[4:5], v[4:5], 2, s[16:17]
	global_load_dword v5, v[4:5], off
	s_load_dwordx2 s[4:5], s[8:9], 0x0
	v_max_f32_e32 v4, v9, v9
	s_waitcnt lgkmcnt(0)
	v_max_f32_e64 v10, s4, s4
	v_max_f32_e32 v10, v4, v10
	v_sub_f32_e32 v11, v9, v10
	v_sub_f32_e32 v13, s4, v10
	v_mul_f32_e32 v4, 0x3fb8aa3b, v11
	v_mul_f32_e32 v12, 0x3fb8aa3b, v13
	v_fma_f32 v14, v11, s10, -v4
	v_rndne_f32_e32 v15, v4
	v_fma_f32 v16, v13, s10, -v12
	v_rndne_f32_e32 v17, v12
	v_fmac_f32_e32 v14, 0x32a5705f, v11
	v_sub_f32_e32 v4, v4, v15
	v_fmac_f32_e32 v16, 0x32a5705f, v13
	v_sub_f32_e32 v12, v12, v17
	v_add_f32_e32 v4, v4, v14
	v_cvt_i32_f32_e32 v15, v15
	v_add_f32_e32 v12, v12, v16
	v_exp_f32_e32 v14, v4
	v_cvt_i32_f32_e32 v17, v17
	v_exp_f32_e32 v12, v12
	v_cmp_ngt_f32_e32 vcc, s20, v11
	v_ldexp_f32 v14, v14, v15
	v_mov_b32_e32 v4, s5
	v_ldexp_f32 v12, v12, v17
	v_cndmask_b32_e32 v14, 0, v14, vcc
	v_cmp_ngt_f32_e32 vcc, s20, v13
	s_nop 1
	v_cndmask_b32_e32 v12, 0, v12, vcc
	v_cmp_nlt_f32_e32 vcc, s21, v11
	s_nop 1
	v_cndmask_b32_e32 v14, v8, v14, vcc
	v_cmp_nlt_f32_e32 vcc, s21, v13
	s_nop 1
	v_cndmask_b32_e32 v15, v8, v12, vcc
	v_cmp_le_f32_e32 vcc, s23, v11
	s_nop 1
	v_cndmask_b32_e32 v12, 0, v14, vcc
	v_cmp_le_f32_e32 vcc, s23, v13
	s_nop 1
	v_cndmask_b32_e32 v14, 0, v15, vcc
	s_waitcnt vmcnt(0)
	v_pk_mul_f32 v[4:5], v[4:5], v[14:15] op_sel_hi:[1,0]
	s_nop 0
	v_pk_fma_f32 v[4:5], v[0:1], v[12:13], v[4:5] op_sel_hi:[1,0,1]
	s_cbranch_execz .LBB70_16
	s_branch .LBB70_17
.LBB70_15:
                                        ; implicit-def: $vgpr4_vgpr5
                                        ; implicit-def: $sgpr2_sgpr3
                                        ; implicit-def: $vgpr10
                                        ; implicit-def: $sgpr1
                                        ; implicit-def: $sgpr25
.LBB70_16:
	s_add_i32 s1, s24, -1
	s_mov_b64 s[2:3], 0
	s_mov_b32 s25, s6
	v_mov_b32_e32 v10, v9
	s_waitcnt vmcnt(0)
	v_mov_b64_e32 v[4:5], v[0:1]
.LBB70_17:
	s_andn2_b64 vcc, exec, s[2:3]
	s_cbranch_vccz .LBB70_22
; %bb.18:
	s_mov_b32 s6, s25
	s_mov_b32 s24, s1
	v_mov_b32_e32 v9, v10
	s_waitcnt vmcnt(0)
	v_mov_b64_e32 v[0:1], v[4:5]
	s_mul_hi_i32 s1, s24, s11
	s_cmp_lg_u64 s[0:1], 0
	s_mul_i32 s8, s24, s11
	s_cbranch_scc1 .LBB70_9
.LBB70_19:
                                        ; implicit-def: $sgpr4_sgpr5
	s_branch .LBB70_10
.LBB70_20:
                                        ; implicit-def: $sgpr6_sgpr7
	s_load_dwordx4 s[12:15], s[0:1], 0x44
	s_branch .LBB70_2
.LBB70_21:
                                        ; implicit-def: $sgpr18_sgpr19
	s_branch .LBB70_5
.LBB70_22:
	v_div_scale_f32 v0, s[0:1], v4, v4, v5
	s_waitcnt vmcnt(0)
	v_rcp_f32_e32 v1, v0
	v_div_scale_f32 v6, vcc, v5, v4, v5
	v_fma_f32 v7, -v0, v1, 1.0
	v_fmac_f32_e32 v1, v7, v1
	v_mul_f32_e32 v7, v6, v1
	v_fma_f32 v8, -v0, v7, v6
	v_fmac_f32_e32 v7, v8, v1
	v_fma_f32 v0, -v0, v7, v6
	v_div_fmas_f32 v0, v0, v1, v7
	v_div_fixup_f32 v0, v0, v4, v5
	global_store_dword v[2:3], v0, off
.LBB70_23:
	s_endpgm
	.section	.rodata,"a",@progbits
	.p2align	6, 0x0
	.amdhsa_kernel _ZL33flash_attn_stream_k_fixup_generalILi128ELi2ELi1EEvPfPK15HIP_vector_typeIfLj2EEiiiiS1_IjLj3EES5_S5_S5_
		.amdhsa_group_segment_fixed_size 0
		.amdhsa_private_segment_fixed_size 0
		.amdhsa_kernarg_size 336
		.amdhsa_user_sgpr_count 2
		.amdhsa_user_sgpr_dispatch_ptr 0
		.amdhsa_user_sgpr_queue_ptr 0
		.amdhsa_user_sgpr_kernarg_segment_ptr 1
		.amdhsa_user_sgpr_dispatch_id 0
		.amdhsa_user_sgpr_kernarg_preload_length 0
		.amdhsa_user_sgpr_kernarg_preload_offset 0
		.amdhsa_user_sgpr_private_segment_size 0
		.amdhsa_uses_dynamic_stack 0
		.amdhsa_enable_private_segment 0
		.amdhsa_system_sgpr_workgroup_id_x 1
		.amdhsa_system_sgpr_workgroup_id_y 1
		.amdhsa_system_sgpr_workgroup_id_z 1
		.amdhsa_system_sgpr_workgroup_info 0
		.amdhsa_system_vgpr_workitem_id 0
		.amdhsa_next_free_vgpr 18
		.amdhsa_next_free_sgpr 36
		.amdhsa_accum_offset 20
		.amdhsa_reserve_vcc 1
		.amdhsa_float_round_mode_32 0
		.amdhsa_float_round_mode_16_64 0
		.amdhsa_float_denorm_mode_32 3
		.amdhsa_float_denorm_mode_16_64 3
		.amdhsa_dx10_clamp 1
		.amdhsa_ieee_mode 1
		.amdhsa_fp16_overflow 0
		.amdhsa_tg_split 0
		.amdhsa_exception_fp_ieee_invalid_op 0
		.amdhsa_exception_fp_denorm_src 0
		.amdhsa_exception_fp_ieee_div_zero 0
		.amdhsa_exception_fp_ieee_overflow 0
		.amdhsa_exception_fp_ieee_underflow 0
		.amdhsa_exception_fp_ieee_inexact 0
		.amdhsa_exception_int_div_zero 0
	.end_amdhsa_kernel
	.section	.text._ZL33flash_attn_stream_k_fixup_generalILi128ELi2ELi1EEvPfPK15HIP_vector_typeIfLj2EEiiiiS1_IjLj3EES5_S5_S5_,"axG",@progbits,_ZL33flash_attn_stream_k_fixup_generalILi128ELi2ELi1EEvPfPK15HIP_vector_typeIfLj2EEiiiiS1_IjLj3EES5_S5_S5_,comdat
.Lfunc_end70:
	.size	_ZL33flash_attn_stream_k_fixup_generalILi128ELi2ELi1EEvPfPK15HIP_vector_typeIfLj2EEiiiiS1_IjLj3EES5_S5_S5_, .Lfunc_end70-_ZL33flash_attn_stream_k_fixup_generalILi128ELi2ELi1EEvPfPK15HIP_vector_typeIfLj2EEiiiiS1_IjLj3EES5_S5_S5_
                                        ; -- End function
	.set _ZL33flash_attn_stream_k_fixup_generalILi128ELi2ELi1EEvPfPK15HIP_vector_typeIfLj2EEiiiiS1_IjLj3EES5_S5_S5_.num_vgpr, 18
	.set _ZL33flash_attn_stream_k_fixup_generalILi128ELi2ELi1EEvPfPK15HIP_vector_typeIfLj2EEiiiiS1_IjLj3EES5_S5_S5_.num_agpr, 0
	.set _ZL33flash_attn_stream_k_fixup_generalILi128ELi2ELi1EEvPfPK15HIP_vector_typeIfLj2EEiiiiS1_IjLj3EES5_S5_S5_.numbered_sgpr, 36
	.set _ZL33flash_attn_stream_k_fixup_generalILi128ELi2ELi1EEvPfPK15HIP_vector_typeIfLj2EEiiiiS1_IjLj3EES5_S5_S5_.num_named_barrier, 0
	.set _ZL33flash_attn_stream_k_fixup_generalILi128ELi2ELi1EEvPfPK15HIP_vector_typeIfLj2EEiiiiS1_IjLj3EES5_S5_S5_.private_seg_size, 0
	.set _ZL33flash_attn_stream_k_fixup_generalILi128ELi2ELi1EEvPfPK15HIP_vector_typeIfLj2EEiiiiS1_IjLj3EES5_S5_S5_.uses_vcc, 1
	.set _ZL33flash_attn_stream_k_fixup_generalILi128ELi2ELi1EEvPfPK15HIP_vector_typeIfLj2EEiiiiS1_IjLj3EES5_S5_S5_.uses_flat_scratch, 0
	.set _ZL33flash_attn_stream_k_fixup_generalILi128ELi2ELi1EEvPfPK15HIP_vector_typeIfLj2EEiiiiS1_IjLj3EES5_S5_S5_.has_dyn_sized_stack, 0
	.set _ZL33flash_attn_stream_k_fixup_generalILi128ELi2ELi1EEvPfPK15HIP_vector_typeIfLj2EEiiiiS1_IjLj3EES5_S5_S5_.has_recursion, 0
	.set _ZL33flash_attn_stream_k_fixup_generalILi128ELi2ELi1EEvPfPK15HIP_vector_typeIfLj2EEiiiiS1_IjLj3EES5_S5_S5_.has_indirect_call, 0
	.section	.AMDGPU.csdata,"",@progbits
; Kernel info:
; codeLenInByte = 2932
; TotalNumSgprs: 42
; NumVgprs: 18
; NumAgprs: 0
; TotalNumVgprs: 18
; ScratchSize: 0
; MemoryBound: 0
; FloatMode: 240
; IeeeMode: 1
; LDSByteSize: 0 bytes/workgroup (compile time only)
; SGPRBlocks: 5
; VGPRBlocks: 2
; NumSGPRsForWavesPerEU: 42
; NumVGPRsForWavesPerEU: 18
; AccumOffset: 20
; Occupancy: 8
; WaveLimiterHint : 0
; COMPUTE_PGM_RSRC2:SCRATCH_EN: 0
; COMPUTE_PGM_RSRC2:USER_SGPR: 2
; COMPUTE_PGM_RSRC2:TRAP_HANDLER: 0
; COMPUTE_PGM_RSRC2:TGID_X_EN: 1
; COMPUTE_PGM_RSRC2:TGID_Y_EN: 1
; COMPUTE_PGM_RSRC2:TGID_Z_EN: 1
; COMPUTE_PGM_RSRC2:TIDIG_COMP_CNT: 0
; COMPUTE_PGM_RSRC3_GFX90A:ACCUM_OFFSET: 4
; COMPUTE_PGM_RSRC3_GFX90A:TG_SPLIT: 0
	.section	.text._ZL15flash_attn_tileILi128ELi128ELi8ELi8ELb1EEvPKcS1_S1_S1_S1_PKiPfP15HIP_vector_typeIfLj2EEffffjfiS5_IjLj3EEiiiiiiiiiiiliiliiiiil,"axG",@progbits,_ZL15flash_attn_tileILi128ELi128ELi8ELi8ELb1EEvPKcS1_S1_S1_S1_PKiPfP15HIP_vector_typeIfLj2EEffffjfiS5_IjLj3EEiiiiiiiiiiiliiliiiiil,comdat
	.globl	_ZL15flash_attn_tileILi128ELi128ELi8ELi8ELb1EEvPKcS1_S1_S1_S1_PKiPfP15HIP_vector_typeIfLj2EEffffjfiS5_IjLj3EEiiiiiiiiiiiliiliiiiil ; -- Begin function _ZL15flash_attn_tileILi128ELi128ELi8ELi8ELb1EEvPKcS1_S1_S1_S1_PKiPfP15HIP_vector_typeIfLj2EEffffjfiS5_IjLj3EEiiiiiiiiiiiliiliiiiil
	.p2align	8
	.type	_ZL15flash_attn_tileILi128ELi128ELi8ELi8ELb1EEvPKcS1_S1_S1_S1_PKiPfP15HIP_vector_typeIfLj2EEffffjfiS5_IjLj3EEiiiiiiiiiiiliiliiiiil,@function
_ZL15flash_attn_tileILi128ELi128ELi8ELi8ELb1EEvPKcS1_S1_S1_S1_PKiPfP15HIP_vector_typeIfLj2EEffffjfiS5_IjLj3EEiiiiiiiiiiiliiliiiiil: ; @_ZL15flash_attn_tileILi128ELi128ELi8ELi8ELb1EEvPKcS1_S1_S1_S1_PKiPfP15HIP_vector_typeIfLj2EEffffjfiS5_IjLj3EEiiiiiiiiiiiliiliiiiil
; %bb.0:
	s_load_dwordx4 s[20:23], s[0:1], 0x5c
	s_load_dwordx2 s[30:31], s[0:1], 0x80
	s_load_dwordx2 s[36:37], s[0:1], 0xb8
	s_mov_b64 s[34:35], 0
	s_waitcnt lgkmcnt(0)
	s_ashr_i32 s5, s23, 31
	s_lshr_b32 s5, s5, 29
	s_add_i32 s5, s23, s5
	s_ashr_i32 s5, s5, 3
	v_cvt_f32_u32_e32 v1, s5
	s_sub_i32 s6, 0, s5
	v_rcp_iflag_f32_e32 v1, v1
	s_nop 0
	v_mul_f32_e32 v1, 0x4f7ffffe, v1
	v_cvt_u32_f32_e32 v1, v1
	s_nop 0
	v_readfirstlane_b32 s7, v1
	s_mul_i32 s6, s6, s7
	s_mul_hi_u32 s6, s7, s6
	s_add_i32 s7, s7, s6
	s_mul_hi_u32 s6, s4, s7
	s_mul_i32 s7, s6, s5
	s_sub_i32 s7, s4, s7
	s_add_i32 s8, s6, 1
	s_sub_i32 s9, s7, s5
	s_cmp_ge_u32 s7, s5
	s_cselect_b32 s6, s8, s6
	s_cselect_b32 s7, s9, s7
	s_add_i32 s8, s6, 1
	s_cmp_ge_u32 s7, s5
	s_cselect_b32 s33, s8, s6
	s_abs_i32 s5, s31
	v_cvt_f32_u32_e32 v1, s5
	s_lshl_b32 s4, s4, 3
	s_mul_i32 s8, s33, s23
	s_sub_i32 s9, 0, s5
	v_rcp_iflag_f32_e32 v1, v1
	s_sub_i32 s28, s4, s8
	s_abs_i32 s7, s23
	s_xor_b32 s6, s23, s31
	v_mul_f32_e32 v1, 0x4f7ffffe, v1
	v_cvt_u32_f32_e32 v1, v1
	s_ashr_i32 s6, s6, 31
	v_readfirstlane_b32 s4, v1
	s_mul_i32 s9, s9, s4
	s_mul_hi_u32 s8, s4, s9
	s_add_i32 s4, s4, s8
	s_mul_hi_u32 s4, s7, s4
	s_mul_i32 s8, s4, s5
	s_sub_i32 s7, s7, s8
	s_add_i32 s9, s4, 1
	s_sub_i32 s8, s7, s5
	s_cmp_ge_u32 s7, s5
	s_cselect_b32 s4, s9, s4
	s_cselect_b32 s7, s8, s7
	s_add_i32 s8, s4, 1
	s_cmp_ge_u32 s7, s5
	s_cselect_b32 s4, s8, s4
	s_xor_b32 s4, s4, s6
	s_sub_i32 s31, s4, s6
	s_abs_i32 s29, s31
	v_cvt_f32_u32_e32 v1, s29
	s_load_dwordx16 s[4:19], s[0:1], 0x0
	v_rcp_iflag_f32_e32 v1, v1
	s_waitcnt lgkmcnt(0)
	s_cmp_eq_u64 s[10:11], 0
	v_mul_f32_e32 v1, 0x4f7ffffe, v1
	v_cvt_u32_f32_e32 v1, v1
	s_nop 0
	v_readfirstlane_b32 s38, v1
	s_cbranch_scc1 .LBB71_2
; %bb.1:
	s_abs_i32 s26, s36
	v_cvt_f32_u32_e32 v1, s26
	s_sub_i32 s35, 0, s26
	s_abs_i32 s34, s33
	s_ashr_i32 s27, s33, 31
	v_rcp_iflag_f32_e32 v1, v1
	s_load_dwordx2 s[24:25], s[0:1], 0xc8
	v_mul_f32_e32 v1, 0x4f7ffffe, v1
	v_cvt_u32_f32_e32 v1, v1
	s_nop 0
	v_readfirstlane_b32 s36, v1
	s_mul_i32 s35, s35, s36
	s_mul_hi_u32 s35, s36, s35
	s_add_i32 s36, s36, s35
	s_mul_hi_u32 s35, s34, s36
	s_mul_i32 s35, s35, s26
	s_sub_i32 s34, s34, s35
	s_sub_i32 s35, s34, s26
	s_cmp_ge_u32 s34, s26
	s_cselect_b32 s34, s35, s34
	s_sub_i32 s35, s34, s26
	s_cmp_ge_u32 s34, s26
	s_cselect_b32 s26, s35, s34
	s_xor_b32 s26, s26, s27
	s_sub_i32 s26, s26, s27
	s_ashr_i32 s27, s26, 31
	s_waitcnt lgkmcnt(0)
	s_mul_hi_u32 s34, s24, s26
	s_mul_i32 s27, s24, s27
	s_mul_i32 s25, s25, s26
	s_add_i32 s27, s34, s27
	s_add_i32 s27, s27, s25
	s_mul_i32 s24, s24, s26
	s_add_u32 s34, s10, s24
	s_addc_u32 s35, s11, s27
.LBB71_2:
	s_load_dwordx4 s[24:27], s[0:1], 0x70
	v_bfe_u32 v2, v0, 10, 10
	v_lshl_add_u32 v44, s2, 3, v2
	v_mul_hi_u32 v1, s20, v44
	v_add_u32_e32 v1, v44, v1
	s_waitcnt lgkmcnt(0)
	s_mul_i32 s10, s33, s26
	s_ashr_i32 s26, s10, 31
	s_mul_i32 s11, s28, s25
	s_add_u32 s4, s4, s10
	s_addc_u32 s5, s5, s26
	s_ashr_i32 s10, s11, 31
	s_add_u32 s4, s4, s11
	v_lshrrev_b32_e32 v1, s21, v1
	s_addc_u32 s5, s5, s10
	v_mul_lo_u32 v1, v1, s22
	s_ashr_i32 s11, s24, 31
	s_mov_b32 s10, s24
	v_sub_u32_e32 v3, v44, v1
	s_lshr_b64 s[20:21], s[10:11], 2
	v_mad_u64_u32 v[4:5], s[20:21], s20, v3, 0
	v_mov_b32_e32 v6, v5
	s_lshr_b32 s10, s11, 2
	v_mad_u64_u32 v[6:7], s[10:11], s10, v3, v[6:7]
	v_mov_b32_e32 v5, v6
	v_and_b32_e32 v18, 0x3ff, v0
	v_lshl_add_u64 v[4:5], v[4:5], 2, s[4:5]
	v_lshlrev_b32_e32 v0, 4, v18
	v_mov_b32_e32 v1, 0
	s_ashr_i32 s11, s25, 31
	s_mov_b32 s10, s25
	v_lshl_add_u64 v[16:17], v[4:5], 0, v[0:1]
	s_lshr_b64 s[4:5], s[10:11], 2
	s_and_b32 s10, s25, -4
	global_load_dwordx4 v[4:7], v[16:17], off
	v_lshl_add_u64 v[8:9], v[16:17], 0, s[10:11]
	global_load_dwordx4 v[8:11], v[8:9], off
	v_mad_u64_u32 v[20:21], s[20:21], s4, 12, v[16:17]
	s_lshr_b32 s24, s11, 2
	v_mov_b32_e32 v22, v21
	v_lshl_add_u64 v[12:13], s[4:5], 3, v[16:17]
	v_mad_u64_u32 v[22:23], s[20:21], s24, 12, v[22:23]
	global_load_dwordx4 v[12:15], v[12:13], off
	v_mov_b32_e32 v21, v22
	global_load_dwordx4 v[20:23], v[20:21], off
	s_andn2_b32 s11, s11, -2.0
	v_lshl_add_u64 v[24:25], s[10:11], 2, v[16:17]
	global_load_dwordx4 v[24:27], v[24:25], off
	v_mad_u64_u32 v[28:29], s[10:11], s4, 20, v[16:17]
	v_mov_b32_e32 v30, v29
	v_mad_u64_u32 v[30:31], s[10:11], s24, 20, v[30:31]
	v_mov_b32_e32 v29, v30
	global_load_dwordx4 v[28:31], v[28:29], off
	v_mad_u64_u32 v[32:33], s[10:11], s4, 24, v[16:17]
	v_mov_b32_e32 v34, v33
	v_mad_u64_u32 v[34:35], s[10:11], s24, 24, v[34:35]
	v_mov_b32_e32 v33, v34
	;; [unrolled: 5-line block ×3, first 2 shown]
	global_load_dwordx4 v[36:39], v[16:17], off
	s_load_dword s20, s[0:1], 0x40
	v_lshlrev_b32_e32 v45, 11, v2
	v_lshlrev_b32_e32 v1, 3, v18
	v_add_u32_e32 v19, v45, v1
	s_cmp_eq_u64 s[14:15], 0
	s_waitcnt vmcnt(7) lgkmcnt(0)
	v_fma_mixlo_f16 v4, s20, v4, 0
	v_fma_mixlo_f16 v5, s20, v5, 0
	;; [unrolled: 1-line block ×4, first 2 shown]
	v_lshlrev_b32_e32 v5, 16, v5
	v_and_b32_e32 v4, 0xffff, v4
	v_lshlrev_b32_e32 v7, 16, v7
	v_and_b32_e32 v6, 0xffff, v6
	s_waitcnt vmcnt(6)
	v_fma_mixlo_f16 v8, s20, v8, 0
	v_fma_mixlo_f16 v9, s20, v9, 0
	;; [unrolled: 1-line block ×4, first 2 shown]
	v_or_b32_e32 v4, v5, v4
	v_or3_b32 v5, v7, v6, 0
	v_lshlrev_b32_e32 v6, 16, v9
	v_and_b32_e32 v7, 0xffff, v8
	v_lshlrev_b32_e32 v8, 16, v11
	v_and_b32_e32 v9, 0xffff, v10
	v_or_b32_e32 v6, v6, v7
	s_waitcnt vmcnt(5)
	v_fma_mixlo_f16 v12, s20, v12, 0
	v_fma_mixlo_f16 v13, s20, v13, 0
	v_or3_b32 v4, 0, 0, v4
	v_or3_b32 v7, v8, v9, 0
	;; [unrolled: 1-line block ×3, first 2 shown]
	v_lshlrev_b32_e32 v10, 16, v13
	v_and_b32_e32 v11, 0xffff, v12
	ds_write2_b64 v19, v[4:5], v[6:7] offset1:32
	v_fma_mixlo_f16 v4, s20, v14, 0
	v_fma_mixlo_f16 v5, s20, v15, 0
	s_waitcnt vmcnt(4)
	v_fma_mixlo_f16 v6, s20, v20, 0
	v_fma_mixlo_f16 v7, s20, v21, 0
	v_or_b32_e32 v8, v10, v11
	v_lshlrev_b32_e32 v5, 16, v5
	v_and_b32_e32 v4, 0xffff, v4
	v_lshlrev_b32_e32 v7, 16, v7
	v_and_b32_e32 v6, 0xffff, v6
	v_or3_b32 v5, v5, v4, 0
	v_or3_b32 v4, 0, 0, v8
	v_or_b32_e32 v6, v7, v6
	v_fma_mixlo_f16 v7, s20, v22, 0
	v_fma_mixlo_f16 v8, s20, v23, 0
	v_lshlrev_b32_e32 v8, 16, v8
	v_and_b32_e32 v7, 0xffff, v7
	v_or3_b32 v7, v8, v7, 0
	v_or3_b32 v6, 0, 0, v6
	ds_write2_b64 v19, v[4:5], v[6:7] offset0:64 offset1:96
	s_waitcnt vmcnt(3)
	v_fma_mixlo_f16 v4, s20, v24, 0
	v_fma_mixlo_f16 v5, s20, v25, 0
	v_lshlrev_b32_e32 v5, 16, v5
	v_and_b32_e32 v4, 0xffff, v4
	v_or_b32_e32 v4, v5, v4
	v_fma_mixlo_f16 v5, s20, v26, 0
	v_fma_mixlo_f16 v6, s20, v27, 0
	v_lshlrev_b32_e32 v6, 16, v6
	v_and_b32_e32 v5, 0xffff, v5
	v_or3_b32 v5, v6, v5, 0
	s_waitcnt vmcnt(2)
	v_fma_mixlo_f16 v6, s20, v28, 0
	v_fma_mixlo_f16 v7, s20, v29, 0
	v_lshlrev_b32_e32 v7, 16, v7
	v_and_b32_e32 v6, 0xffff, v6
	v_or_b32_e32 v6, v7, v6
	v_fma_mixlo_f16 v7, s20, v30, 0
	v_fma_mixlo_f16 v8, s20, v31, 0
	v_lshlrev_b32_e32 v8, 16, v8
	v_and_b32_e32 v7, 0xffff, v7
	v_or3_b32 v4, 0, 0, v4
	v_or3_b32 v7, v8, v7, 0
	;; [unrolled: 1-line block ×3, first 2 shown]
	ds_write2_b64 v19, v[4:5], v[6:7] offset0:128 offset1:160
	s_waitcnt vmcnt(1)
	v_fma_mixlo_f16 v4, s20, v32, 0
	v_fma_mixlo_f16 v5, s20, v33, 0
	v_lshlrev_b32_e32 v5, 16, v5
	v_and_b32_e32 v4, 0xffff, v4
	v_or_b32_e32 v4, v5, v4
	v_fma_mixlo_f16 v5, s20, v34, 0
	v_fma_mixlo_f16 v6, s20, v35, 0
	v_lshlrev_b32_e32 v6, 16, v6
	v_and_b32_e32 v5, 0xffff, v5
	v_or3_b32 v5, v6, v5, 0
	s_waitcnt vmcnt(0)
	v_fma_mixlo_f16 v6, s20, v36, 0
	v_fma_mixlo_f16 v7, s20, v37, 0
	v_lshlrev_b32_e32 v7, 16, v7
	v_and_b32_e32 v6, 0xffff, v6
	v_or_b32_e32 v6, v7, v6
	v_fma_mixlo_f16 v7, s20, v38, 0
	v_fma_mixlo_f16 v8, s20, v39, 0
	v_lshlrev_b32_e32 v8, 16, v8
	v_and_b32_e32 v7, 0xffff, v7
	v_or3_b32 v4, 0, 0, v4
	v_or3_b32 v7, v8, v7, 0
	;; [unrolled: 1-line block ×3, first 2 shown]
	ds_write2_b64 v19, v[4:5], v[6:7] offset0:192 offset1:224
	s_waitcnt lgkmcnt(0)
	s_barrier
	s_cbranch_scc1 .LBB71_4
; %bb.3:
	s_load_dword s4, s[0:1], 0xd0
	s_mov_b32 s5, 0
	s_waitcnt lgkmcnt(0)
	s_mul_i32 s4, s4, s33
	s_add_i32 s4, s4, s2
	s_lshl_b64 s[4:5], s[4:5], 2
	s_add_u32 s4, s14, s4
	s_addc_u32 s5, s15, s5
	s_load_dword s30, s[4:5], 0x0
.LBB71_4:
	s_lshl_b32 s2, s3, 6
	s_waitcnt lgkmcnt(0)
	s_cmp_lt_i32 s2, s30
	v_mbcnt_lo_u32_b32 v4, -1, 0
	s_cbranch_scc1 .LBB71_43
; %bb.5:
	v_mbcnt_hi_u32_b32 v21, -1, v4
	v_and_b32_e32 v5, 0x60, v21
	v_add_u32_e32 v70, 32, v5
	v_xor_b32_e32 v72, 16, v21
	v_xor_b32_e32 v75, 8, v21
	;; [unrolled: 1-line block ×5, first 2 shown]
	v_lshlrev_b32_e32 v19, 2, v18
	s_cbranch_execz .LBB71_44
; %bb.6:
	v_mov_b32_e32 v9, 0
	v_mov_b32_e32 v36, 0
	;; [unrolled: 1-line block ×32, first 2 shown]
.LBB71_7:
	v_cmp_lt_i32_e32 vcc, v72, v70
	s_cmp_lg_u64 s[12:13], 0
	s_cselect_b64 s[4:5], -1, 0
	v_cndmask_b32_e32 v16, v21, v72, vcc
	v_lshlrev_b32_e32 v24, 2, v16
	ds_bpermute_b32 v22, v24, v12
	ds_bpermute_b32 v23, v24, v13
	v_cmp_lt_i32_e32 vcc, v75, v70
	ds_bpermute_b32 v16, v24, v14
	ds_bpermute_b32 v17, v24, v15
	v_cndmask_b32_e32 v20, v21, v75, vcc
	v_lshlrev_b32_e32 v28, 2, v20
	s_waitcnt lgkmcnt(2)
	v_pk_add_f32 v[12:13], v[12:13], v[22:23]
	ds_bpermute_b32 v22, v28, v12
	ds_bpermute_b32 v23, v28, v13
	v_cmp_lt_i32_e32 vcc, v74, v70
	ds_bpermute_b32 v27, v24, v9
	s_waitcnt lgkmcnt(3)
	v_pk_add_f32 v[14:15], v[14:15], v[16:17]
	v_cndmask_b32_e32 v20, v21, v74, vcc
	v_cmp_lt_i32_e32 vcc, v73, v70
	v_lshlrev_b32_e32 v29, 2, v20
	s_waitcnt lgkmcnt(1)
	v_pk_add_f32 v[12:13], v[12:13], v[22:23]
	v_cndmask_b32_e32 v20, v21, v73, vcc
	v_cmp_lt_i32_e32 vcc, v71, v70
	v_lshlrev_b32_e32 v30, 2, v20
	ds_bpermute_b32 v20, v29, v12
	v_cndmask_b32_e32 v26, v21, v71, vcc
	ds_bpermute_b32 v21, v29, v13
	v_lshlrev_b32_e32 v31, 2, v26
	ds_bpermute_b32 v26, v24, v8
	ds_bpermute_b32 v16, v28, v14
	;; [unrolled: 1-line block ×3, first 2 shown]
	s_waitcnt lgkmcnt(3)
	v_pk_add_f32 v[12:13], v[12:13], v[20:21]
	ds_bpermute_b32 v20, v24, v10
	ds_bpermute_b32 v21, v24, v11
	s_waitcnt lgkmcnt(4)
	v_pk_add_f32 v[8:9], v[8:9], v[26:27]
	ds_bpermute_b32 v26, v28, v8
	ds_bpermute_b32 v27, v28, v9
	;; [unrolled: 1-line block ×3, first 2 shown]
	s_waitcnt lgkmcnt(3)
	v_pk_add_f32 v[10:11], v[10:11], v[20:21]
	ds_bpermute_b32 v20, v28, v10
	ds_bpermute_b32 v21, v28, v11
	;; [unrolled: 1-line block ×3, first 2 shown]
	v_pk_add_f32 v[14:15], v[14:15], v[16:17]
	s_waitcnt lgkmcnt(4)
	v_pk_add_f32 v[8:9], v[8:9], v[26:27]
	ds_bpermute_b32 v16, v29, v14
	s_waitcnt lgkmcnt(2)
	v_pk_add_f32 v[10:11], v[10:11], v[20:21]
	ds_bpermute_b32 v17, v29, v15
	s_waitcnt lgkmcnt(2)
	v_pk_add_f32 v[12:13], v[12:13], v[22:23]
	ds_bpermute_b32 v20, v29, v10
	ds_bpermute_b32 v21, v29, v11
	ds_bpermute_b32 v22, v29, v8
	ds_bpermute_b32 v23, v29, v9
	s_waitcnt lgkmcnt(4)
	v_pk_add_f32 v[14:15], v[14:15], v[16:17]
	ds_bpermute_b32 v16, v30, v14
	s_waitcnt lgkmcnt(3)
	v_pk_add_f32 v[10:11], v[10:11], v[20:21]
	ds_bpermute_b32 v17, v30, v15
	s_waitcnt lgkmcnt(2)
	v_pk_add_f32 v[8:9], v[8:9], v[22:23]
	ds_bpermute_b32 v20, v30, v10
	ds_bpermute_b32 v21, v30, v11
	ds_bpermute_b32 v22, v30, v8
	ds_bpermute_b32 v23, v30, v9
	;; [unrolled: 12-line block ×3, first 2 shown]
	ds_bpermute_b32 v30, v31, v8
	ds_bpermute_b32 v31, v31, v9
	s_cmp_eq_u32 s3, 0
	s_cselect_b64 s[6:7], -1, 0
	s_and_b64 s[4:5], s[6:7], s[4:5]
	s_waitcnt lgkmcnt(6)
	v_pk_add_f32 v[28:29], v[14:15], v[16:17]
	s_waitcnt lgkmcnt(4)
	v_pk_add_f32 v[26:27], v[12:13], v[26:27]
	;; [unrolled: 2-line block ×4, first 2 shown]
	s_and_b64 vcc, exec, s[4:5]
	s_cbranch_vccz .LBB71_9
; %bb.8:
	s_ashr_i32 s29, s28, 31
	s_lshl_b64 s[4:5], s[28:29], 2
	s_add_u32 s4, s12, s4
	s_addc_u32 s5, s13, s5
	v_mov_b32_e32 v8, 0
	global_load_dwordx4 v[46:49], v8, s[4:5]
	global_load_dwordx4 v[14:17], v8, s[4:5] offset:16
	v_max_f32_e32 v8, v0, v0
	v_max_f32_e32 v9, v1, v1
	;; [unrolled: 1-line block ×3, first 2 shown]
	s_mov_b32 s5, 0x3fb8aa3b
	s_mov_b32 s2, 0xc2ce8ed0
	;; [unrolled: 1-line block ×3, first 2 shown]
	v_mov_b32_e32 v24, 0x7f800000
	s_waitcnt vmcnt(1)
	v_max_f32_e32 v11, v46, v46
	v_max_f32_e32 v8, v8, v11
	;; [unrolled: 1-line block ×4, first 2 shown]
	v_sub_f32_e32 v0, v0, v8
	v_max_f32_e32 v9, v9, v12
	v_max_f32_e32 v10, v10, v13
	v_sub_f32_e32 v11, v46, v8
	v_mul_f32_e32 v30, 0x3fb8aa3b, v0
	v_sub_f32_e32 v1, v1, v9
	v_sub_f32_e32 v12, v47, v9
	;; [unrolled: 1-line block ×3, first 2 shown]
	v_mul_f32_e32 v31, 0x3fb8aa3b, v11
	v_fma_f32 v47, v0, s5, -v30
	v_rndne_f32_e32 v48, v30
	v_mul_f32_e32 v42, 0x3fb8aa3b, v1
	v_fma_f32 v50, v11, s5, -v31
	v_rndne_f32_e32 v51, v31
	v_fmac_f32_e32 v47, 0x32a5705f, v0
	v_sub_f32_e32 v30, v30, v48
	v_mul_f32_e32 v43, 0x3fb8aa3b, v12
	v_fma_f32 v52, v1, s5, -v42
	v_rndne_f32_e32 v58, v42
	v_fmac_f32_e32 v50, 0x32a5705f, v11
	v_sub_f32_e32 v31, v31, v51
	v_add_f32_e32 v30, v30, v47
	v_fma_f32 v59, v12, s5, -v43
	v_rndne_f32_e32 v60, v43
	v_cvt_i32_f32_e32 v48, v48
	v_fmac_f32_e32 v52, 0x32a5705f, v1
	v_sub_f32_e32 v42, v42, v58
	v_add_f32_e32 v31, v31, v50
	v_exp_f32_e32 v30, v30
	v_cvt_i32_f32_e32 v51, v51
	v_fmac_f32_e32 v59, 0x32a5705f, v12
	v_sub_f32_e32 v43, v43, v60
	v_add_f32_e32 v42, v42, v52
	v_exp_f32_e32 v31, v31
	v_cvt_i32_f32_e32 v58, v58
	v_add_f32_e32 v43, v43, v59
	v_exp_f32_e32 v42, v42
	v_cvt_i32_f32_e32 v60, v60
	v_exp_f32_e32 v43, v43
	v_ldexp_f32 v30, v30, v48
	v_cmp_ngt_f32_e32 vcc, s2, v0
	v_sub_f32_e32 v2, v2, v10
	v_ldexp_f32 v31, v31, v51
	v_cndmask_b32_e32 v30, 0, v30, vcc
	v_cmp_ngt_f32_e32 vcc, s2, v11
	v_mul_f32_e32 v45, 0x3fb8aa3b, v2
	v_ldexp_f32 v42, v42, v58
	v_cndmask_b32_e32 v31, 0, v31, vcc
	v_cmp_ngt_f32_e32 vcc, s2, v1
	v_fma_f32 v61, v2, s5, -v45
	v_rndne_f32_e32 v62, v45
	v_ldexp_f32 v43, v43, v60
	v_cndmask_b32_e32 v42, 0, v42, vcc
	v_cmp_ngt_f32_e32 vcc, s2, v12
	v_mul_f32_e32 v46, 0x3fb8aa3b, v13
	v_fmac_f32_e32 v61, 0x32a5705f, v2
	v_sub_f32_e32 v45, v45, v62
	v_cndmask_b32_e32 v43, 0, v43, vcc
	v_cmp_nlt_f32_e32 vcc, s4, v0
	v_fma_f32 v63, v13, s5, -v46
	v_rndne_f32_e32 v64, v46
	v_add_f32_e32 v45, v45, v61
	v_cndmask_b32_e32 v0, v24, v30, vcc
	v_cvt_i32_f32_e32 v62, v62
	v_fmac_f32_e32 v63, 0x32a5705f, v13
	v_sub_f32_e32 v46, v46, v64
	v_exp_f32_e32 v45, v45
	v_cmp_nlt_f32_e32 vcc, s4, v11
	v_cvt_f16_f32_e32 v11, v0
	v_add_f32_e32 v46, v46, v63
	v_cvt_i32_f32_e32 v64, v64
	v_exp_f32_e32 v46, v46
	v_cndmask_b32_e32 v30, v24, v31, vcc
	v_cmp_nlt_f32_e32 vcc, s4, v1
	v_ldexp_f32 v45, v45, v62
	v_mul_u32_u24_e32 v11, 0x10001, v11
	v_cndmask_b32_e32 v1, v24, v42, vcc
	v_cmp_nlt_f32_e32 vcc, s4, v12
	v_cvt_f16_f32_e32 v42, v1
	v_pk_mul_f16 v36, v36, v11
	v_cndmask_b32_e32 v31, v24, v43, vcc
	v_cmp_ngt_f32_e32 vcc, s2, v2
	v_pk_mul_f16 v37, v37, v11
	v_mul_u32_u24_e32 v12, 0x10001, v42
	v_cndmask_b32_e32 v11, 0, v45, vcc
	v_cmp_nlt_f32_e32 vcc, s4, v2
	v_pk_mul_f16 v32, v32, v12
	v_pk_mul_f16 v34, v34, v12
	v_cndmask_b32_e32 v2, v24, v11, vcc
	v_ldexp_f32 v11, v46, v64
	v_cmp_ngt_f32_e32 vcc, s2, v13
	v_cvt_f16_f32_e32 v12, v2
	v_pk_fma_f32 v[28:29], v[28:29], v[0:1], v[30:31]
	v_cndmask_b32_e32 v11, 0, v11, vcc
	v_cmp_nlt_f32_e32 vcc, s4, v13
	v_max_f32_e32 v13, v3, v3
	v_mul_u32_u24_e32 v12, 0x10001, v12
	v_cndmask_b32_e32 v42, v24, v11, vcc
	v_max_f32_e32 v11, v49, v49
	v_max_f32_e32 v11, v13, v11
	v_sub_f32_e32 v3, v3, v11
	v_mul_f32_e32 v13, 0x3fb8aa3b, v3
	v_fma_f32 v43, v3, s5, -v13
	v_rndne_f32_e32 v45, v13
	v_fmac_f32_e32 v43, 0x32a5705f, v3
	v_sub_f32_e32 v13, v13, v45
	v_add_f32_e32 v13, v13, v43
	v_exp_f32_e32 v13, v13
	v_cvt_i32_f32_e32 v43, v45
	v_pk_mul_f16 v33, v33, v12
	v_pk_mul_f16 v35, v35, v12
	v_cmp_ngt_f32_e32 vcc, s2, v3
	v_ldexp_f32 v12, v13, v43
	v_sub_f32_e32 v13, v49, v11
	v_mul_f32_e32 v43, 0x3fb8aa3b, v13
	v_fma_f32 v45, v13, s5, -v43
	v_rndne_f32_e32 v46, v43
	v_fmac_f32_e32 v45, 0x32a5705f, v13
	v_sub_f32_e32 v43, v43, v46
	v_add_f32_e32 v43, v43, v45
	v_exp_f32_e32 v43, v43
	v_cvt_i32_f32_e32 v45, v46
	v_cndmask_b32_e32 v12, 0, v12, vcc
	v_cmp_nlt_f32_e32 vcc, s4, v3
	s_nop 1
	v_cndmask_b32_e32 v3, v24, v12, vcc
	v_ldexp_f32 v12, v43, v45
	v_cmp_ngt_f32_e32 vcc, s2, v13
	v_max_f32_e32 v45, v4, v4
	s_nop 0
	v_cndmask_b32_e32 v12, 0, v12, vcc
	v_cmp_nlt_f32_e32 vcc, s4, v13
	v_cvt_f16_f32_e32 v13, v3
	v_mul_u32_u24_e32 v13, 0x10001, v13
	v_cndmask_b32_e32 v43, v24, v12, vcc
	s_waitcnt vmcnt(0)
	v_max_f32_e32 v12, v14, v14
	v_max_f32_e32 v12, v45, v12
	v_sub_f32_e32 v4, v4, v12
	v_mul_f32_e32 v45, 0x3fb8aa3b, v4
	v_fma_f32 v46, v4, s5, -v45
	v_rndne_f32_e32 v47, v45
	v_fmac_f32_e32 v46, 0x32a5705f, v4
	v_sub_f32_e32 v45, v45, v47
	v_add_f32_e32 v45, v45, v46
	v_exp_f32_e32 v45, v45
	v_cvt_i32_f32_e32 v46, v47
	v_sub_f32_e32 v14, v14, v12
	v_pk_mul_f16 v38, v38, v13
	v_pk_mul_f16 v40, v40, v13
	v_ldexp_f32 v13, v45, v46
	v_mul_f32_e32 v45, 0x3fb8aa3b, v14
	v_fma_f32 v46, v14, s5, -v45
	v_rndne_f32_e32 v47, v45
	v_fmac_f32_e32 v46, 0x32a5705f, v14
	v_sub_f32_e32 v45, v45, v47
	v_add_f32_e32 v45, v45, v46
	v_exp_f32_e32 v45, v45
	v_cvt_i32_f32_e32 v46, v47
	v_cmp_ngt_f32_e32 vcc, s2, v4
	v_pk_fma_f32 v[26:27], v[26:27], v[2:3], v[42:43]
	s_nop 0
	v_cndmask_b32_e32 v13, 0, v13, vcc
	v_cmp_nlt_f32_e32 vcc, s4, v4
	s_nop 1
	v_cndmask_b32_e32 v4, v24, v13, vcc
	v_ldexp_f32 v13, v45, v46
	v_cmp_ngt_f32_e32 vcc, s2, v14
	v_max_f32_e32 v45, v5, v5
	s_nop 0
	v_cndmask_b32_e32 v13, 0, v13, vcc
	v_cmp_nlt_f32_e32 vcc, s4, v14
	v_cvt_f16_f32_e32 v14, v4
	v_mul_u32_u24_e32 v14, 0x10001, v14
	v_cndmask_b32_e32 v46, v24, v13, vcc
	v_max_f32_e32 v13, v15, v15
	v_max_f32_e32 v13, v45, v13
	v_sub_f32_e32 v5, v5, v13
	v_mul_f32_e32 v45, 0x3fb8aa3b, v5
	v_fma_f32 v47, v5, s5, -v45
	v_rndne_f32_e32 v48, v45
	v_fmac_f32_e32 v47, 0x32a5705f, v5
	v_sub_f32_e32 v45, v45, v48
	v_add_f32_e32 v45, v45, v47
	v_exp_f32_e32 v45, v45
	v_cvt_i32_f32_e32 v47, v48
	v_sub_f32_e32 v15, v15, v13
	v_pk_mul_f16 v39, v39, v14
	v_pk_mul_f16 v41, v41, v14
	v_ldexp_f32 v14, v45, v47
	v_mul_f32_e32 v45, 0x3fb8aa3b, v15
	v_fma_f32 v47, v15, s5, -v45
	v_rndne_f32_e32 v48, v45
	v_fmac_f32_e32 v47, 0x32a5705f, v15
	v_sub_f32_e32 v45, v45, v48
	v_add_f32_e32 v45, v45, v47
	v_exp_f32_e32 v45, v45
	v_cvt_i32_f32_e32 v47, v48
	v_cmp_ngt_f32_e32 vcc, s2, v5
	s_nop 1
	v_cndmask_b32_e32 v14, 0, v14, vcc
	v_cmp_nlt_f32_e32 vcc, s4, v5
	s_nop 1
	v_cndmask_b32_e32 v5, v24, v14, vcc
	v_ldexp_f32 v14, v45, v47
	v_cmp_ngt_f32_e32 vcc, s2, v15
	v_max_f32_e32 v45, v6, v6
	s_nop 0
	v_cndmask_b32_e32 v14, 0, v14, vcc
	v_cmp_nlt_f32_e32 vcc, s4, v15
	v_cvt_f16_f32_e32 v15, v5
	v_mul_u32_u24_e32 v15, 0x10001, v15
	v_cndmask_b32_e32 v47, v24, v14, vcc
	v_max_f32_e32 v14, v16, v16
	v_max_f32_e32 v14, v45, v14
	v_sub_f32_e32 v6, v6, v14
	v_mul_f32_e32 v45, 0x3fb8aa3b, v6
	v_fma_f32 v48, v6, s5, -v45
	v_rndne_f32_e32 v49, v45
	v_fmac_f32_e32 v48, 0x32a5705f, v6
	v_sub_f32_e32 v45, v45, v49
	v_add_f32_e32 v45, v45, v48
	v_exp_f32_e32 v45, v45
	v_cvt_i32_f32_e32 v48, v49
	v_sub_f32_e32 v16, v16, v14
	v_pk_mul_f16 v56, v56, v15
	v_pk_mul_f16 v57, v57, v15
	v_ldexp_f32 v15, v45, v48
	v_mul_f32_e32 v45, 0x3fb8aa3b, v16
	v_fma_f32 v48, v16, s5, -v45
	v_rndne_f32_e32 v49, v45
	v_fmac_f32_e32 v48, 0x32a5705f, v16
	v_sub_f32_e32 v45, v45, v49
	v_add_f32_e32 v45, v45, v48
	v_exp_f32_e32 v45, v45
	v_cvt_i32_f32_e32 v48, v49
	v_cmp_ngt_f32_e32 vcc, s2, v6
	v_pk_fma_f32 v[22:23], v[22:23], v[4:5], v[46:47]
	s_nop 0
	v_cndmask_b32_e32 v15, 0, v15, vcc
	v_cmp_nlt_f32_e32 vcc, s4, v6
	s_nop 1
	v_cndmask_b32_e32 v6, v24, v15, vcc
	v_ldexp_f32 v15, v45, v48
	v_cmp_ngt_f32_e32 vcc, s2, v16
	v_max_f32_e32 v48, v7, v7
	v_cvt_f16_f32_e32 v45, v6
	v_cndmask_b32_e32 v15, 0, v15, vcc
	v_cmp_nlt_f32_e32 vcc, s4, v16
	v_mul_u32_u24_e32 v45, 0x10001, v45
	s_nop 0
	v_cndmask_b32_e32 v16, v24, v15, vcc
	v_max_f32_e32 v15, v17, v17
	v_max_f32_e32 v15, v48, v15
	v_sub_f32_e32 v7, v7, v15
	v_mul_f32_e32 v48, 0x3fb8aa3b, v7
	v_fma_f32 v49, v7, s5, -v48
	v_rndne_f32_e32 v50, v48
	v_fmac_f32_e32 v49, 0x32a5705f, v7
	v_sub_f32_e32 v48, v48, v50
	v_add_f32_e32 v48, v48, v49
	v_exp_f32_e32 v48, v48
	v_cvt_i32_f32_e32 v49, v50
	v_sub_f32_e32 v17, v17, v15
	v_pk_mul_f16 v54, v54, v45
	v_pk_mul_f16 v55, v55, v45
	v_ldexp_f32 v45, v48, v49
	v_mul_f32_e32 v48, 0x3fb8aa3b, v17
	v_fma_f32 v49, v17, s5, -v48
	v_rndne_f32_e32 v50, v48
	v_fmac_f32_e32 v49, 0x32a5705f, v17
	v_sub_f32_e32 v48, v48, v50
	v_add_f32_e32 v48, v48, v49
	v_exp_f32_e32 v48, v48
	v_cvt_i32_f32_e32 v49, v50
	v_cmp_ngt_f32_e32 vcc, s2, v7
	s_nop 1
	v_cndmask_b32_e32 v45, 0, v45, vcc
	v_cmp_nlt_f32_e32 vcc, s4, v7
	s_nop 1
	v_cndmask_b32_e32 v7, v24, v45, vcc
	v_ldexp_f32 v45, v48, v49
	v_cvt_f16_f32_e32 v48, v7
	v_cmp_ngt_f32_e32 vcc, s2, v17
	s_nop 1
	v_cndmask_b32_e32 v45, 0, v45, vcc
	v_cmp_nlt_f32_e32 vcc, s4, v17
	s_nop 1
	v_cndmask_b32_e32 v17, v24, v45, vcc
	v_mul_u32_u24_e32 v24, 0x10001, v48
	v_pk_fma_f32 v[20:21], v[20:21], v[6:7], v[16:17]
	v_mov_b64_e32 v[0:1], v[8:9]
	v_pk_mul_f16 v53, v53, v24
	v_pk_mul_f16 v25, v25, v24
	v_mov_b64_e32 v[2:3], v[10:11]
	v_mov_b64_e32 v[4:5], v[12:13]
	;; [unrolled: 1-line block ×3, first 2 shown]
.LBB71_9:
	v_cmp_gt_i32_e32 vcc, s22, v44
	s_and_saveexec_b64 s[4:5], vcc
	s_cbranch_execz .LBB71_42
; %bb.10:
	s_load_dword s8, s[0:1], 0xd4
	v_mov_b32_e32 v10, 1.0
	s_waitcnt lgkmcnt(0)
	s_cmp_lg_u32 s8, 1
	s_cselect_b64 s[0:1], -1, 0
	s_cmp_eq_u32 s8, 1
	s_cselect_b64 s[6:7], -1, 0
	s_and_b64 vcc, exec, s[0:1]
	s_cbranch_vccnz .LBB71_12
; %bb.11:
	v_div_scale_f32 v8, s[4:5], v28, v28, 1.0
	v_rcp_f32_e32 v9, v8
	v_div_scale_f32 v10, vcc, 1.0, v28, 1.0
	v_fma_f32 v11, -v8, v9, 1.0
	v_fmac_f32_e32 v9, v11, v9
	v_mul_f32_e32 v11, v10, v9
	v_fma_f32 v12, -v8, v11, v10
	v_fmac_f32_e32 v11, v12, v9
	v_fma_f32 v8, -v8, v11, v10
	v_div_fmas_f32 v8, v8, v9, v11
	v_div_fixup_f32 v10, v8, v28, 1.0
.LBB71_12:
	s_mul_i32 s33, s33, s22
	v_add_u32_e32 v8, s33, v44
	v_mul_lo_u32 v8, v8, s23
	v_add_u32_e32 v8, s28, v8
	v_cvt_f32_f16_sdwa v15, v36 dst_sel:DWORD dst_unused:UNUSED_PAD src0_sel:WORD_1
	v_cvt_f32_f16_e32 v14, v36
	v_cvt_f32_f16_sdwa v17, v37 dst_sel:DWORD dst_unused:UNUSED_PAD src0_sel:WORD_1
	v_cvt_f32_f16_e32 v16, v37
	v_mul_lo_u32 v8, s8, v8
	v_add_u32_e32 v8, s3, v8
	v_cmp_eq_u32_e32 vcc, 0, v18
	v_lshl_add_u32 v12, v8, 7, v19
	v_mov_b32_e32 v13, 0
	s_and_b64 s[4:5], vcc, s[0:1]
	v_lshl_add_u64 v[30:31], v[12:13], 2, s[16:17]
	v_pk_mul_f32 v[12:13], v[10:11], v[14:15] op_sel_hi:[0,1]
	v_pk_mul_f32 v[14:15], v[10:11], v[16:17] op_sel_hi:[0,1]
	global_store_dwordx4 v[30:31], v[12:15], off
	s_and_saveexec_b64 s[0:1], s[4:5]
	s_cbranch_execz .LBB71_14
; %bb.13:
	v_ashrrev_i32_e32 v9, 31, v8
	v_lshl_add_u64 v[10:11], v[8:9], 3, s[18:19]
	v_mov_b32_e32 v12, v0
	v_mov_b32_e32 v13, v28
	global_store_dwordx2 v[10:11], v[12:13], off
.LBB71_14:
	s_or_b64 exec, exec, s[0:1]
	v_cndmask_b32_e64 v0, 0, 1, s[6:7]
	v_cmp_ne_u32_e64 s[0:1], 1, v0
	s_andn2_b64 vcc, exec, s[6:7]
	v_mov_b32_e32 v0, 1.0
	s_cbranch_vccnz .LBB71_16
; %bb.15:
	v_div_scale_f32 v0, s[2:3], v29, v29, 1.0
	v_rcp_f32_e32 v9, v0
	v_div_scale_f32 v10, vcc, 1.0, v29, 1.0
	v_fma_f32 v11, -v0, v9, 1.0
	v_fmac_f32_e32 v9, v11, v9
	v_mul_f32_e32 v11, v10, v9
	v_fma_f32 v12, -v0, v11, v10
	v_fmac_f32_e32 v11, v12, v9
	v_fma_f32 v0, -v0, v11, v10
	v_div_fmas_f32 v0, v0, v9, v11
	v_div_fixup_f32 v0, v0, v29, 1.0
.LBB71_16:
	v_cvt_f32_f16_sdwa v13, v32 dst_sel:DWORD dst_unused:UNUSED_PAD src0_sel:WORD_1
	v_cvt_f32_f16_e32 v12, v32
	v_cvt_f32_f16_sdwa v15, v34 dst_sel:DWORD dst_unused:UNUSED_PAD src0_sel:WORD_1
	v_cvt_f32_f16_e32 v14, v34
	v_add_u32_e32 v8, s8, v8
	v_lshl_add_u32 v10, v8, 7, v19
	v_mov_b32_e32 v11, 0
	v_lshl_add_u64 v[16:17], v[10:11], 2, s[16:17]
	v_pk_mul_f32 v[10:11], v[0:1], v[12:13] op_sel_hi:[0,1]
	v_pk_mul_f32 v[12:13], v[0:1], v[14:15] op_sel_hi:[0,1]
	global_store_dwordx4 v[16:17], v[10:13], off
	s_and_saveexec_b64 s[2:3], s[4:5]
	s_cbranch_execz .LBB71_18
; %bb.17:
	v_ashrrev_i32_e32 v9, 31, v8
	v_lshl_add_u64 v[10:11], v[8:9], 3, s[18:19]
	v_mov_b32_e32 v28, v1
	global_store_dwordx2 v[10:11], v[28:29], off
.LBB71_18:
	s_or_b64 exec, exec, s[2:3]
	s_and_b64 vcc, exec, s[0:1]
	v_mov_b32_e32 v10, 1.0
	s_cbranch_vccnz .LBB71_20
; %bb.19:
	v_div_scale_f32 v0, s[2:3], v26, v26, 1.0
	v_rcp_f32_e32 v1, v0
	v_div_scale_f32 v9, vcc, 1.0, v26, 1.0
	v_fma_f32 v10, -v0, v1, 1.0
	v_fmac_f32_e32 v1, v10, v1
	v_mul_f32_e32 v10, v9, v1
	v_fma_f32 v11, -v0, v10, v9
	v_fmac_f32_e32 v10, v11, v1
	v_fma_f32 v0, -v0, v10, v9
	v_div_fmas_f32 v0, v0, v1, v10
	v_div_fixup_f32 v10, v0, v26, 1.0
.LBB71_20:
	v_cvt_f32_f16_sdwa v13, v33 dst_sel:DWORD dst_unused:UNUSED_PAD src0_sel:WORD_1
	v_cvt_f32_f16_e32 v12, v33
	v_cvt_f32_f16_sdwa v15, v35 dst_sel:DWORD dst_unused:UNUSED_PAD src0_sel:WORD_1
	v_cvt_f32_f16_e32 v14, v35
	v_add_u32_e32 v0, s8, v8
	v_lshl_add_u32 v8, v0, 7, v19
	v_mov_b32_e32 v9, 0
	v_lshl_add_u64 v[16:17], v[8:9], 2, s[16:17]
	v_pk_mul_f32 v[8:9], v[10:11], v[12:13] op_sel_hi:[0,1]
	v_pk_mul_f32 v[10:11], v[10:11], v[14:15] op_sel_hi:[0,1]
	global_store_dwordx4 v[16:17], v[8:11], off
	s_and_saveexec_b64 s[2:3], s[4:5]
	s_cbranch_execz .LBB71_22
; %bb.21:
	v_ashrrev_i32_e32 v1, 31, v0
	v_lshl_add_u64 v[8:9], v[0:1], 3, s[18:19]
	v_mov_b32_e32 v10, v2
	v_mov_b32_e32 v11, v26
	global_store_dwordx2 v[8:9], v[10:11], off
.LBB71_22:
	s_or_b64 exec, exec, s[2:3]
	s_and_b64 vcc, exec, s[0:1]
	v_mov_b32_e32 v2, 1.0
	s_cbranch_vccnz .LBB71_24
; %bb.23:
	v_div_scale_f32 v1, s[2:3], v27, v27, 1.0
	v_rcp_f32_e32 v2, v1
	v_div_scale_f32 v8, vcc, 1.0, v27, 1.0
	v_fma_f32 v9, -v1, v2, 1.0
	v_fmac_f32_e32 v2, v9, v2
	v_mul_f32_e32 v9, v8, v2
	v_fma_f32 v10, -v1, v9, v8
	v_fmac_f32_e32 v9, v10, v2
	v_fma_f32 v1, -v1, v9, v8
	v_div_fmas_f32 v1, v1, v2, v9
	v_div_fixup_f32 v2, v1, v27, 1.0
.LBB71_24:
	v_cvt_f32_f16_sdwa v11, v38 dst_sel:DWORD dst_unused:UNUSED_PAD src0_sel:WORD_1
	v_cvt_f32_f16_e32 v10, v38
	v_cvt_f32_f16_sdwa v13, v40 dst_sel:DWORD dst_unused:UNUSED_PAD src0_sel:WORD_1
	v_cvt_f32_f16_e32 v12, v40
	v_add_u32_e32 v0, s8, v0
	v_lshl_add_u32 v8, v0, 7, v19
	v_mov_b32_e32 v9, 0
	v_lshl_add_u64 v[14:15], v[8:9], 2, s[16:17]
	v_pk_mul_f32 v[8:9], v[2:3], v[10:11] op_sel_hi:[0,1]
	v_pk_mul_f32 v[10:11], v[2:3], v[12:13] op_sel_hi:[0,1]
	global_store_dwordx4 v[14:15], v[8:11], off
	s_and_saveexec_b64 s[2:3], s[4:5]
	s_cbranch_execz .LBB71_26
; %bb.25:
	v_ashrrev_i32_e32 v1, 31, v0
	v_lshl_add_u64 v[8:9], v[0:1], 3, s[18:19]
	v_mov_b32_e32 v26, v3
	global_store_dwordx2 v[8:9], v[26:27], off
.LBB71_26:
	s_or_b64 exec, exec, s[2:3]
	s_and_b64 vcc, exec, s[0:1]
	v_mov_b32_e32 v2, 1.0
	s_cbranch_vccnz .LBB71_28
; %bb.27:
	v_div_scale_f32 v1, s[2:3], v22, v22, 1.0
	v_rcp_f32_e32 v2, v1
	v_div_scale_f32 v3, vcc, 1.0, v22, 1.0
	v_fma_f32 v8, -v1, v2, 1.0
	v_fmac_f32_e32 v2, v8, v2
	v_mul_f32_e32 v8, v3, v2
	v_fma_f32 v9, -v1, v8, v3
	v_fmac_f32_e32 v8, v9, v2
	v_fma_f32 v1, -v1, v8, v3
	v_div_fmas_f32 v1, v1, v2, v8
	v_div_fixup_f32 v2, v1, v22, 1.0
.LBB71_28:
	v_cvt_f32_f16_sdwa v11, v39 dst_sel:DWORD dst_unused:UNUSED_PAD src0_sel:WORD_1
	v_cvt_f32_f16_e32 v10, v39
	v_cvt_f32_f16_sdwa v13, v41 dst_sel:DWORD dst_unused:UNUSED_PAD src0_sel:WORD_1
	v_cvt_f32_f16_e32 v12, v41
	v_add_u32_e32 v0, s8, v0
	v_lshl_add_u32 v8, v0, 7, v19
	v_mov_b32_e32 v9, 0
	v_lshl_add_u64 v[14:15], v[8:9], 2, s[16:17]
	v_pk_mul_f32 v[8:9], v[2:3], v[10:11] op_sel_hi:[0,1]
	v_pk_mul_f32 v[10:11], v[2:3], v[12:13] op_sel_hi:[0,1]
	global_store_dwordx4 v[14:15], v[8:11], off
	s_and_saveexec_b64 s[2:3], s[4:5]
	s_cbranch_execz .LBB71_30
; %bb.29:
	v_ashrrev_i32_e32 v1, 31, v0
	v_lshl_add_u64 v[2:3], v[0:1], 3, s[18:19]
	v_mov_b32_e32 v8, v4
	v_mov_b32_e32 v9, v22
	global_store_dwordx2 v[2:3], v[8:9], off
.LBB71_30:
	s_or_b64 exec, exec, s[2:3]
	s_and_b64 vcc, exec, s[0:1]
	v_mov_b32_e32 v2, 1.0
	s_cbranch_vccnz .LBB71_32
; %bb.31:
	v_div_scale_f32 v1, s[2:3], v23, v23, 1.0
	v_rcp_f32_e32 v2, v1
	v_div_scale_f32 v3, vcc, 1.0, v23, 1.0
	v_fma_f32 v4, -v1, v2, 1.0
	v_fmac_f32_e32 v2, v4, v2
	v_mul_f32_e32 v4, v3, v2
	v_fma_f32 v8, -v1, v4, v3
	v_fmac_f32_e32 v4, v8, v2
	v_fma_f32 v1, -v1, v4, v3
	v_div_fmas_f32 v1, v1, v2, v4
	v_div_fixup_f32 v2, v1, v23, 1.0
.LBB71_32:
	v_cvt_f32_f16_sdwa v11, v56 dst_sel:DWORD dst_unused:UNUSED_PAD src0_sel:WORD_1
	v_cvt_f32_f16_e32 v10, v56
	v_cvt_f32_f16_sdwa v13, v57 dst_sel:DWORD dst_unused:UNUSED_PAD src0_sel:WORD_1
	v_cvt_f32_f16_e32 v12, v57
	v_add_u32_e32 v0, s8, v0
	v_lshl_add_u32 v8, v0, 7, v19
	v_mov_b32_e32 v9, 0
	v_lshl_add_u64 v[14:15], v[8:9], 2, s[16:17]
	v_pk_mul_f32 v[8:9], v[2:3], v[10:11] op_sel_hi:[0,1]
	v_pk_mul_f32 v[10:11], v[2:3], v[12:13] op_sel_hi:[0,1]
	global_store_dwordx4 v[14:15], v[8:11], off
	s_and_saveexec_b64 s[2:3], s[4:5]
	s_cbranch_execz .LBB71_34
; %bb.33:
	v_ashrrev_i32_e32 v1, 31, v0
	v_lshl_add_u64 v[2:3], v[0:1], 3, s[18:19]
	v_mov_b32_e32 v22, v5
	global_store_dwordx2 v[2:3], v[22:23], off
.LBB71_34:
	s_or_b64 exec, exec, s[2:3]
	s_and_b64 vcc, exec, s[0:1]
	v_mov_b32_e32 v2, 1.0
	s_cbranch_vccnz .LBB71_36
; %bb.35:
	v_div_scale_f32 v1, s[2:3], v20, v20, 1.0
	v_rcp_f32_e32 v2, v1
	v_div_scale_f32 v3, vcc, 1.0, v20, 1.0
	v_fma_f32 v4, -v1, v2, 1.0
	v_fmac_f32_e32 v2, v4, v2
	v_mul_f32_e32 v4, v3, v2
	v_fma_f32 v5, -v1, v4, v3
	v_fmac_f32_e32 v4, v5, v2
	v_fma_f32 v1, -v1, v4, v3
	v_div_fmas_f32 v1, v1, v2, v4
	v_div_fixup_f32 v2, v1, v20, 1.0
.LBB71_36:
	v_cvt_f32_f16_sdwa v9, v54 dst_sel:DWORD dst_unused:UNUSED_PAD src0_sel:WORD_1
	v_cvt_f32_f16_e32 v8, v54
	v_cvt_f32_f16_sdwa v11, v55 dst_sel:DWORD dst_unused:UNUSED_PAD src0_sel:WORD_1
	v_cvt_f32_f16_e32 v10, v55
	v_add_u32_e32 v0, s8, v0
	v_lshl_add_u32 v4, v0, 7, v19
	v_mov_b32_e32 v5, 0
	v_lshl_add_u64 v[4:5], v[4:5], 2, s[16:17]
	v_pk_mul_f32 v[8:9], v[2:3], v[8:9] op_sel_hi:[0,1]
	v_pk_mul_f32 v[10:11], v[2:3], v[10:11] op_sel_hi:[0,1]
	global_store_dwordx4 v[4:5], v[8:11], off
	s_and_saveexec_b64 s[2:3], s[4:5]
	s_cbranch_execz .LBB71_38
; %bb.37:
	v_ashrrev_i32_e32 v1, 31, v0
	v_lshl_add_u64 v[2:3], v[0:1], 3, s[18:19]
	v_mov_b32_e32 v4, v6
	v_mov_b32_e32 v5, v20
	global_store_dwordx2 v[2:3], v[4:5], off
.LBB71_38:
	s_or_b64 exec, exec, s[2:3]
	s_and_b64 vcc, exec, s[0:1]
	v_mov_b32_e32 v2, 1.0
	s_cbranch_vccnz .LBB71_40
; %bb.39:
	v_div_scale_f32 v1, s[0:1], v21, v21, 1.0
	v_rcp_f32_e32 v2, v1
	v_div_scale_f32 v3, vcc, 1.0, v21, 1.0
	v_fma_f32 v4, -v1, v2, 1.0
	v_fmac_f32_e32 v2, v4, v2
	v_mul_f32_e32 v4, v3, v2
	v_fma_f32 v5, -v1, v4, v3
	v_fmac_f32_e32 v4, v5, v2
	v_fma_f32 v1, -v1, v4, v3
	v_div_fmas_f32 v1, v1, v2, v4
	v_div_fixup_f32 v2, v1, v21, 1.0
.LBB71_40:
	v_cvt_f32_f16_sdwa v9, v53 dst_sel:DWORD dst_unused:UNUSED_PAD src0_sel:WORD_1
	v_cvt_f32_f16_e32 v8, v53
	v_cvt_f32_f16_sdwa v11, v25 dst_sel:DWORD dst_unused:UNUSED_PAD src0_sel:WORD_1
	v_cvt_f32_f16_e32 v10, v25
	v_add_u32_e32 v0, s8, v0
	v_lshl_add_u32 v4, v0, 7, v19
	v_mov_b32_e32 v5, 0
	v_lshl_add_u64 v[4:5], v[4:5], 2, s[16:17]
	v_pk_mul_f32 v[8:9], v[2:3], v[8:9] op_sel_hi:[0,1]
	v_pk_mul_f32 v[10:11], v[2:3], v[10:11] op_sel_hi:[0,1]
	global_store_dwordx4 v[4:5], v[8:11], off
	s_and_b64 exec, exec, s[4:5]
	s_cbranch_execz .LBB71_42
; %bb.41:
	v_ashrrev_i32_e32 v1, 31, v0
	v_lshl_add_u64 v[0:1], v[0:1], 3, s[18:19]
	v_mov_b32_e32 v20, v7
	global_store_dwordx2 v[0:1], v[20:21], off
.LBB71_42:
	s_endpgm
.LBB71_43:
                                        ; implicit-def: $vgpr21
                                        ; implicit-def: $vgpr70
                                        ; implicit-def: $vgpr72
                                        ; implicit-def: $vgpr75
                                        ; implicit-def: $vgpr74
                                        ; implicit-def: $vgpr73
                                        ; implicit-def: $vgpr71
	v_lshlrev_b32_e32 v19, 2, v18
.LBB71_44:
	s_sub_i32 s4, 0, s29
	s_mul_i32 s4, s4, s38
	s_mul_hi_u32 s4, s38, s4
	s_add_i32 s38, s38, s4
	s_load_dwordx4 s[24:27], s[0:1], 0x98
	s_load_dword s10, s[0:1], 0x54
	s_load_dwordx2 s[4:5], s[0:1], 0x8c
	s_abs_i32 s15, s28
	s_mul_hi_u32 s36, s15, s38
	s_waitcnt lgkmcnt(0)
	s_ashr_i32 s11, s26, 2
	s_ashr_i32 s26, s37, 1
	;; [unrolled: 1-line block ×4, first 2 shown]
	s_mul_hi_u32 s4, s24, s33
	s_mul_i32 s39, s24, s37
	s_add_i32 s4, s4, s39
	s_mul_i32 s25, s25, s33
	s_ashr_i32 s38, s28, 31
	s_ashr_i32 s31, s31, 31
	s_add_i32 s4, s4, s25
	s_mul_i32 s24, s24, s33
	s_add_u32 s6, s6, s24
	s_mul_i32 s24, s36, s29
	s_addc_u32 s7, s7, s4
	s_sub_i32 s15, s15, s24
	s_xor_b32 s4, s38, s31
	s_add_i32 s24, s36, 1
	s_sub_i32 s25, s15, s29
	s_cmp_ge_u32 s15, s29
	s_cselect_b32 s24, s24, s36
	s_cselect_b32 s15, s25, s15
	s_add_i32 s25, s24, 1
	s_cmp_ge_u32 s15, s29
	s_cselect_b32 s15, s25, s24
	s_load_dwordx2 s[20:21], s[0:1], 0xa8
	s_xor_b32 s15, s15, s4
	s_sub_i32 s15, s15, s4
	s_mul_i32 s4, s15, s5
	s_ashr_i32 s5, s4, 31
	s_add_u32 s4, s6, s4
	s_addc_u32 s5, s7, s5
	s_waitcnt lgkmcnt(0)
	s_mul_hi_u32 s6, s20, s33
	s_mul_i32 s7, s20, s37
	s_add_i32 s6, s6, s7
	s_mul_i32 s7, s21, s33
	s_add_i32 s6, s6, s7
	s_mul_i32 s7, s20, s33
	s_add_u32 s7, s8, s7
	s_mul_i32 s15, s15, s27
	s_addc_u32 s8, s9, s6
	s_ashr_i32 s9, s15, 31
	v_lshrrev_b32_e32 v5, 2, v18
	s_add_u32 s6, s7, s15
	v_lshl_add_u32 v5, v2, 3, v5
	v_and_b32_e32 v6, 12, v19
	s_addc_u32 s7, s8, s9
	v_mul_u32_u24_e32 v7, 0x50, v5
	v_lshlrev_b32_e32 v24, 2, v6
	s_movk_i32 s9, 0x6000
	v_mul_lo_u32 v6, s14, v5
	v_add3_u32 v46, v7, v24, s9
	v_ashrrev_i32_e32 v7, 31, v6
	v_lshl_add_u64 v[6:7], v[6:7], 2, s[4:5]
	v_mad_u64_u32 v[20:21], s[4:5], v3, s26, v[18:19]
	v_mov_b32_e32 v3, 0x4000
	v_lshl_add_u32 v48, v2, 10, v3
	v_lshrrev_b32_e32 v3, 4, v18
	v_mov_b32_e32 v25, 0
	v_lshl_add_u32 v2, v2, 1, v3
	v_and_b32_e32 v3, 60, v19
	v_lshl_add_u64 v[16:17], v[6:7], 0, v[24:25]
	v_lshlrev_b32_e32 v24, 2, v3
	v_lshl_or_b32 v3, v2, 8, v24
	v_mul_lo_u32 v2, s11, v2
	v_add_u32_e32 v49, 0x6000, v3
	v_ashrrev_i32_e32 v3, 31, v2
	s_movk_i32 s8, 0x50
	v_mov_b32_e32 v5, 0x6000
	v_lshl_add_u64 v[2:3], v[2:3], 2, s[6:7]
	s_add_u32 s4, s0, 0xd0
	v_mad_u32_u24 v47, v18, s8, v5
	v_lshl_add_u64 v[22:23], v[2:3], 0, v[24:25]
	v_or_b32_e32 v24, 0x6000, v1
	s_addc_u32 s5, s1, 0
	v_mov_b32_e32 v26, 0xfeffffff
	s_mov_b32 s8, 0x3f200000
	s_mov_b32 s9, 0x3fb8aa3b
	;; [unrolled: 1-line block ×4, first 2 shown]
	v_mov_b32_e32 v50, 0x3ca908c9
	s_brev_b32 s21, -2
	s_mov_b32 s24, 0x10001
	v_add_u32_e32 v51, v48, v0
	v_mov_b32_e32 v52, 0x7f800000
	v_mbcnt_hi_u32_b32 v21, -1, v4
	v_mov_b32_e32 v53, v25
	v_mov_b32_e32 v55, v25
	;; [unrolled: 1-line block ×30, first 2 shown]
                                        ; implicit-def: $vgpr1
                                        ; implicit-def: $vgpr1
	;; [unrolled: 1-line block ×3, first 2 shown]
.LBB71_45:                              ; =>This Inner Loop Header: Depth=1
	s_mul_hi_i32 s7, s2, s14
	s_mul_i32 s6, s2, s14
	v_lshl_add_u64 v[4:5], s[6:7], 2, v[16:17]
	global_load_dwordx4 v[0:3], v[4:5], off
	v_mov_b32_e32 v70, 0
	v_mov_b32_e32 v67, 0
	v_mov_b32_e32 v65, 0
	v_mov_b32_e32 v63, 0
	v_mov_b32_e32 v62, 0
	v_mov_b32_e32 v30, 0
	v_mov_b32_e32 v28, 0
	v_mov_b32_e32 v6, 0
	v_mov_b32_e32 v71, 0
	v_mov_b32_e32 v69, 0
	v_mov_b32_e32 v68, 0
	v_mov_b32_e32 v66, 0
	v_mov_b32_e32 v64, 0
	v_mov_b32_e32 v31, 0
	v_mov_b32_e32 v29, 0
	v_mov_b32_e32 v7, 0
	s_waitcnt vmcnt(0)
	ds_write_b128 v46, v[0:3]
	s_waitcnt lgkmcnt(0)
	s_barrier
	ds_read_b128 v[0:3], v47
	ds_read_b128 v[72:75], v47 offset:2560
	ds_read_b128 v[76:79], v45
	ds_read_b128 v[80:83], v45 offset:256
	ds_read_b128 v[84:87], v45 offset:512
	;; [unrolled: 1-line block ×7, first 2 shown]
	s_waitcnt lgkmcnt(7)
	;;#ASMSTART
	v_dot2_f32_f16 v70, v0, v76, v70
	;;#ASMEND
	s_nop 0
	;;#ASMSTART
	v_dot2_f32_f16 v70, v1, v77, v70
	;;#ASMEND
	s_nop 0
	;;#ASMSTART
	v_dot2_f32_f16 v70, v2, v78, v70
	;;#ASMEND
	s_nop 0
	;;#ASMSTART
	v_dot2_f32_f16 v70, v3, v79, v70
	;;#ASMEND
	s_waitcnt lgkmcnt(6)
	;;#ASMSTART
	v_dot2_f32_f16 v67, v0, v80, v67
	;;#ASMEND
	s_nop 0
	;;#ASMSTART
	v_dot2_f32_f16 v67, v1, v81, v67
	;;#ASMEND
	s_nop 0
	;;#ASMSTART
	v_dot2_f32_f16 v67, v2, v82, v67
	;;#ASMEND
	s_nop 0
	;;#ASMSTART
	v_dot2_f32_f16 v67, v3, v83, v67
	;;#ASMEND
	;; [unrolled: 16-line block ×8, first 2 shown]
	;;#ASMSTART
	v_dot2_f32_f16 v71, v72, v76, v71
	;;#ASMEND
	s_nop 0
	;;#ASMSTART
	v_dot2_f32_f16 v71, v73, v77, v71
	;;#ASMEND
	s_nop 0
	;;#ASMSTART
	v_dot2_f32_f16 v71, v74, v78, v71
	;;#ASMEND
	s_nop 0
	;;#ASMSTART
	v_dot2_f32_f16 v71, v75, v79, v71
	;;#ASMEND
	;;#ASMSTART
	v_dot2_f32_f16 v69, v72, v80, v69
	;;#ASMEND
	s_nop 0
	;;#ASMSTART
	v_dot2_f32_f16 v69, v73, v81, v69
	;;#ASMEND
	s_nop 0
	;;#ASMSTART
	v_dot2_f32_f16 v69, v74, v82, v69
	;;#ASMEND
	s_nop 0
	;;#ASMSTART
	v_dot2_f32_f16 v69, v75, v83, v69
	;;#ASMEND
	;; [unrolled: 15-line block ×8, first 2 shown]
	ds_read_b128 v[72:75], v47 offset:16
	ds_read_b128 v[0:3], v47 offset:2576
	;; [unrolled: 1-line block ×10, first 2 shown]
	s_waitcnt lgkmcnt(7)
	;;#ASMSTART
	v_dot2_f32_f16 v70, v72, v76, v70
	;;#ASMEND
	s_nop 0
	;;#ASMSTART
	v_dot2_f32_f16 v70, v73, v77, v70
	;;#ASMEND
	s_nop 0
	;;#ASMSTART
	v_dot2_f32_f16 v70, v74, v78, v70
	;;#ASMEND
	s_nop 0
	;;#ASMSTART
	v_dot2_f32_f16 v70, v75, v79, v70
	;;#ASMEND
	s_waitcnt lgkmcnt(6)
	;;#ASMSTART
	v_dot2_f32_f16 v67, v72, v80, v67
	;;#ASMEND
	s_nop 0
	;;#ASMSTART
	v_dot2_f32_f16 v67, v73, v81, v67
	;;#ASMEND
	s_nop 0
	;;#ASMSTART
	v_dot2_f32_f16 v67, v74, v82, v67
	;;#ASMEND
	s_nop 0
	;;#ASMSTART
	v_dot2_f32_f16 v67, v75, v83, v67
	;;#ASMEND
	;; [unrolled: 16-line block ×8, first 2 shown]
	;;#ASMSTART
	v_dot2_f32_f16 v71, v0, v76, v71
	;;#ASMEND
	s_nop 0
	;;#ASMSTART
	v_dot2_f32_f16 v71, v1, v77, v71
	;;#ASMEND
	s_nop 0
	;;#ASMSTART
	v_dot2_f32_f16 v71, v2, v78, v71
	;;#ASMEND
	s_nop 0
	;;#ASMSTART
	v_dot2_f32_f16 v71, v3, v79, v71
	;;#ASMEND
	;;#ASMSTART
	v_dot2_f32_f16 v69, v0, v80, v69
	;;#ASMEND
	s_nop 0
	;;#ASMSTART
	v_dot2_f32_f16 v69, v1, v81, v69
	;;#ASMEND
	s_nop 0
	;;#ASMSTART
	v_dot2_f32_f16 v69, v2, v82, v69
	;;#ASMEND
	s_nop 0
	;;#ASMSTART
	v_dot2_f32_f16 v69, v3, v83, v69
	;;#ASMEND
	;; [unrolled: 15-line block ×8, first 2 shown]
	ds_read_b128 v[72:75], v47 offset:32
	ds_read_b128 v[0:3], v47 offset:2592
	;; [unrolled: 1-line block ×10, first 2 shown]
	s_waitcnt lgkmcnt(7)
	;;#ASMSTART
	v_dot2_f32_f16 v70, v72, v76, v70
	;;#ASMEND
	s_nop 0
	;;#ASMSTART
	v_dot2_f32_f16 v70, v73, v77, v70
	;;#ASMEND
	s_nop 0
	;;#ASMSTART
	v_dot2_f32_f16 v70, v74, v78, v70
	;;#ASMEND
	s_nop 0
	;;#ASMSTART
	v_dot2_f32_f16 v70, v75, v79, v70
	;;#ASMEND
	s_waitcnt lgkmcnt(6)
	;;#ASMSTART
	v_dot2_f32_f16 v67, v72, v80, v67
	;;#ASMEND
	s_nop 0
	;;#ASMSTART
	v_dot2_f32_f16 v67, v73, v81, v67
	;;#ASMEND
	s_nop 0
	;;#ASMSTART
	v_dot2_f32_f16 v67, v74, v82, v67
	;;#ASMEND
	s_nop 0
	;;#ASMSTART
	v_dot2_f32_f16 v67, v75, v83, v67
	;;#ASMEND
	s_waitcnt lgkmcnt(5)
	;;#ASMSTART
	v_dot2_f32_f16 v65, v72, v84, v65
	;;#ASMEND
	s_nop 0
	;;#ASMSTART
	v_dot2_f32_f16 v65, v73, v85, v65
	;;#ASMEND
	s_nop 0
	;;#ASMSTART
	v_dot2_f32_f16 v65, v74, v86, v65
	;;#ASMEND
	s_nop 0
	;;#ASMSTART
	v_dot2_f32_f16 v65, v75, v87, v65
	;;#ASMEND
	s_waitcnt lgkmcnt(4)
	;;#ASMSTART
	v_dot2_f32_f16 v63, v72, v88, v63
	;;#ASMEND
	s_nop 0
	;;#ASMSTART
	v_dot2_f32_f16 v63, v73, v89, v63
	;;#ASMEND
	s_nop 0
	;;#ASMSTART
	v_dot2_f32_f16 v63, v74, v90, v63
	;;#ASMEND
	s_nop 0
	;;#ASMSTART
	v_dot2_f32_f16 v63, v75, v91, v63
	;;#ASMEND
	s_waitcnt lgkmcnt(3)
	;;#ASMSTART
	v_dot2_f32_f16 v62, v72, v92, v62
	;;#ASMEND
	s_nop 0
	;;#ASMSTART
	v_dot2_f32_f16 v62, v73, v93, v62
	;;#ASMEND
	s_nop 0
	;;#ASMSTART
	v_dot2_f32_f16 v62, v74, v94, v62
	;;#ASMEND
	s_nop 0
	;;#ASMSTART
	v_dot2_f32_f16 v62, v75, v95, v62
	;;#ASMEND
	s_waitcnt lgkmcnt(2)
	;;#ASMSTART
	v_dot2_f32_f16 v30, v72, v96, v30
	;;#ASMEND
	s_nop 0
	;;#ASMSTART
	v_dot2_f32_f16 v30, v73, v97, v30
	;;#ASMEND
	s_nop 0
	;;#ASMSTART
	v_dot2_f32_f16 v30, v74, v98, v30
	;;#ASMEND
	s_nop 0
	;;#ASMSTART
	v_dot2_f32_f16 v30, v75, v99, v30
	;;#ASMEND
	s_waitcnt lgkmcnt(1)
	;;#ASMSTART
	v_dot2_f32_f16 v28, v72, v100, v28
	;;#ASMEND
	s_nop 0
	;;#ASMSTART
	v_dot2_f32_f16 v28, v73, v101, v28
	;;#ASMEND
	s_nop 0
	;;#ASMSTART
	v_dot2_f32_f16 v28, v74, v102, v28
	;;#ASMEND
	s_nop 0
	;;#ASMSTART
	v_dot2_f32_f16 v28, v75, v103, v28
	;;#ASMEND
	s_waitcnt lgkmcnt(0)
	;;#ASMSTART
	v_dot2_f32_f16 v6, v72, v104, v6
	;;#ASMEND
	s_nop 0
	;;#ASMSTART
	v_dot2_f32_f16 v6, v73, v105, v6
	;;#ASMEND
	s_nop 0
	;;#ASMSTART
	v_dot2_f32_f16 v6, v74, v106, v6
	;;#ASMEND
	s_nop 0
	;;#ASMSTART
	v_dot2_f32_f16 v6, v75, v107, v6
	;;#ASMEND
	;;#ASMSTART
	v_dot2_f32_f16 v71, v0, v76, v71
	;;#ASMEND
	s_nop 0
	;;#ASMSTART
	v_dot2_f32_f16 v71, v1, v77, v71
	;;#ASMEND
	s_nop 0
	;;#ASMSTART
	v_dot2_f32_f16 v71, v2, v78, v71
	;;#ASMEND
	s_nop 0
	;;#ASMSTART
	v_dot2_f32_f16 v71, v3, v79, v71
	;;#ASMEND
	;;#ASMSTART
	v_dot2_f32_f16 v69, v0, v80, v69
	;;#ASMEND
	s_nop 0
	;;#ASMSTART
	v_dot2_f32_f16 v69, v1, v81, v69
	;;#ASMEND
	s_nop 0
	;;#ASMSTART
	v_dot2_f32_f16 v69, v2, v82, v69
	;;#ASMEND
	s_nop 0
	;;#ASMSTART
	v_dot2_f32_f16 v69, v3, v83, v69
	;;#ASMEND
	;; [unrolled: 15-line block ×8, first 2 shown]
	ds_read_b128 v[72:75], v47 offset:48
	ds_read_b128 v[0:3], v47 offset:2608
	ds_read_b128 v[76:79], v45 offset:48
	ds_read_b128 v[80:83], v45 offset:304
	ds_read_b128 v[84:87], v45 offset:560
	ds_read_b128 v[88:91], v45 offset:816
	ds_read_b128 v[92:95], v45 offset:1072
	ds_read_b128 v[96:99], v45 offset:1328
	ds_read_b128 v[100:103], v45 offset:1584
	ds_read_b128 v[104:107], v45 offset:1840
	s_waitcnt lgkmcnt(7)
	;;#ASMSTART
	v_dot2_f32_f16 v70, v72, v76, v70
	;;#ASMEND
	s_nop 0
	;;#ASMSTART
	v_dot2_f32_f16 v70, v73, v77, v70
	;;#ASMEND
	s_nop 0
	;;#ASMSTART
	v_dot2_f32_f16 v70, v74, v78, v70
	;;#ASMEND
	s_nop 0
	;;#ASMSTART
	v_dot2_f32_f16 v70, v75, v79, v70
	;;#ASMEND
	s_waitcnt lgkmcnt(6)
	;;#ASMSTART
	v_dot2_f32_f16 v67, v72, v80, v67
	;;#ASMEND
	s_nop 0
	;;#ASMSTART
	v_dot2_f32_f16 v67, v73, v81, v67
	;;#ASMEND
	s_nop 0
	;;#ASMSTART
	v_dot2_f32_f16 v67, v74, v82, v67
	;;#ASMEND
	s_nop 0
	;;#ASMSTART
	v_dot2_f32_f16 v67, v75, v83, v67
	;;#ASMEND
	s_waitcnt lgkmcnt(5)
	;;#ASMSTART
	v_dot2_f32_f16 v65, v72, v84, v65
	;;#ASMEND
	s_nop 0
	;;#ASMSTART
	v_dot2_f32_f16 v65, v73, v85, v65
	;;#ASMEND
	s_nop 0
	;;#ASMSTART
	v_dot2_f32_f16 v65, v74, v86, v65
	;;#ASMEND
	s_nop 0
	;;#ASMSTART
	v_dot2_f32_f16 v65, v75, v87, v65
	;;#ASMEND
	s_waitcnt lgkmcnt(4)
	;;#ASMSTART
	v_dot2_f32_f16 v63, v72, v88, v63
	;;#ASMEND
	s_nop 0
	;;#ASMSTART
	v_dot2_f32_f16 v63, v73, v89, v63
	;;#ASMEND
	s_nop 0
	;;#ASMSTART
	v_dot2_f32_f16 v63, v74, v90, v63
	;;#ASMEND
	s_nop 0
	;;#ASMSTART
	v_dot2_f32_f16 v63, v75, v91, v63
	;;#ASMEND
	s_waitcnt lgkmcnt(3)
	;;#ASMSTART
	v_dot2_f32_f16 v62, v72, v92, v62
	;;#ASMEND
	s_nop 0
	;;#ASMSTART
	v_dot2_f32_f16 v62, v73, v93, v62
	;;#ASMEND
	s_nop 0
	;;#ASMSTART
	v_dot2_f32_f16 v62, v74, v94, v62
	;;#ASMEND
	s_nop 0
	;;#ASMSTART
	v_dot2_f32_f16 v62, v75, v95, v62
	;;#ASMEND
	s_waitcnt lgkmcnt(2)
	;;#ASMSTART
	v_dot2_f32_f16 v30, v72, v96, v30
	;;#ASMEND
	s_nop 0
	;;#ASMSTART
	v_dot2_f32_f16 v30, v73, v97, v30
	;;#ASMEND
	s_nop 0
	;;#ASMSTART
	v_dot2_f32_f16 v30, v74, v98, v30
	;;#ASMEND
	s_nop 0
	;;#ASMSTART
	v_dot2_f32_f16 v30, v75, v99, v30
	;;#ASMEND
	s_waitcnt lgkmcnt(1)
	;;#ASMSTART
	v_dot2_f32_f16 v28, v72, v100, v28
	;;#ASMEND
	s_nop 0
	;;#ASMSTART
	v_dot2_f32_f16 v28, v73, v101, v28
	;;#ASMEND
	s_nop 0
	;;#ASMSTART
	v_dot2_f32_f16 v28, v74, v102, v28
	;;#ASMEND
	s_nop 0
	;;#ASMSTART
	v_dot2_f32_f16 v28, v75, v103, v28
	;;#ASMEND
	s_waitcnt lgkmcnt(0)
	;;#ASMSTART
	v_dot2_f32_f16 v6, v72, v104, v6
	;;#ASMEND
	s_nop 0
	;;#ASMSTART
	v_dot2_f32_f16 v6, v73, v105, v6
	;;#ASMEND
	s_nop 0
	;;#ASMSTART
	v_dot2_f32_f16 v6, v74, v106, v6
	;;#ASMEND
	s_nop 0
	;;#ASMSTART
	v_dot2_f32_f16 v6, v75, v107, v6
	;;#ASMEND
	;;#ASMSTART
	v_dot2_f32_f16 v71, v0, v76, v71
	;;#ASMEND
	s_nop 0
	;;#ASMSTART
	v_dot2_f32_f16 v71, v1, v77, v71
	;;#ASMEND
	s_nop 0
	;;#ASMSTART
	v_dot2_f32_f16 v71, v2, v78, v71
	;;#ASMEND
	s_nop 0
	;;#ASMSTART
	v_dot2_f32_f16 v71, v3, v79, v71
	;;#ASMEND
	;;#ASMSTART
	v_dot2_f32_f16 v69, v0, v80, v69
	;;#ASMEND
	s_nop 0
	;;#ASMSTART
	v_dot2_f32_f16 v69, v1, v81, v69
	;;#ASMEND
	s_nop 0
	;;#ASMSTART
	v_dot2_f32_f16 v69, v2, v82, v69
	;;#ASMEND
	s_nop 0
	;;#ASMSTART
	v_dot2_f32_f16 v69, v3, v83, v69
	;;#ASMEND
	;; [unrolled: 15-line block ×8, first 2 shown]
	s_barrier
	global_load_dwordx4 v[0:3], v[4:5], off offset:64
	s_waitcnt vmcnt(0)
	ds_write_b128 v46, v[0:3]
	s_waitcnt lgkmcnt(0)
	s_barrier
	ds_read_b128 v[72:75], v47
	ds_read_b128 v[0:3], v47 offset:2560
	ds_read_b128 v[76:79], v45 offset:64
	;; [unrolled: 1-line block ×9, first 2 shown]
	s_waitcnt lgkmcnt(7)
	;;#ASMSTART
	v_dot2_f32_f16 v70, v72, v76, v70
	;;#ASMEND
	s_nop 0
	;;#ASMSTART
	v_dot2_f32_f16 v70, v73, v77, v70
	;;#ASMEND
	s_nop 0
	;;#ASMSTART
	v_dot2_f32_f16 v70, v74, v78, v70
	;;#ASMEND
	s_nop 0
	;;#ASMSTART
	v_dot2_f32_f16 v70, v75, v79, v70
	;;#ASMEND
	s_waitcnt lgkmcnt(6)
	;;#ASMSTART
	v_dot2_f32_f16 v67, v72, v80, v67
	;;#ASMEND
	s_nop 0
	;;#ASMSTART
	v_dot2_f32_f16 v67, v73, v81, v67
	;;#ASMEND
	s_nop 0
	;;#ASMSTART
	v_dot2_f32_f16 v67, v74, v82, v67
	;;#ASMEND
	s_nop 0
	;;#ASMSTART
	v_dot2_f32_f16 v67, v75, v83, v67
	;;#ASMEND
	;; [unrolled: 16-line block ×8, first 2 shown]
	;;#ASMSTART
	v_dot2_f32_f16 v71, v0, v76, v71
	;;#ASMEND
	s_nop 0
	;;#ASMSTART
	v_dot2_f32_f16 v71, v1, v77, v71
	;;#ASMEND
	s_nop 0
	;;#ASMSTART
	v_dot2_f32_f16 v71, v2, v78, v71
	;;#ASMEND
	s_nop 0
	;;#ASMSTART
	v_dot2_f32_f16 v71, v3, v79, v71
	;;#ASMEND
	;;#ASMSTART
	v_dot2_f32_f16 v69, v0, v80, v69
	;;#ASMEND
	s_nop 0
	;;#ASMSTART
	v_dot2_f32_f16 v69, v1, v81, v69
	;;#ASMEND
	s_nop 0
	;;#ASMSTART
	v_dot2_f32_f16 v69, v2, v82, v69
	;;#ASMEND
	s_nop 0
	;;#ASMSTART
	v_dot2_f32_f16 v69, v3, v83, v69
	;;#ASMEND
	;; [unrolled: 15-line block ×8, first 2 shown]
	ds_read_b128 v[72:75], v47 offset:16
	ds_read_b128 v[0:3], v47 offset:2576
	;; [unrolled: 1-line block ×10, first 2 shown]
	s_waitcnt lgkmcnt(7)
	;;#ASMSTART
	v_dot2_f32_f16 v70, v72, v76, v70
	;;#ASMEND
	s_nop 0
	;;#ASMSTART
	v_dot2_f32_f16 v70, v73, v77, v70
	;;#ASMEND
	s_nop 0
	;;#ASMSTART
	v_dot2_f32_f16 v70, v74, v78, v70
	;;#ASMEND
	s_nop 0
	;;#ASMSTART
	v_dot2_f32_f16 v70, v75, v79, v70
	;;#ASMEND
	s_waitcnt lgkmcnt(6)
	;;#ASMSTART
	v_dot2_f32_f16 v67, v72, v80, v67
	;;#ASMEND
	s_nop 0
	;;#ASMSTART
	v_dot2_f32_f16 v67, v73, v81, v67
	;;#ASMEND
	s_nop 0
	;;#ASMSTART
	v_dot2_f32_f16 v67, v74, v82, v67
	;;#ASMEND
	s_nop 0
	;;#ASMSTART
	v_dot2_f32_f16 v67, v75, v83, v67
	;;#ASMEND
	;; [unrolled: 16-line block ×8, first 2 shown]
	;;#ASMSTART
	v_dot2_f32_f16 v71, v0, v76, v71
	;;#ASMEND
	s_nop 0
	;;#ASMSTART
	v_dot2_f32_f16 v71, v1, v77, v71
	;;#ASMEND
	s_nop 0
	;;#ASMSTART
	v_dot2_f32_f16 v71, v2, v78, v71
	;;#ASMEND
	s_nop 0
	;;#ASMSTART
	v_dot2_f32_f16 v71, v3, v79, v71
	;;#ASMEND
	;;#ASMSTART
	v_dot2_f32_f16 v69, v0, v80, v69
	;;#ASMEND
	s_nop 0
	;;#ASMSTART
	v_dot2_f32_f16 v69, v1, v81, v69
	;;#ASMEND
	s_nop 0
	;;#ASMSTART
	v_dot2_f32_f16 v69, v2, v82, v69
	;;#ASMEND
	s_nop 0
	;;#ASMSTART
	v_dot2_f32_f16 v69, v3, v83, v69
	;;#ASMEND
	;;#ASMSTART
	v_dot2_f32_f16 v68, v0, v84, v68
	;;#ASMEND
	s_nop 0
	;;#ASMSTART
	v_dot2_f32_f16 v68, v1, v85, v68
	;;#ASMEND
	s_nop 0
	;;#ASMSTART
	v_dot2_f32_f16 v68, v2, v86, v68
	;;#ASMEND
	s_nop 0
	;;#ASMSTART
	v_dot2_f32_f16 v68, v3, v87, v68
	;;#ASMEND
	;;#ASMSTART
	v_dot2_f32_f16 v66, v0, v88, v66
	;;#ASMEND
	s_nop 0
	;;#ASMSTART
	v_dot2_f32_f16 v66, v1, v89, v66
	;;#ASMEND
	s_nop 0
	;;#ASMSTART
	v_dot2_f32_f16 v66, v2, v90, v66
	;;#ASMEND
	s_nop 0
	;;#ASMSTART
	v_dot2_f32_f16 v66, v3, v91, v66
	;;#ASMEND
	;;#ASMSTART
	v_dot2_f32_f16 v64, v0, v92, v64
	;;#ASMEND
	s_nop 0
	;;#ASMSTART
	v_dot2_f32_f16 v64, v1, v93, v64
	;;#ASMEND
	s_nop 0
	;;#ASMSTART
	v_dot2_f32_f16 v64, v2, v94, v64
	;;#ASMEND
	s_nop 0
	;;#ASMSTART
	v_dot2_f32_f16 v64, v3, v95, v64
	;;#ASMEND
	;;#ASMSTART
	v_dot2_f32_f16 v31, v0, v96, v31
	;;#ASMEND
	s_nop 0
	;;#ASMSTART
	v_dot2_f32_f16 v31, v1, v97, v31
	;;#ASMEND
	s_nop 0
	;;#ASMSTART
	v_dot2_f32_f16 v31, v2, v98, v31
	;;#ASMEND
	s_nop 0
	;;#ASMSTART
	v_dot2_f32_f16 v31, v3, v99, v31
	;;#ASMEND
	;;#ASMSTART
	v_dot2_f32_f16 v29, v0, v100, v29
	;;#ASMEND
	s_nop 0
	;;#ASMSTART
	v_dot2_f32_f16 v29, v1, v101, v29
	;;#ASMEND
	s_nop 0
	;;#ASMSTART
	v_dot2_f32_f16 v29, v2, v102, v29
	;;#ASMEND
	s_nop 0
	;;#ASMSTART
	v_dot2_f32_f16 v29, v3, v103, v29
	;;#ASMEND
	;;#ASMSTART
	v_dot2_f32_f16 v7, v0, v104, v7
	;;#ASMEND
	s_nop 0
	;;#ASMSTART
	v_dot2_f32_f16 v7, v1, v105, v7
	;;#ASMEND
	s_nop 0
	;;#ASMSTART
	v_dot2_f32_f16 v7, v2, v106, v7
	;;#ASMEND
	s_nop 0
	;;#ASMSTART
	v_dot2_f32_f16 v7, v3, v107, v7
	;;#ASMEND
	ds_read_b128 v[72:75], v47 offset:32
	ds_read_b128 v[0:3], v47 offset:2592
	;; [unrolled: 1-line block ×10, first 2 shown]
	s_waitcnt lgkmcnt(7)
	;;#ASMSTART
	v_dot2_f32_f16 v70, v72, v76, v70
	;;#ASMEND
	s_nop 0
	;;#ASMSTART
	v_dot2_f32_f16 v70, v73, v77, v70
	;;#ASMEND
	s_nop 0
	;;#ASMSTART
	v_dot2_f32_f16 v70, v74, v78, v70
	;;#ASMEND
	s_nop 0
	;;#ASMSTART
	v_dot2_f32_f16 v70, v75, v79, v70
	;;#ASMEND
	s_waitcnt lgkmcnt(6)
	;;#ASMSTART
	v_dot2_f32_f16 v67, v72, v80, v67
	;;#ASMEND
	s_nop 0
	;;#ASMSTART
	v_dot2_f32_f16 v67, v73, v81, v67
	;;#ASMEND
	s_nop 0
	;;#ASMSTART
	v_dot2_f32_f16 v67, v74, v82, v67
	;;#ASMEND
	s_nop 0
	;;#ASMSTART
	v_dot2_f32_f16 v67, v75, v83, v67
	;;#ASMEND
	;; [unrolled: 16-line block ×8, first 2 shown]
	;;#ASMSTART
	v_dot2_f32_f16 v71, v0, v76, v71
	;;#ASMEND
	s_nop 0
	;;#ASMSTART
	v_dot2_f32_f16 v71, v1, v77, v71
	;;#ASMEND
	s_nop 0
	;;#ASMSTART
	v_dot2_f32_f16 v71, v2, v78, v71
	;;#ASMEND
	s_nop 0
	;;#ASMSTART
	v_dot2_f32_f16 v71, v3, v79, v71
	;;#ASMEND
	;;#ASMSTART
	v_dot2_f32_f16 v69, v0, v80, v69
	;;#ASMEND
	s_nop 0
	;;#ASMSTART
	v_dot2_f32_f16 v69, v1, v81, v69
	;;#ASMEND
	s_nop 0
	;;#ASMSTART
	v_dot2_f32_f16 v69, v2, v82, v69
	;;#ASMEND
	s_nop 0
	;;#ASMSTART
	v_dot2_f32_f16 v69, v3, v83, v69
	;;#ASMEND
	;; [unrolled: 15-line block ×8, first 2 shown]
	ds_read_b128 v[72:75], v47 offset:48
	ds_read_b128 v[0:3], v47 offset:2608
	;; [unrolled: 1-line block ×10, first 2 shown]
	s_waitcnt lgkmcnt(7)
	;;#ASMSTART
	v_dot2_f32_f16 v70, v72, v76, v70
	;;#ASMEND
	s_nop 0
	;;#ASMSTART
	v_dot2_f32_f16 v70, v73, v77, v70
	;;#ASMEND
	s_nop 0
	;;#ASMSTART
	v_dot2_f32_f16 v70, v74, v78, v70
	;;#ASMEND
	s_nop 0
	;;#ASMSTART
	v_dot2_f32_f16 v70, v75, v79, v70
	;;#ASMEND
	s_waitcnt lgkmcnt(6)
	;;#ASMSTART
	v_dot2_f32_f16 v67, v72, v80, v67
	;;#ASMEND
	s_nop 0
	;;#ASMSTART
	v_dot2_f32_f16 v67, v73, v81, v67
	;;#ASMEND
	s_nop 0
	;;#ASMSTART
	v_dot2_f32_f16 v67, v74, v82, v67
	;;#ASMEND
	s_nop 0
	;;#ASMSTART
	v_dot2_f32_f16 v67, v75, v83, v67
	;;#ASMEND
	s_waitcnt lgkmcnt(5)
	;;#ASMSTART
	v_dot2_f32_f16 v65, v72, v84, v65
	;;#ASMEND
	s_nop 0
	;;#ASMSTART
	v_dot2_f32_f16 v65, v73, v85, v65
	;;#ASMEND
	s_nop 0
	;;#ASMSTART
	v_dot2_f32_f16 v65, v74, v86, v65
	;;#ASMEND
	s_nop 0
	;;#ASMSTART
	v_dot2_f32_f16 v65, v75, v87, v65
	;;#ASMEND
	s_waitcnt lgkmcnt(4)
	;;#ASMSTART
	v_dot2_f32_f16 v63, v72, v88, v63
	;;#ASMEND
	s_nop 0
	;;#ASMSTART
	v_dot2_f32_f16 v63, v73, v89, v63
	;;#ASMEND
	s_nop 0
	;;#ASMSTART
	v_dot2_f32_f16 v63, v74, v90, v63
	;;#ASMEND
	s_nop 0
	;;#ASMSTART
	v_dot2_f32_f16 v63, v75, v91, v63
	;;#ASMEND
	s_waitcnt lgkmcnt(3)
	;;#ASMSTART
	v_dot2_f32_f16 v62, v72, v92, v62
	;;#ASMEND
	s_nop 0
	;;#ASMSTART
	v_dot2_f32_f16 v62, v73, v93, v62
	;;#ASMEND
	s_nop 0
	;;#ASMSTART
	v_dot2_f32_f16 v62, v74, v94, v62
	;;#ASMEND
	s_nop 0
	;;#ASMSTART
	v_dot2_f32_f16 v62, v75, v95, v62
	;;#ASMEND
	s_waitcnt lgkmcnt(2)
	;;#ASMSTART
	v_dot2_f32_f16 v30, v72, v96, v30
	;;#ASMEND
	s_nop 0
	;;#ASMSTART
	v_dot2_f32_f16 v30, v73, v97, v30
	;;#ASMEND
	s_nop 0
	;;#ASMSTART
	v_dot2_f32_f16 v30, v74, v98, v30
	;;#ASMEND
	s_nop 0
	;;#ASMSTART
	v_dot2_f32_f16 v30, v75, v99, v30
	;;#ASMEND
	s_waitcnt lgkmcnt(1)
	;;#ASMSTART
	v_dot2_f32_f16 v28, v72, v100, v28
	;;#ASMEND
	s_nop 0
	;;#ASMSTART
	v_dot2_f32_f16 v28, v73, v101, v28
	;;#ASMEND
	s_nop 0
	;;#ASMSTART
	v_dot2_f32_f16 v28, v74, v102, v28
	;;#ASMEND
	s_nop 0
	;;#ASMSTART
	v_dot2_f32_f16 v28, v75, v103, v28
	;;#ASMEND
	s_waitcnt lgkmcnt(0)
	;;#ASMSTART
	v_dot2_f32_f16 v6, v72, v104, v6
	;;#ASMEND
	s_nop 0
	;;#ASMSTART
	v_dot2_f32_f16 v6, v73, v105, v6
	;;#ASMEND
	s_nop 0
	;;#ASMSTART
	v_dot2_f32_f16 v6, v74, v106, v6
	;;#ASMEND
	s_nop 0
	;;#ASMSTART
	v_dot2_f32_f16 v6, v75, v107, v6
	;;#ASMEND
	;;#ASMSTART
	v_dot2_f32_f16 v71, v0, v76, v71
	;;#ASMEND
	s_nop 0
	;;#ASMSTART
	v_dot2_f32_f16 v71, v1, v77, v71
	;;#ASMEND
	s_nop 0
	;;#ASMSTART
	v_dot2_f32_f16 v71, v2, v78, v71
	;;#ASMEND
	s_nop 0
	;;#ASMSTART
	v_dot2_f32_f16 v71, v3, v79, v71
	;;#ASMEND
	;;#ASMSTART
	v_dot2_f32_f16 v69, v0, v80, v69
	;;#ASMEND
	s_nop 0
	;;#ASMSTART
	v_dot2_f32_f16 v69, v1, v81, v69
	;;#ASMEND
	s_nop 0
	;;#ASMSTART
	v_dot2_f32_f16 v69, v2, v82, v69
	;;#ASMEND
	s_nop 0
	;;#ASMSTART
	v_dot2_f32_f16 v69, v3, v83, v69
	;;#ASMEND
	;;#ASMSTART
	v_dot2_f32_f16 v68, v0, v84, v68
	;;#ASMEND
	s_nop 0
	;;#ASMSTART
	v_dot2_f32_f16 v68, v1, v85, v68
	;;#ASMEND
	s_nop 0
	;;#ASMSTART
	v_dot2_f32_f16 v68, v2, v86, v68
	;;#ASMEND
	s_nop 0
	;;#ASMSTART
	v_dot2_f32_f16 v68, v3, v87, v68
	;;#ASMEND
	;;#ASMSTART
	v_dot2_f32_f16 v66, v0, v88, v66
	;;#ASMEND
	s_nop 0
	;;#ASMSTART
	v_dot2_f32_f16 v66, v1, v89, v66
	;;#ASMEND
	s_nop 0
	;;#ASMSTART
	v_dot2_f32_f16 v66, v2, v90, v66
	;;#ASMEND
	s_nop 0
	;;#ASMSTART
	v_dot2_f32_f16 v66, v3, v91, v66
	;;#ASMEND
	;;#ASMSTART
	v_dot2_f32_f16 v64, v0, v92, v64
	;;#ASMEND
	s_nop 0
	;;#ASMSTART
	v_dot2_f32_f16 v64, v1, v93, v64
	;;#ASMEND
	s_nop 0
	;;#ASMSTART
	v_dot2_f32_f16 v64, v2, v94, v64
	;;#ASMEND
	s_nop 0
	;;#ASMSTART
	v_dot2_f32_f16 v64, v3, v95, v64
	;;#ASMEND
	;;#ASMSTART
	v_dot2_f32_f16 v31, v0, v96, v31
	;;#ASMEND
	s_nop 0
	;;#ASMSTART
	v_dot2_f32_f16 v31, v1, v97, v31
	;;#ASMEND
	s_nop 0
	;;#ASMSTART
	v_dot2_f32_f16 v31, v2, v98, v31
	;;#ASMEND
	s_nop 0
	;;#ASMSTART
	v_dot2_f32_f16 v31, v3, v99, v31
	;;#ASMEND
	;;#ASMSTART
	v_dot2_f32_f16 v29, v0, v100, v29
	;;#ASMEND
	s_nop 0
	;;#ASMSTART
	v_dot2_f32_f16 v29, v1, v101, v29
	;;#ASMEND
	s_nop 0
	;;#ASMSTART
	v_dot2_f32_f16 v29, v2, v102, v29
	;;#ASMEND
	s_nop 0
	;;#ASMSTART
	v_dot2_f32_f16 v29, v3, v103, v29
	;;#ASMEND
	;;#ASMSTART
	v_dot2_f32_f16 v7, v0, v104, v7
	;;#ASMEND
	s_nop 0
	;;#ASMSTART
	v_dot2_f32_f16 v7, v1, v105, v7
	;;#ASMEND
	s_nop 0
	;;#ASMSTART
	v_dot2_f32_f16 v7, v2, v106, v7
	;;#ASMEND
	s_nop 0
	;;#ASMSTART
	v_dot2_f32_f16 v7, v3, v107, v7
	;;#ASMEND
	s_barrier
	global_load_dwordx4 v[0:3], v[4:5], off offset:128
	s_waitcnt vmcnt(0)
	ds_write_b128 v46, v[0:3]
	s_waitcnt lgkmcnt(0)
	s_barrier
	ds_read_b128 v[72:75], v47
	ds_read_b128 v[0:3], v47 offset:2560
	ds_read_b128 v[76:79], v45 offset:128
	;; [unrolled: 1-line block ×9, first 2 shown]
	s_waitcnt lgkmcnt(7)
	;;#ASMSTART
	v_dot2_f32_f16 v70, v72, v76, v70
	;;#ASMEND
	s_nop 0
	;;#ASMSTART
	v_dot2_f32_f16 v70, v73, v77, v70
	;;#ASMEND
	s_nop 0
	;;#ASMSTART
	v_dot2_f32_f16 v70, v74, v78, v70
	;;#ASMEND
	s_nop 0
	;;#ASMSTART
	v_dot2_f32_f16 v70, v75, v79, v70
	;;#ASMEND
	s_waitcnt lgkmcnt(6)
	;;#ASMSTART
	v_dot2_f32_f16 v67, v72, v80, v67
	;;#ASMEND
	s_nop 0
	;;#ASMSTART
	v_dot2_f32_f16 v67, v73, v81, v67
	;;#ASMEND
	s_nop 0
	;;#ASMSTART
	v_dot2_f32_f16 v67, v74, v82, v67
	;;#ASMEND
	s_nop 0
	;;#ASMSTART
	v_dot2_f32_f16 v67, v75, v83, v67
	;;#ASMEND
	;; [unrolled: 16-line block ×8, first 2 shown]
	;;#ASMSTART
	v_dot2_f32_f16 v71, v0, v76, v71
	;;#ASMEND
	s_nop 0
	;;#ASMSTART
	v_dot2_f32_f16 v71, v1, v77, v71
	;;#ASMEND
	s_nop 0
	;;#ASMSTART
	v_dot2_f32_f16 v71, v2, v78, v71
	;;#ASMEND
	s_nop 0
	;;#ASMSTART
	v_dot2_f32_f16 v71, v3, v79, v71
	;;#ASMEND
	;;#ASMSTART
	v_dot2_f32_f16 v69, v0, v80, v69
	;;#ASMEND
	s_nop 0
	;;#ASMSTART
	v_dot2_f32_f16 v69, v1, v81, v69
	;;#ASMEND
	s_nop 0
	;;#ASMSTART
	v_dot2_f32_f16 v69, v2, v82, v69
	;;#ASMEND
	s_nop 0
	;;#ASMSTART
	v_dot2_f32_f16 v69, v3, v83, v69
	;;#ASMEND
	;; [unrolled: 15-line block ×8, first 2 shown]
	ds_read_b128 v[72:75], v47 offset:16
	ds_read_b128 v[0:3], v47 offset:2576
	;; [unrolled: 1-line block ×10, first 2 shown]
	s_waitcnt lgkmcnt(7)
	;;#ASMSTART
	v_dot2_f32_f16 v70, v72, v76, v70
	;;#ASMEND
	s_nop 0
	;;#ASMSTART
	v_dot2_f32_f16 v70, v73, v77, v70
	;;#ASMEND
	s_nop 0
	;;#ASMSTART
	v_dot2_f32_f16 v70, v74, v78, v70
	;;#ASMEND
	s_nop 0
	;;#ASMSTART
	v_dot2_f32_f16 v70, v75, v79, v70
	;;#ASMEND
	s_waitcnt lgkmcnt(6)
	;;#ASMSTART
	v_dot2_f32_f16 v67, v72, v80, v67
	;;#ASMEND
	s_nop 0
	;;#ASMSTART
	v_dot2_f32_f16 v67, v73, v81, v67
	;;#ASMEND
	s_nop 0
	;;#ASMSTART
	v_dot2_f32_f16 v67, v74, v82, v67
	;;#ASMEND
	s_nop 0
	;;#ASMSTART
	v_dot2_f32_f16 v67, v75, v83, v67
	;;#ASMEND
	;; [unrolled: 16-line block ×8, first 2 shown]
	;;#ASMSTART
	v_dot2_f32_f16 v71, v0, v76, v71
	;;#ASMEND
	s_nop 0
	;;#ASMSTART
	v_dot2_f32_f16 v71, v1, v77, v71
	;;#ASMEND
	s_nop 0
	;;#ASMSTART
	v_dot2_f32_f16 v71, v2, v78, v71
	;;#ASMEND
	s_nop 0
	;;#ASMSTART
	v_dot2_f32_f16 v71, v3, v79, v71
	;;#ASMEND
	;;#ASMSTART
	v_dot2_f32_f16 v69, v0, v80, v69
	;;#ASMEND
	s_nop 0
	;;#ASMSTART
	v_dot2_f32_f16 v69, v1, v81, v69
	;;#ASMEND
	s_nop 0
	;;#ASMSTART
	v_dot2_f32_f16 v69, v2, v82, v69
	;;#ASMEND
	s_nop 0
	;;#ASMSTART
	v_dot2_f32_f16 v69, v3, v83, v69
	;;#ASMEND
	;; [unrolled: 15-line block ×8, first 2 shown]
	ds_read_b128 v[72:75], v47 offset:32
	ds_read_b128 v[0:3], v47 offset:2592
	;; [unrolled: 1-line block ×10, first 2 shown]
	s_waitcnt lgkmcnt(7)
	;;#ASMSTART
	v_dot2_f32_f16 v70, v72, v76, v70
	;;#ASMEND
	s_nop 0
	;;#ASMSTART
	v_dot2_f32_f16 v70, v73, v77, v70
	;;#ASMEND
	s_nop 0
	;;#ASMSTART
	v_dot2_f32_f16 v70, v74, v78, v70
	;;#ASMEND
	s_nop 0
	;;#ASMSTART
	v_dot2_f32_f16 v70, v75, v79, v70
	;;#ASMEND
	s_waitcnt lgkmcnt(6)
	;;#ASMSTART
	v_dot2_f32_f16 v67, v72, v80, v67
	;;#ASMEND
	s_nop 0
	;;#ASMSTART
	v_dot2_f32_f16 v67, v73, v81, v67
	;;#ASMEND
	s_nop 0
	;;#ASMSTART
	v_dot2_f32_f16 v67, v74, v82, v67
	;;#ASMEND
	s_nop 0
	;;#ASMSTART
	v_dot2_f32_f16 v67, v75, v83, v67
	;;#ASMEND
	;; [unrolled: 16-line block ×8, first 2 shown]
	;;#ASMSTART
	v_dot2_f32_f16 v71, v0, v76, v71
	;;#ASMEND
	s_nop 0
	;;#ASMSTART
	v_dot2_f32_f16 v71, v1, v77, v71
	;;#ASMEND
	s_nop 0
	;;#ASMSTART
	v_dot2_f32_f16 v71, v2, v78, v71
	;;#ASMEND
	s_nop 0
	;;#ASMSTART
	v_dot2_f32_f16 v71, v3, v79, v71
	;;#ASMEND
	;;#ASMSTART
	v_dot2_f32_f16 v69, v0, v80, v69
	;;#ASMEND
	s_nop 0
	;;#ASMSTART
	v_dot2_f32_f16 v69, v1, v81, v69
	;;#ASMEND
	s_nop 0
	;;#ASMSTART
	v_dot2_f32_f16 v69, v2, v82, v69
	;;#ASMEND
	s_nop 0
	;;#ASMSTART
	v_dot2_f32_f16 v69, v3, v83, v69
	;;#ASMEND
	;; [unrolled: 15-line block ×8, first 2 shown]
	ds_read_b128 v[72:75], v47 offset:48
	ds_read_b128 v[0:3], v47 offset:2608
	;; [unrolled: 1-line block ×10, first 2 shown]
	s_waitcnt lgkmcnt(7)
	;;#ASMSTART
	v_dot2_f32_f16 v70, v72, v76, v70
	;;#ASMEND
	s_nop 0
	;;#ASMSTART
	v_dot2_f32_f16 v70, v73, v77, v70
	;;#ASMEND
	s_nop 0
	;;#ASMSTART
	v_dot2_f32_f16 v70, v74, v78, v70
	;;#ASMEND
	s_nop 0
	;;#ASMSTART
	v_dot2_f32_f16 v70, v75, v79, v70
	;;#ASMEND
	s_waitcnt lgkmcnt(6)
	;;#ASMSTART
	v_dot2_f32_f16 v67, v72, v80, v67
	;;#ASMEND
	s_nop 0
	;;#ASMSTART
	v_dot2_f32_f16 v67, v73, v81, v67
	;;#ASMEND
	s_nop 0
	;;#ASMSTART
	v_dot2_f32_f16 v67, v74, v82, v67
	;;#ASMEND
	s_nop 0
	;;#ASMSTART
	v_dot2_f32_f16 v67, v75, v83, v67
	;;#ASMEND
	;; [unrolled: 16-line block ×8, first 2 shown]
	;;#ASMSTART
	v_dot2_f32_f16 v71, v0, v76, v71
	;;#ASMEND
	s_nop 0
	;;#ASMSTART
	v_dot2_f32_f16 v71, v1, v77, v71
	;;#ASMEND
	s_nop 0
	;;#ASMSTART
	v_dot2_f32_f16 v71, v2, v78, v71
	;;#ASMEND
	s_nop 0
	;;#ASMSTART
	v_dot2_f32_f16 v71, v3, v79, v71
	;;#ASMEND
	;;#ASMSTART
	v_dot2_f32_f16 v69, v0, v80, v69
	;;#ASMEND
	s_nop 0
	;;#ASMSTART
	v_dot2_f32_f16 v69, v1, v81, v69
	;;#ASMEND
	s_nop 0
	;;#ASMSTART
	v_dot2_f32_f16 v69, v2, v82, v69
	;;#ASMEND
	s_nop 0
	;;#ASMSTART
	v_dot2_f32_f16 v69, v3, v83, v69
	;;#ASMEND
	;; [unrolled: 15-line block ×8, first 2 shown]
	s_barrier
	global_load_dwordx4 v[0:3], v[4:5], off offset:192
	s_waitcnt vmcnt(0)
	ds_write_b128 v46, v[0:3]
	s_waitcnt lgkmcnt(0)
	s_barrier
	ds_read_b128 v[72:75], v47
	ds_read_b128 v[0:3], v47 offset:2560
	ds_read_b128 v[76:79], v45 offset:192
	;; [unrolled: 1-line block ×9, first 2 shown]
	s_waitcnt lgkmcnt(7)
	;;#ASMSTART
	v_dot2_f32_f16 v70, v72, v76, v70
	;;#ASMEND
	s_nop 0
	;;#ASMSTART
	v_dot2_f32_f16 v70, v73, v77, v70
	;;#ASMEND
	s_nop 0
	;;#ASMSTART
	v_dot2_f32_f16 v70, v74, v78, v70
	;;#ASMEND
	s_nop 0
	;;#ASMSTART
	v_dot2_f32_f16 v70, v75, v79, v70
	;;#ASMEND
	s_waitcnt lgkmcnt(6)
	;;#ASMSTART
	v_dot2_f32_f16 v67, v72, v80, v67
	;;#ASMEND
	s_nop 0
	;;#ASMSTART
	v_dot2_f32_f16 v67, v73, v81, v67
	;;#ASMEND
	s_nop 0
	;;#ASMSTART
	v_dot2_f32_f16 v67, v74, v82, v67
	;;#ASMEND
	s_nop 0
	;;#ASMSTART
	v_dot2_f32_f16 v67, v75, v83, v67
	;;#ASMEND
	;; [unrolled: 16-line block ×8, first 2 shown]
	;;#ASMSTART
	v_dot2_f32_f16 v71, v0, v76, v71
	;;#ASMEND
	s_nop 0
	;;#ASMSTART
	v_dot2_f32_f16 v71, v1, v77, v71
	;;#ASMEND
	s_nop 0
	;;#ASMSTART
	v_dot2_f32_f16 v71, v2, v78, v71
	;;#ASMEND
	s_nop 0
	;;#ASMSTART
	v_dot2_f32_f16 v71, v3, v79, v71
	;;#ASMEND
	;;#ASMSTART
	v_dot2_f32_f16 v69, v0, v80, v69
	;;#ASMEND
	s_nop 0
	;;#ASMSTART
	v_dot2_f32_f16 v69, v1, v81, v69
	;;#ASMEND
	s_nop 0
	;;#ASMSTART
	v_dot2_f32_f16 v69, v2, v82, v69
	;;#ASMEND
	s_nop 0
	;;#ASMSTART
	v_dot2_f32_f16 v69, v3, v83, v69
	;;#ASMEND
	;; [unrolled: 15-line block ×8, first 2 shown]
	ds_read_b128 v[72:75], v47 offset:16
	ds_read_b128 v[0:3], v47 offset:2576
	ds_read_b128 v[76:79], v45 offset:208
	ds_read_b128 v[80:83], v45 offset:464
	ds_read_b128 v[84:87], v45 offset:720
	ds_read_b128 v[88:91], v45 offset:976
	ds_read_b128 v[92:95], v45 offset:1232
	ds_read_b128 v[96:99], v45 offset:1488
	ds_read_b128 v[100:103], v45 offset:1744
	ds_read_b128 v[104:107], v45 offset:2000
	s_waitcnt lgkmcnt(7)
	;;#ASMSTART
	v_dot2_f32_f16 v70, v72, v76, v70
	;;#ASMEND
	s_nop 0
	;;#ASMSTART
	v_dot2_f32_f16 v70, v73, v77, v70
	;;#ASMEND
	s_nop 0
	;;#ASMSTART
	v_dot2_f32_f16 v70, v74, v78, v70
	;;#ASMEND
	s_nop 0
	;;#ASMSTART
	v_dot2_f32_f16 v70, v75, v79, v70
	;;#ASMEND
	s_waitcnt lgkmcnt(6)
	;;#ASMSTART
	v_dot2_f32_f16 v67, v72, v80, v67
	;;#ASMEND
	s_nop 0
	;;#ASMSTART
	v_dot2_f32_f16 v67, v73, v81, v67
	;;#ASMEND
	s_nop 0
	;;#ASMSTART
	v_dot2_f32_f16 v67, v74, v82, v67
	;;#ASMEND
	s_nop 0
	;;#ASMSTART
	v_dot2_f32_f16 v67, v75, v83, v67
	;;#ASMEND
	;; [unrolled: 16-line block ×8, first 2 shown]
	;;#ASMSTART
	v_dot2_f32_f16 v71, v0, v76, v71
	;;#ASMEND
	s_nop 0
	;;#ASMSTART
	v_dot2_f32_f16 v71, v1, v77, v71
	;;#ASMEND
	s_nop 0
	;;#ASMSTART
	v_dot2_f32_f16 v71, v2, v78, v71
	;;#ASMEND
	s_nop 0
	;;#ASMSTART
	v_dot2_f32_f16 v71, v3, v79, v71
	;;#ASMEND
	;;#ASMSTART
	v_dot2_f32_f16 v69, v0, v80, v69
	;;#ASMEND
	s_nop 0
	;;#ASMSTART
	v_dot2_f32_f16 v69, v1, v81, v69
	;;#ASMEND
	s_nop 0
	;;#ASMSTART
	v_dot2_f32_f16 v69, v2, v82, v69
	;;#ASMEND
	s_nop 0
	;;#ASMSTART
	v_dot2_f32_f16 v69, v3, v83, v69
	;;#ASMEND
	;; [unrolled: 15-line block ×8, first 2 shown]
	ds_read_b128 v[72:75], v47 offset:32
	ds_read_b128 v[0:3], v47 offset:2592
	ds_read_b128 v[76:79], v45 offset:224
	ds_read_b128 v[80:83], v45 offset:480
	ds_read_b128 v[84:87], v45 offset:736
	ds_read_b128 v[88:91], v45 offset:992
	ds_read_b128 v[92:95], v45 offset:1248
	ds_read_b128 v[96:99], v45 offset:1504
	ds_read_b128 v[100:103], v45 offset:1760
	ds_read_b128 v[104:107], v45 offset:2016
	s_waitcnt lgkmcnt(7)
	;;#ASMSTART
	v_dot2_f32_f16 v70, v72, v76, v70
	;;#ASMEND
	s_nop 0
	;;#ASMSTART
	v_dot2_f32_f16 v70, v73, v77, v70
	;;#ASMEND
	s_nop 0
	;;#ASMSTART
	v_dot2_f32_f16 v70, v74, v78, v70
	;;#ASMEND
	s_nop 0
	;;#ASMSTART
	v_dot2_f32_f16 v70, v75, v79, v70
	;;#ASMEND
	s_waitcnt lgkmcnt(6)
	;;#ASMSTART
	v_dot2_f32_f16 v67, v72, v80, v67
	;;#ASMEND
	s_nop 0
	;;#ASMSTART
	v_dot2_f32_f16 v67, v73, v81, v67
	;;#ASMEND
	s_nop 0
	;;#ASMSTART
	v_dot2_f32_f16 v67, v74, v82, v67
	;;#ASMEND
	s_nop 0
	;;#ASMSTART
	v_dot2_f32_f16 v67, v75, v83, v67
	;;#ASMEND
	;; [unrolled: 16-line block ×8, first 2 shown]
	;;#ASMSTART
	v_dot2_f32_f16 v71, v0, v76, v71
	;;#ASMEND
	s_nop 0
	;;#ASMSTART
	v_dot2_f32_f16 v71, v1, v77, v71
	;;#ASMEND
	s_nop 0
	;;#ASMSTART
	v_dot2_f32_f16 v71, v2, v78, v71
	;;#ASMEND
	s_nop 0
	;;#ASMSTART
	v_dot2_f32_f16 v71, v3, v79, v71
	;;#ASMEND
	;;#ASMSTART
	v_dot2_f32_f16 v69, v0, v80, v69
	;;#ASMEND
	s_nop 0
	;;#ASMSTART
	v_dot2_f32_f16 v69, v1, v81, v69
	;;#ASMEND
	s_nop 0
	;;#ASMSTART
	v_dot2_f32_f16 v69, v2, v82, v69
	;;#ASMEND
	s_nop 0
	;;#ASMSTART
	v_dot2_f32_f16 v69, v3, v83, v69
	;;#ASMEND
	;; [unrolled: 15-line block ×8, first 2 shown]
	ds_read_b128 v[72:75], v47 offset:48
	ds_read_b128 v[0:3], v47 offset:2608
	;; [unrolled: 1-line block ×10, first 2 shown]
	s_waitcnt lgkmcnt(7)
	;;#ASMSTART
	v_dot2_f32_f16 v70, v72, v76, v70
	;;#ASMEND
	s_nop 0
	;;#ASMSTART
	v_dot2_f32_f16 v70, v73, v77, v70
	;;#ASMEND
	s_nop 0
	;; [unrolled: 4-line block ×3, first 2 shown]
	;;#ASMSTART
	v_dot2_f32_f16 v70, v75, v79, v70
	;;#ASMEND
	s_waitcnt lgkmcnt(6)
	;;#ASMSTART
	v_dot2_f32_f16 v67, v72, v80, v67
	;;#ASMEND
	s_nop 0
	;;#ASMSTART
	v_dot2_f32_f16 v67, v73, v81, v67
	;;#ASMEND
	v_cmp_nlt_f32_e64 s[6:7], |v70|, s8
	;;#ASMSTART
	v_dot2_f32_f16 v67, v74, v82, v67
	;;#ASMEND
	s_nop 0
	;;#ASMSTART
	v_dot2_f32_f16 v67, v75, v83, v67
	;;#ASMEND
	s_waitcnt lgkmcnt(5)
	;;#ASMSTART
	v_dot2_f32_f16 v65, v72, v84, v65
	;;#ASMEND
	s_nop 0
	;;#ASMSTART
	v_dot2_f32_f16 v65, v73, v85, v65
	;;#ASMEND
	s_nop 0
	;;#ASMSTART
	v_dot2_f32_f16 v65, v74, v86, v65
	;;#ASMEND
	s_nop 0
	;;#ASMSTART
	v_dot2_f32_f16 v65, v75, v87, v65
	;;#ASMEND
	s_waitcnt lgkmcnt(4)
	;;#ASMSTART
	v_dot2_f32_f16 v63, v72, v88, v63
	;;#ASMEND
	s_nop 0
	;;#ASMSTART
	v_dot2_f32_f16 v63, v73, v89, v63
	;;#ASMEND
	s_nop 0
	;; [unrolled: 16-line block ×6, first 2 shown]
	;;#ASMSTART
	v_dot2_f32_f16 v6, v74, v106, v6
	;;#ASMEND
	s_nop 0
	;;#ASMSTART
	v_dot2_f32_f16 v6, v75, v107, v6
	;;#ASMEND
	;;#ASMSTART
	v_dot2_f32_f16 v71, v0, v76, v71
	;;#ASMEND
	s_nop 0
	;;#ASMSTART
	v_dot2_f32_f16 v71, v1, v77, v71
	;;#ASMEND
	s_nop 0
	;;#ASMSTART
	v_dot2_f32_f16 v71, v2, v78, v71
	;;#ASMEND
	s_nop 0
	;;#ASMSTART
	v_dot2_f32_f16 v71, v3, v79, v71
	;;#ASMEND
	;;#ASMSTART
	v_dot2_f32_f16 v69, v0, v80, v69
	;;#ASMEND
	s_nop 0
	;;#ASMSTART
	v_dot2_f32_f16 v69, v1, v81, v69
	;;#ASMEND
	s_nop 0
	;; [unrolled: 15-line block ×8, first 2 shown]
	;;#ASMSTART
	v_dot2_f32_f16 v7, v2, v106, v7
	;;#ASMEND
                                        ; implicit-def: $vgpr2
	s_nop 0
	;;#ASMSTART
	v_dot2_f32_f16 v7, v3, v107, v7
	;;#ASMEND
	s_and_saveexec_b64 s[26:27], s[6:7]
	s_xor_b64 s[6:7], exec, s[26:27]
	s_cbranch_execz .LBB71_47
; %bb.46:                               ;   in Loop: Header=BB71_45 Depth=1
	v_add_f32_e64 v0, |v70|, |v70|
	v_mul_f32_e32 v1, 0x3fb8aa3b, v0
	v_rndne_f32_e32 v2, v1
	v_sub_f32_e32 v3, v1, v2
	v_fma_f32 v1, v0, s9, -v1
	v_fmac_f32_e32 v1, 0x32a5705f, v0
	v_add_f32_e32 v1, v3, v1
	v_cvt_i32_f32_e32 v2, v2
	v_exp_f32_e32 v1, v1
	v_cmp_ngt_f32_e32 vcc, s15, v0
	v_ldexp_f32 v1, v1, v2
	s_nop 0
	v_cndmask_b32_e32 v1, 0, v1, vcc
	v_cmp_nlt_f32_e32 vcc, s20, v0
	s_nop 1
	v_cndmask_b32_e32 v0, v52, v1, vcc
	v_add_f32_e32 v0, 1.0, v0
	v_rcp_f32_e32 v0, v0
	s_nop 0
	v_fma_f32 v2, v0, -2.0, 1.0
.LBB71_47:                              ;   in Loop: Header=BB71_45 Depth=1
	s_andn2_saveexec_b64 s[6:7], s[6:7]
; %bb.48:                               ;   in Loop: Header=BB71_45 Depth=1
	v_mul_f32_e32 v0, v70, v70
	v_fmamk_f32 v1, v0, 0xbbbac73d, v50
	v_fmaak_f32 v1, v0, v1, 0xbd5c1c4e
	v_fmaak_f32 v1, v0, v1, 0x3e088382
	;; [unrolled: 1-line block ×3, first 2 shown]
	v_mul_f32_e64 v1, |v70|, v1
	v_fma_f32 v2, v0, v1, |v70|
; %bb.49:                               ;   in Loop: Header=BB71_45 Depth=1
	s_or_b64 exec, exec, s[6:7]
	v_add_u32_e32 v0, s2, v20
	v_ashrrev_i32_e32 v1, 31, v0
	v_lshl_add_u64 v[0:1], v[0:1], 1, s[34:35]
	global_load_ushort v3, v[0:1], off
	v_cmp_nlt_f32_e64 s[6:7], |v71|, s8
                                        ; implicit-def: $vgpr5
	s_and_saveexec_b64 s[26:27], s[6:7]
	s_xor_b64 s[6:7], exec, s[26:27]
	s_cbranch_execz .LBB71_51
; %bb.50:                               ;   in Loop: Header=BB71_45 Depth=1
	v_add_f32_e64 v4, |v71|, |v71|
	v_mul_f32_e32 v5, 0x3fb8aa3b, v4
	v_rndne_f32_e32 v72, v5
	v_sub_f32_e32 v73, v5, v72
	v_fma_f32 v5, v4, s9, -v5
	v_fmac_f32_e32 v5, 0x32a5705f, v4
	v_add_f32_e32 v5, v73, v5
	v_cvt_i32_f32_e32 v72, v72
	v_exp_f32_e32 v5, v5
	v_cmp_ngt_f32_e32 vcc, s15, v4
	v_ldexp_f32 v5, v5, v72
	s_nop 0
	v_cndmask_b32_e32 v5, 0, v5, vcc
	v_cmp_nlt_f32_e32 vcc, s20, v4
	s_nop 1
	v_cndmask_b32_e32 v4, v52, v5, vcc
	v_add_f32_e32 v4, 1.0, v4
	v_rcp_f32_e32 v4, v4
	s_nop 0
	v_fma_f32 v5, v4, -2.0, 1.0
.LBB71_51:                              ;   in Loop: Header=BB71_45 Depth=1
	s_andn2_saveexec_b64 s[6:7], s[6:7]
; %bb.52:                               ;   in Loop: Header=BB71_45 Depth=1
	v_mul_f32_e32 v4, v71, v71
	v_fmamk_f32 v5, v4, 0xbbbac73d, v50
	v_fmaak_f32 v5, v4, v5, 0xbd5c1c4e
	v_fmaak_f32 v5, v4, v5, 0x3e088382
	;; [unrolled: 1-line block ×3, first 2 shown]
	v_mul_f32_e64 v5, |v71|, v5
	v_fma_f32 v5, v4, v5, |v71|
; %bb.53:                               ;   in Loop: Header=BB71_45 Depth=1
	s_or_b64 exec, exec, s[6:7]
	global_load_ushort v4, v[0:1], off offset:64
	v_bfi_b32 v0, s21, v2, v70
	s_waitcnt vmcnt(1)
	v_fma_mix_f32 v79, s10, v0, v3 op_sel_hi:[0,0,1]
	v_and_b32_e32 v0, 0x60, v21
	v_add_u32_e32 v70, 32, v0
	v_xor_b32_e32 v72, 16, v21
	v_bfi_b32 v2, s21, v5, v71
	v_cmp_lt_i32_e32 vcc, v72, v70
	v_add_f32_e32 v1, 0x40051340, v79
	v_xor_b32_e32 v75, 8, v21
	v_cndmask_b32_e32 v0, v21, v72, vcc
	v_lshlrev_b32_e32 v0, 2, v0
	v_cmp_lt_i32_e32 vcc, v75, v70
	v_xor_b32_e32 v74, 4, v21
	v_xor_b32_e32 v73, 2, v21
	v_cmp_nlt_f32_e64 s[6:7], |v67|, s8
	s_waitcnt vmcnt(0)
	v_fma_mix_f32 v78, s10, v2, v4 op_sel_hi:[0,0,1]
	v_add_f32_e32 v2, 0x40051340, v78
	v_max3_f32 v2, v26, v1, v2
	ds_bpermute_b32 v5, v0, v2
	v_cndmask_b32_e32 v1, v21, v75, vcc
	v_lshlrev_b32_e32 v1, 2, v1
	v_cmp_lt_i32_e32 vcc, v74, v70
	s_waitcnt lgkmcnt(0)
	v_max_f32_e32 v5, v5, v5
	v_max_f32_e32 v5, v2, v5
	ds_bpermute_b32 v71, v1, v5
	v_cndmask_b32_e32 v2, v21, v74, vcc
	v_lshlrev_b32_e32 v2, 2, v2
	v_cmp_lt_i32_e32 vcc, v73, v70
	s_waitcnt lgkmcnt(0)
	v_max_f32_e32 v71, v71, v71
	v_max_f32_e32 v5, v5, v71
	ds_bpermute_b32 v71, v2, v5
	v_cndmask_b32_e32 v76, v21, v73, vcc
	v_lshlrev_b32_e32 v81, 2, v76
	s_waitcnt lgkmcnt(0)
	v_max_f32_e32 v71, v71, v71
	v_max_f32_e32 v5, v5, v71
	ds_bpermute_b32 v76, v81, v5
	v_xor_b32_e32 v71, 1, v21
	v_cmp_lt_i32_e32 vcc, v71, v70
	s_waitcnt lgkmcnt(0)
	v_max_f32_e32 v76, v76, v76
	v_cndmask_b32_e32 v77, v21, v71, vcc
	v_lshlrev_b32_e32 v82, 2, v77
	v_max_f32_e32 v80, v5, v76
	ds_bpermute_b32 v83, v82, v80
                                        ; implicit-def: $vgpr5
	s_and_saveexec_b64 s[26:27], s[6:7]
	s_xor_b64 s[6:7], exec, s[26:27]
	s_cbranch_execz .LBB71_55
; %bb.54:                               ;   in Loop: Header=BB71_45 Depth=1
	v_add_f32_e64 v5, |v67|, |v67|
	v_mul_f32_e32 v76, 0x3fb8aa3b, v5
	v_rndne_f32_e32 v77, v76
	v_sub_f32_e32 v84, v76, v77
	v_fma_f32 v76, v5, s9, -v76
	v_fmac_f32_e32 v76, 0x32a5705f, v5
	v_add_f32_e32 v76, v84, v76
	v_cvt_i32_f32_e32 v77, v77
	v_exp_f32_e32 v76, v76
	v_cmp_ngt_f32_e32 vcc, s15, v5
	v_ldexp_f32 v76, v76, v77
	s_nop 0
	v_cndmask_b32_e32 v76, 0, v76, vcc
	v_cmp_nlt_f32_e32 vcc, s20, v5
	s_nop 1
	v_cndmask_b32_e32 v5, v52, v76, vcc
	v_add_f32_e32 v5, 1.0, v5
	v_rcp_f32_e32 v5, v5
	s_nop 0
	v_fma_f32 v5, v5, -2.0, 1.0
.LBB71_55:                              ;   in Loop: Header=BB71_45 Depth=1
	s_andn2_saveexec_b64 s[6:7], s[6:7]
; %bb.56:                               ;   in Loop: Header=BB71_45 Depth=1
	v_mul_f32_e32 v5, v67, v67
	v_fmamk_f32 v76, v5, 0xbbbac73d, v50
	v_fmaak_f32 v76, v5, v76, 0xbd5c1c4e
	v_fmaak_f32 v76, v5, v76, 0x3e088382
	;; [unrolled: 1-line block ×3, first 2 shown]
	v_mul_f32_e64 v76, |v67|, v76
	v_fma_f32 v5, v5, v76, |v67|
; %bb.57:                               ;   in Loop: Header=BB71_45 Depth=1
	s_or_b64 exec, exec, s[6:7]
	v_cmp_nlt_f32_e64 s[6:7], |v69|, s8
                                        ; implicit-def: $vgpr84
	s_and_saveexec_b64 s[26:27], s[6:7]
	s_xor_b64 s[6:7], exec, s[26:27]
	s_cbranch_execz .LBB71_59
; %bb.58:                               ;   in Loop: Header=BB71_45 Depth=1
	v_add_f32_e64 v76, |v69|, |v69|
	v_mul_f32_e32 v77, 0x3fb8aa3b, v76
	v_rndne_f32_e32 v84, v77
	v_sub_f32_e32 v85, v77, v84
	v_fma_f32 v77, v76, s9, -v77
	v_fmac_f32_e32 v77, 0x32a5705f, v76
	v_add_f32_e32 v77, v85, v77
	v_cvt_i32_f32_e32 v84, v84
	v_exp_f32_e32 v77, v77
	v_cmp_ngt_f32_e32 vcc, s15, v76
	v_ldexp_f32 v77, v77, v84
	s_nop 0
	v_cndmask_b32_e32 v77, 0, v77, vcc
	v_cmp_nlt_f32_e32 vcc, s20, v76
	s_nop 1
	v_cndmask_b32_e32 v76, v52, v77, vcc
	v_add_f32_e32 v76, 1.0, v76
	v_rcp_f32_e32 v76, v76
	s_nop 0
	v_fma_f32 v84, v76, -2.0, 1.0
.LBB71_59:                              ;   in Loop: Header=BB71_45 Depth=1
	s_andn2_saveexec_b64 s[6:7], s[6:7]
; %bb.60:                               ;   in Loop: Header=BB71_45 Depth=1
	v_mul_f32_e32 v76, v69, v69
	v_fmamk_f32 v77, v76, 0xbbbac73d, v50
	v_fmaak_f32 v77, v76, v77, 0xbd5c1c4e
	v_fmaak_f32 v77, v76, v77, 0x3e088382
	;; [unrolled: 1-line block ×3, first 2 shown]
	v_mul_f32_e64 v77, |v69|, v77
	v_fma_f32 v84, v76, v77, |v69|
; %bb.61:                               ;   in Loop: Header=BB71_45 Depth=1
	s_or_b64 exec, exec, s[6:7]
	v_cvt_f32_f16_e32 v77, v3
	v_cvt_f32_f16_e32 v76, v4
	v_bfi_b32 v3, s21, v5, v67
	v_bfi_b32 v4, s21, v84, v69
	v_fma_f32 v69, s10, v3, v77
	v_fma_f32 v67, s10, v4, v76
	v_add_f32_e32 v3, 0x40051340, v69
	v_add_f32_e32 v4, 0x40051340, v67
	v_max3_f32 v3, v27, v3, v4
	ds_bpermute_b32 v4, v0, v3
	v_cmp_nlt_f32_e64 s[6:7], |v65|, s8
	s_waitcnt lgkmcnt(0)
	v_max_f32_e32 v4, v4, v4
	v_max_f32_e32 v3, v3, v4
	ds_bpermute_b32 v4, v1, v3
	s_waitcnt lgkmcnt(0)
	v_max_f32_e32 v4, v4, v4
	v_max_f32_e32 v3, v3, v4
	ds_bpermute_b32 v4, v2, v3
	;; [unrolled: 4-line block ×4, first 2 shown]
                                        ; implicit-def: $vgpr3
	s_and_saveexec_b64 s[26:27], s[6:7]
	s_xor_b64 s[6:7], exec, s[26:27]
	s_cbranch_execz .LBB71_63
; %bb.62:                               ;   in Loop: Header=BB71_45 Depth=1
	v_add_f32_e64 v3, |v65|, |v65|
	v_mul_f32_e32 v4, 0x3fb8aa3b, v3
	v_rndne_f32_e32 v5, v4
	v_sub_f32_e32 v84, v4, v5
	v_fma_f32 v4, v3, s9, -v4
	v_fmac_f32_e32 v4, 0x32a5705f, v3
	v_add_f32_e32 v4, v84, v4
	v_cvt_i32_f32_e32 v5, v5
	v_exp_f32_e32 v4, v4
	v_cmp_ngt_f32_e32 vcc, s15, v3
	v_ldexp_f32 v4, v4, v5
	s_nop 0
	v_cndmask_b32_e32 v4, 0, v4, vcc
	v_cmp_nlt_f32_e32 vcc, s20, v3
	s_nop 1
	v_cndmask_b32_e32 v3, v52, v4, vcc
	v_add_f32_e32 v3, 1.0, v3
	v_rcp_f32_e32 v3, v3
	s_nop 0
	v_fma_f32 v3, v3, -2.0, 1.0
.LBB71_63:                              ;   in Loop: Header=BB71_45 Depth=1
	s_andn2_saveexec_b64 s[6:7], s[6:7]
; %bb.64:                               ;   in Loop: Header=BB71_45 Depth=1
	v_mul_f32_e32 v3, v65, v65
	v_fmamk_f32 v4, v3, 0xbbbac73d, v50
	v_fmaak_f32 v4, v3, v4, 0xbd5c1c4e
	v_fmaak_f32 v4, v3, v4, 0x3e088382
	;; [unrolled: 1-line block ×3, first 2 shown]
	v_mul_f32_e64 v4, |v65|, v4
	v_fma_f32 v3, v3, v4, |v65|
; %bb.65:                               ;   in Loop: Header=BB71_45 Depth=1
	s_or_b64 exec, exec, s[6:7]
	v_cmp_nlt_f32_e64 s[6:7], |v68|, s8
                                        ; implicit-def: $vgpr4
	s_and_saveexec_b64 s[26:27], s[6:7]
	s_xor_b64 s[6:7], exec, s[26:27]
	s_cbranch_execz .LBB71_67
; %bb.66:                               ;   in Loop: Header=BB71_45 Depth=1
	v_add_f32_e64 v4, |v68|, |v68|
	v_mul_f32_e32 v5, 0x3fb8aa3b, v4
	v_rndne_f32_e32 v84, v5
	v_sub_f32_e32 v87, v5, v84
	v_fma_f32 v5, v4, s9, -v5
	v_fmac_f32_e32 v5, 0x32a5705f, v4
	v_add_f32_e32 v5, v87, v5
	v_cvt_i32_f32_e32 v84, v84
	v_exp_f32_e32 v5, v5
	v_cmp_ngt_f32_e32 vcc, s15, v4
	v_ldexp_f32 v5, v5, v84
	s_nop 0
	v_cndmask_b32_e32 v5, 0, v5, vcc
	v_cmp_nlt_f32_e32 vcc, s20, v4
	s_nop 1
	v_cndmask_b32_e32 v4, v52, v5, vcc
	v_add_f32_e32 v4, 1.0, v4
	v_rcp_f32_e32 v4, v4
	s_nop 0
	v_fma_f32 v4, v4, -2.0, 1.0
.LBB71_67:                              ;   in Loop: Header=BB71_45 Depth=1
	s_andn2_saveexec_b64 s[6:7], s[6:7]
; %bb.68:                               ;   in Loop: Header=BB71_45 Depth=1
	v_mul_f32_e32 v4, v68, v68
	v_fmamk_f32 v5, v4, 0xbbbac73d, v50
	v_fmaak_f32 v5, v4, v5, 0xbd5c1c4e
	v_fmaak_f32 v5, v4, v5, 0x3e088382
	;; [unrolled: 1-line block ×3, first 2 shown]
	v_mul_f32_e64 v5, |v68|, v5
	v_fma_f32 v4, v4, v5, |v68|
; %bb.69:                               ;   in Loop: Header=BB71_45 Depth=1
	s_or_b64 exec, exec, s[6:7]
	v_bfi_b32 v3, s21, v3, v65
	v_bfi_b32 v4, s21, v4, v68
	v_fma_f32 v84, s10, v3, v77
	v_fma_f32 v65, s10, v4, v76
	v_add_f32_e32 v3, 0x40051340, v84
	v_add_f32_e32 v4, 0x40051340, v65
	v_max3_f32 v3, v61, v3, v4
	ds_bpermute_b32 v4, v0, v3
	v_cmp_nlt_f32_e64 s[6:7], |v63|, s8
	s_waitcnt lgkmcnt(0)
	v_max_f32_e32 v4, v4, v4
	v_max_f32_e32 v3, v3, v4
	ds_bpermute_b32 v4, v1, v3
	s_waitcnt lgkmcnt(0)
	v_max_f32_e32 v4, v4, v4
	v_max_f32_e32 v3, v3, v4
	ds_bpermute_b32 v4, v2, v3
	;; [unrolled: 4-line block ×4, first 2 shown]
                                        ; implicit-def: $vgpr3
	s_and_saveexec_b64 s[26:27], s[6:7]
	s_xor_b64 s[6:7], exec, s[26:27]
	s_cbranch_execz .LBB71_71
; %bb.70:                               ;   in Loop: Header=BB71_45 Depth=1
	v_add_f32_e64 v3, |v63|, |v63|
	v_mul_f32_e32 v4, 0x3fb8aa3b, v3
	v_rndne_f32_e32 v5, v4
	v_sub_f32_e32 v68, v4, v5
	v_fma_f32 v4, v3, s9, -v4
	v_fmac_f32_e32 v4, 0x32a5705f, v3
	v_add_f32_e32 v4, v68, v4
	v_cvt_i32_f32_e32 v5, v5
	v_exp_f32_e32 v4, v4
	v_cmp_ngt_f32_e32 vcc, s15, v3
	v_ldexp_f32 v4, v4, v5
	s_nop 0
	v_cndmask_b32_e32 v4, 0, v4, vcc
	v_cmp_nlt_f32_e32 vcc, s20, v3
	s_nop 1
	v_cndmask_b32_e32 v3, v52, v4, vcc
	v_add_f32_e32 v3, 1.0, v3
	v_rcp_f32_e32 v3, v3
	s_nop 0
	v_fma_f32 v3, v3, -2.0, 1.0
.LBB71_71:                              ;   in Loop: Header=BB71_45 Depth=1
	s_andn2_saveexec_b64 s[6:7], s[6:7]
; %bb.72:                               ;   in Loop: Header=BB71_45 Depth=1
	v_mul_f32_e32 v3, v63, v63
	v_fmamk_f32 v4, v3, 0xbbbac73d, v50
	v_fmaak_f32 v4, v3, v4, 0xbd5c1c4e
	v_fmaak_f32 v4, v3, v4, 0x3e088382
	;; [unrolled: 1-line block ×3, first 2 shown]
	v_mul_f32_e64 v4, |v63|, v4
	v_fma_f32 v3, v3, v4, |v63|
; %bb.73:                               ;   in Loop: Header=BB71_45 Depth=1
	s_or_b64 exec, exec, s[6:7]
	v_cmp_nlt_f32_e64 s[6:7], |v66|, s8
                                        ; implicit-def: $vgpr4
	s_and_saveexec_b64 s[26:27], s[6:7]
	s_xor_b64 s[6:7], exec, s[26:27]
	s_cbranch_execz .LBB71_75
; %bb.74:                               ;   in Loop: Header=BB71_45 Depth=1
	v_add_f32_e64 v4, |v66|, |v66|
	v_mul_f32_e32 v5, 0x3fb8aa3b, v4
	v_rndne_f32_e32 v68, v5
	v_sub_f32_e32 v89, v5, v68
	v_fma_f32 v5, v4, s9, -v5
	v_fmac_f32_e32 v5, 0x32a5705f, v4
	v_add_f32_e32 v5, v89, v5
	v_cvt_i32_f32_e32 v68, v68
	v_exp_f32_e32 v5, v5
	v_cmp_ngt_f32_e32 vcc, s15, v4
	v_ldexp_f32 v5, v5, v68
	s_nop 0
	v_cndmask_b32_e32 v5, 0, v5, vcc
	v_cmp_nlt_f32_e32 vcc, s20, v4
	s_nop 1
	v_cndmask_b32_e32 v4, v52, v5, vcc
	v_add_f32_e32 v4, 1.0, v4
	v_rcp_f32_e32 v4, v4
	s_nop 0
	v_fma_f32 v4, v4, -2.0, 1.0
.LBB71_75:                              ;   in Loop: Header=BB71_45 Depth=1
	s_andn2_saveexec_b64 s[6:7], s[6:7]
; %bb.76:                               ;   in Loop: Header=BB71_45 Depth=1
	v_mul_f32_e32 v4, v66, v66
	v_fmamk_f32 v5, v4, 0xbbbac73d, v50
	v_fmaak_f32 v5, v4, v5, 0xbd5c1c4e
	v_fmaak_f32 v5, v4, v5, 0x3e088382
	;; [unrolled: 1-line block ×3, first 2 shown]
	v_mul_f32_e64 v5, |v66|, v5
	v_fma_f32 v4, v4, v5, |v66|
; %bb.77:                               ;   in Loop: Header=BB71_45 Depth=1
	s_or_b64 exec, exec, s[6:7]
	v_bfi_b32 v3, s21, v3, v63
	v_bfi_b32 v4, s21, v4, v66
	v_fma_f32 v68, s10, v3, v77
	v_fma_f32 v63, s10, v4, v76
	v_add_f32_e32 v3, 0x40051340, v68
	v_add_f32_e32 v4, 0x40051340, v63
	v_max3_f32 v3, v60, v3, v4
	ds_bpermute_b32 v4, v0, v3
	v_cmp_nlt_f32_e64 s[6:7], |v62|, s8
	s_waitcnt lgkmcnt(0)
	v_max_f32_e32 v4, v4, v4
	v_max_f32_e32 v3, v3, v4
	ds_bpermute_b32 v4, v1, v3
	s_waitcnt lgkmcnt(0)
	v_max_f32_e32 v4, v4, v4
	v_max_f32_e32 v3, v3, v4
	ds_bpermute_b32 v4, v2, v3
	;; [unrolled: 4-line block ×4, first 2 shown]
                                        ; implicit-def: $vgpr4
	s_and_saveexec_b64 s[26:27], s[6:7]
	s_xor_b64 s[6:7], exec, s[26:27]
	s_cbranch_execz .LBB71_79
; %bb.78:                               ;   in Loop: Header=BB71_45 Depth=1
	v_add_f32_e64 v4, |v62|, |v62|
	v_mul_f32_e32 v5, 0x3fb8aa3b, v4
	v_rndne_f32_e32 v66, v5
	v_sub_f32_e32 v89, v5, v66
	v_fma_f32 v5, v4, s9, -v5
	v_fmac_f32_e32 v5, 0x32a5705f, v4
	v_add_f32_e32 v5, v89, v5
	v_cvt_i32_f32_e32 v66, v66
	v_exp_f32_e32 v5, v5
	v_cmp_ngt_f32_e32 vcc, s15, v4
	v_ldexp_f32 v5, v5, v66
	s_nop 0
	v_cndmask_b32_e32 v5, 0, v5, vcc
	v_cmp_nlt_f32_e32 vcc, s20, v4
	s_nop 1
	v_cndmask_b32_e32 v4, v52, v5, vcc
	v_add_f32_e32 v4, 1.0, v4
	v_rcp_f32_e32 v4, v4
	s_nop 0
	v_fma_f32 v4, v4, -2.0, 1.0
.LBB71_79:                              ;   in Loop: Header=BB71_45 Depth=1
	s_andn2_saveexec_b64 s[6:7], s[6:7]
; %bb.80:                               ;   in Loop: Header=BB71_45 Depth=1
	v_mul_f32_e32 v4, v62, v62
	v_fmamk_f32 v5, v4, 0xbbbac73d, v50
	v_fmaak_f32 v5, v4, v5, 0xbd5c1c4e
	v_fmaak_f32 v5, v4, v5, 0x3e088382
	;; [unrolled: 1-line block ×3, first 2 shown]
	v_mul_f32_e64 v5, |v62|, v5
	v_fma_f32 v4, v4, v5, |v62|
; %bb.81:                               ;   in Loop: Header=BB71_45 Depth=1
	s_or_b64 exec, exec, s[6:7]
	v_cmp_nlt_f32_e64 s[6:7], |v64|, s8
                                        ; implicit-def: $vgpr5
	s_and_saveexec_b64 s[26:27], s[6:7]
	s_xor_b64 s[6:7], exec, s[26:27]
	s_cbranch_execz .LBB71_83
; %bb.82:                               ;   in Loop: Header=BB71_45 Depth=1
	v_add_f32_e64 v5, |v64|, |v64|
	v_mul_f32_e32 v66, 0x3fb8aa3b, v5
	v_rndne_f32_e32 v89, v66
	v_sub_f32_e32 v90, v66, v89
	v_fma_f32 v66, v5, s9, -v66
	v_fmac_f32_e32 v66, 0x32a5705f, v5
	v_add_f32_e32 v66, v90, v66
	v_cvt_i32_f32_e32 v89, v89
	v_exp_f32_e32 v66, v66
	v_cmp_ngt_f32_e32 vcc, s15, v5
	v_ldexp_f32 v66, v66, v89
	s_nop 0
	v_cndmask_b32_e32 v66, 0, v66, vcc
	v_cmp_nlt_f32_e32 vcc, s20, v5
	s_nop 1
	v_cndmask_b32_e32 v5, v52, v66, vcc
	v_add_f32_e32 v5, 1.0, v5
	v_rcp_f32_e32 v5, v5
	s_nop 0
	v_fma_f32 v5, v5, -2.0, 1.0
.LBB71_83:                              ;   in Loop: Header=BB71_45 Depth=1
	s_andn2_saveexec_b64 s[6:7], s[6:7]
; %bb.84:                               ;   in Loop: Header=BB71_45 Depth=1
	v_mul_f32_e32 v5, v64, v64
	v_fmamk_f32 v66, v5, 0xbbbac73d, v50
	v_fmaak_f32 v66, v5, v66, 0xbd5c1c4e
	v_fmaak_f32 v66, v5, v66, 0x3e088382
	;; [unrolled: 1-line block ×3, first 2 shown]
	v_mul_f32_e64 v66, |v64|, v66
	v_fma_f32 v5, v5, v66, |v64|
; %bb.85:                               ;   in Loop: Header=BB71_45 Depth=1
	s_or_b64 exec, exec, s[6:7]
	v_bfi_b32 v4, s21, v4, v62
	v_bfi_b32 v5, s21, v5, v64
	v_fma_f32 v66, s10, v4, v77
	v_fma_f32 v62, s10, v5, v76
	v_add_f32_e32 v4, 0x40051340, v66
	v_add_f32_e32 v5, 0x40051340, v62
	v_max3_f32 v4, v42, v4, v5
	ds_bpermute_b32 v5, v0, v4
	v_cmp_nlt_f32_e64 s[6:7], |v30|, s8
	s_waitcnt lgkmcnt(0)
	v_max_f32_e32 v5, v5, v5
	v_max_f32_e32 v4, v4, v5
	ds_bpermute_b32 v5, v1, v4
	s_waitcnt lgkmcnt(0)
	v_max_f32_e32 v5, v5, v5
	v_max_f32_e32 v4, v4, v5
	ds_bpermute_b32 v5, v2, v4
	;; [unrolled: 4-line block ×4, first 2 shown]
                                        ; implicit-def: $vgpr5
	s_and_saveexec_b64 s[26:27], s[6:7]
	s_xor_b64 s[6:7], exec, s[26:27]
	s_cbranch_execz .LBB71_87
; %bb.86:                               ;   in Loop: Header=BB71_45 Depth=1
	v_add_f32_e64 v5, |v30|, |v30|
	v_mul_f32_e32 v64, 0x3fb8aa3b, v5
	v_rndne_f32_e32 v89, v64
	v_sub_f32_e32 v90, v64, v89
	v_fma_f32 v64, v5, s9, -v64
	v_fmac_f32_e32 v64, 0x32a5705f, v5
	v_add_f32_e32 v64, v90, v64
	v_cvt_i32_f32_e32 v89, v89
	v_exp_f32_e32 v64, v64
	v_cmp_ngt_f32_e32 vcc, s15, v5
	v_ldexp_f32 v64, v64, v89
	s_nop 0
	v_cndmask_b32_e32 v64, 0, v64, vcc
	v_cmp_nlt_f32_e32 vcc, s20, v5
	s_nop 1
	v_cndmask_b32_e32 v5, v52, v64, vcc
	v_add_f32_e32 v5, 1.0, v5
	v_rcp_f32_e32 v5, v5
	s_nop 0
	v_fma_f32 v5, v5, -2.0, 1.0
.LBB71_87:                              ;   in Loop: Header=BB71_45 Depth=1
	s_andn2_saveexec_b64 s[6:7], s[6:7]
; %bb.88:                               ;   in Loop: Header=BB71_45 Depth=1
	v_mul_f32_e32 v5, v30, v30
	v_fmamk_f32 v64, v5, 0xbbbac73d, v50
	v_fmaak_f32 v64, v5, v64, 0xbd5c1c4e
	v_fmaak_f32 v64, v5, v64, 0x3e088382
	;; [unrolled: 1-line block ×3, first 2 shown]
	v_mul_f32_e64 v64, |v30|, v64
	v_fma_f32 v5, v5, v64, |v30|
; %bb.89:                               ;   in Loop: Header=BB71_45 Depth=1
	s_or_b64 exec, exec, s[6:7]
	v_cmp_nlt_f32_e64 s[6:7], |v31|, s8
                                        ; implicit-def: $vgpr64
	s_and_saveexec_b64 s[26:27], s[6:7]
	s_xor_b64 s[6:7], exec, s[26:27]
	s_cbranch_execz .LBB71_91
; %bb.90:                               ;   in Loop: Header=BB71_45 Depth=1
	v_add_f32_e64 v64, |v31|, |v31|
	v_mul_f32_e32 v89, 0x3fb8aa3b, v64
	v_rndne_f32_e32 v90, v89
	v_sub_f32_e32 v91, v89, v90
	v_fma_f32 v89, v64, s9, -v89
	v_fmac_f32_e32 v89, 0x32a5705f, v64
	v_add_f32_e32 v89, v91, v89
	v_cvt_i32_f32_e32 v90, v90
	v_exp_f32_e32 v89, v89
	v_cmp_ngt_f32_e32 vcc, s15, v64
	v_ldexp_f32 v89, v89, v90
	s_nop 0
	v_cndmask_b32_e32 v89, 0, v89, vcc
	v_cmp_nlt_f32_e32 vcc, s20, v64
	s_nop 1
	v_cndmask_b32_e32 v64, v52, v89, vcc
	v_add_f32_e32 v64, 1.0, v64
	v_rcp_f32_e32 v64, v64
	s_nop 0
	v_fma_f32 v64, v64, -2.0, 1.0
.LBB71_91:                              ;   in Loop: Header=BB71_45 Depth=1
	s_andn2_saveexec_b64 s[6:7], s[6:7]
; %bb.92:                               ;   in Loop: Header=BB71_45 Depth=1
	v_mul_f32_e32 v64, v31, v31
	v_fmamk_f32 v89, v64, 0xbbbac73d, v50
	v_fmaak_f32 v89, v64, v89, 0xbd5c1c4e
	v_fmaak_f32 v89, v64, v89, 0x3e088382
	;; [unrolled: 1-line block ×3, first 2 shown]
	v_mul_f32_e64 v89, |v31|, v89
	v_fma_f32 v64, v64, v89, |v31|
; %bb.93:                               ;   in Loop: Header=BB71_45 Depth=1
	s_or_b64 exec, exec, s[6:7]
	v_bfi_b32 v5, s21, v5, v30
	v_bfi_b32 v30, s21, v64, v31
	v_fma_f32 v89, s10, v5, v77
	v_fma_f32 v64, s10, v30, v76
	v_add_f32_e32 v5, 0x40051340, v89
	v_add_f32_e32 v30, 0x40051340, v64
	v_max3_f32 v5, v43, v5, v30
	ds_bpermute_b32 v30, v0, v5
	v_cmp_nlt_f32_e64 s[6:7], |v28|, s8
                                        ; implicit-def: $vgpr31
	s_waitcnt lgkmcnt(0)
	v_max_f32_e32 v30, v30, v30
	v_max_f32_e32 v5, v5, v30
	ds_bpermute_b32 v30, v1, v5
	s_waitcnt lgkmcnt(0)
	v_max_f32_e32 v30, v30, v30
	v_max_f32_e32 v5, v5, v30
	ds_bpermute_b32 v30, v2, v5
	;; [unrolled: 4-line block ×4, first 2 shown]
	s_and_saveexec_b64 s[26:27], s[6:7]
	s_xor_b64 s[6:7], exec, s[26:27]
	s_cbranch_execz .LBB71_95
; %bb.94:                               ;   in Loop: Header=BB71_45 Depth=1
	v_add_f32_e64 v31, |v28|, |v28|
	v_mul_f32_e32 v90, 0x3fb8aa3b, v31
	v_rndne_f32_e32 v91, v90
	v_sub_f32_e32 v94, v90, v91
	v_fma_f32 v90, v31, s9, -v90
	v_fmac_f32_e32 v90, 0x32a5705f, v31
	v_add_f32_e32 v90, v94, v90
	v_cvt_i32_f32_e32 v91, v91
	v_exp_f32_e32 v90, v90
	v_cmp_ngt_f32_e32 vcc, s15, v31
	v_ldexp_f32 v90, v90, v91
	s_nop 0
	v_cndmask_b32_e32 v90, 0, v90, vcc
	v_cmp_nlt_f32_e32 vcc, s20, v31
	s_nop 1
	v_cndmask_b32_e32 v31, v52, v90, vcc
	v_add_f32_e32 v31, 1.0, v31
	v_rcp_f32_e32 v31, v31
	s_nop 0
	v_fma_f32 v31, v31, -2.0, 1.0
.LBB71_95:                              ;   in Loop: Header=BB71_45 Depth=1
	s_andn2_saveexec_b64 s[6:7], s[6:7]
; %bb.96:                               ;   in Loop: Header=BB71_45 Depth=1
	v_mul_f32_e32 v31, v28, v28
	v_fmamk_f32 v90, v31, 0xbbbac73d, v50
	v_fmaak_f32 v90, v31, v90, 0xbd5c1c4e
	v_fmaak_f32 v90, v31, v90, 0x3e088382
	;; [unrolled: 1-line block ×3, first 2 shown]
	v_mul_f32_e64 v90, |v28|, v90
	v_fma_f32 v31, v31, v90, |v28|
; %bb.97:                               ;   in Loop: Header=BB71_45 Depth=1
	s_or_b64 exec, exec, s[6:7]
	v_cmp_nlt_f32_e64 s[6:7], |v29|, s8
                                        ; implicit-def: $vgpr90
	s_and_saveexec_b64 s[26:27], s[6:7]
	s_xor_b64 s[6:7], exec, s[26:27]
	s_cbranch_execz .LBB71_99
; %bb.98:                               ;   in Loop: Header=BB71_45 Depth=1
	v_add_f32_e64 v90, |v29|, |v29|
	v_mul_f32_e32 v91, 0x3fb8aa3b, v90
	v_rndne_f32_e32 v94, v91
	v_sub_f32_e32 v95, v91, v94
	v_fma_f32 v91, v90, s9, -v91
	v_fmac_f32_e32 v91, 0x32a5705f, v90
	v_add_f32_e32 v91, v95, v91
	v_cvt_i32_f32_e32 v94, v94
	v_exp_f32_e32 v91, v91
	v_cmp_ngt_f32_e32 vcc, s15, v90
	v_ldexp_f32 v91, v91, v94
	s_nop 0
	v_cndmask_b32_e32 v91, 0, v91, vcc
	v_cmp_nlt_f32_e32 vcc, s20, v90
	s_nop 1
	v_cndmask_b32_e32 v90, v52, v91, vcc
	v_add_f32_e32 v90, 1.0, v90
	v_rcp_f32_e32 v90, v90
	s_nop 0
	v_fma_f32 v90, v90, -2.0, 1.0
.LBB71_99:                              ;   in Loop: Header=BB71_45 Depth=1
	s_andn2_saveexec_b64 s[6:7], s[6:7]
; %bb.100:                              ;   in Loop: Header=BB71_45 Depth=1
	v_mul_f32_e32 v90, v29, v29
	v_fmamk_f32 v91, v90, 0xbbbac73d, v50
	v_fmaak_f32 v91, v90, v91, 0xbd5c1c4e
	v_fmaak_f32 v91, v90, v91, 0x3e088382
	;; [unrolled: 1-line block ×3, first 2 shown]
	v_mul_f32_e64 v91, |v29|, v91
	v_fma_f32 v90, v90, v91, |v29|
; %bb.101:                              ;   in Loop: Header=BB71_45 Depth=1
	s_or_b64 exec, exec, s[6:7]
	v_bfi_b32 v28, s21, v31, v28
	v_bfi_b32 v29, s21, v90, v29
	v_fma_f32 v91, s10, v28, v77
	v_fma_f32 v90, s10, v29, v76
	v_add_f32_e32 v28, 0x40051340, v91
	v_add_f32_e32 v29, 0x40051340, v90
	v_max3_f32 v28, v59, v28, v29
	ds_bpermute_b32 v29, v0, v28
	v_cmp_nlt_f32_e64 s[6:7], |v6|, s8
                                        ; implicit-def: $vgpr31
	s_waitcnt lgkmcnt(0)
	v_max_f32_e32 v29, v29, v29
	v_max_f32_e32 v28, v28, v29
	ds_bpermute_b32 v29, v1, v28
	s_waitcnt lgkmcnt(0)
	v_max_f32_e32 v29, v29, v29
	v_max_f32_e32 v28, v28, v29
	ds_bpermute_b32 v29, v2, v28
	;; [unrolled: 4-line block ×4, first 2 shown]
	s_and_saveexec_b64 s[26:27], s[6:7]
	s_xor_b64 s[6:7], exec, s[26:27]
	s_cbranch_execz .LBB71_103
; %bb.102:                              ;   in Loop: Header=BB71_45 Depth=1
	v_add_f32_e64 v31, |v6|, |v6|
	v_mul_f32_e32 v94, 0x3fb8aa3b, v31
	v_rndne_f32_e32 v95, v94
	v_sub_f32_e32 v96, v94, v95
	v_fma_f32 v94, v31, s9, -v94
	v_fmac_f32_e32 v94, 0x32a5705f, v31
	v_add_f32_e32 v94, v96, v94
	v_cvt_i32_f32_e32 v95, v95
	v_exp_f32_e32 v94, v94
	v_cmp_ngt_f32_e32 vcc, s15, v31
	v_ldexp_f32 v94, v94, v95
	s_nop 0
	v_cndmask_b32_e32 v94, 0, v94, vcc
	v_cmp_nlt_f32_e32 vcc, s20, v31
	s_nop 1
	v_cndmask_b32_e32 v31, v52, v94, vcc
	v_add_f32_e32 v31, 1.0, v31
	v_rcp_f32_e32 v31, v31
	s_nop 0
	v_fma_f32 v31, v31, -2.0, 1.0
.LBB71_103:                             ;   in Loop: Header=BB71_45 Depth=1
	s_andn2_saveexec_b64 s[6:7], s[6:7]
; %bb.104:                              ;   in Loop: Header=BB71_45 Depth=1
	v_mul_f32_e32 v31, v6, v6
	v_fmamk_f32 v94, v31, 0xbbbac73d, v50
	v_fmaak_f32 v94, v31, v94, 0xbd5c1c4e
	v_fmaak_f32 v94, v31, v94, 0x3e088382
	;; [unrolled: 1-line block ×3, first 2 shown]
	v_mul_f32_e64 v94, |v6|, v94
	v_fma_f32 v31, v31, v94, |v6|
; %bb.105:                              ;   in Loop: Header=BB71_45 Depth=1
	s_or_b64 exec, exec, s[6:7]
	v_cmp_nlt_f32_e64 s[6:7], |v7|, s8
                                        ; implicit-def: $vgpr94
	s_and_saveexec_b64 s[26:27], s[6:7]
	s_xor_b64 s[6:7], exec, s[26:27]
	s_cbranch_execz .LBB71_107
; %bb.106:                              ;   in Loop: Header=BB71_45 Depth=1
	v_add_f32_e64 v94, |v7|, |v7|
	v_mul_f32_e32 v95, 0x3fb8aa3b, v94
	v_rndne_f32_e32 v96, v95
	v_sub_f32_e32 v97, v95, v96
	v_fma_f32 v95, v94, s9, -v95
	v_fmac_f32_e32 v95, 0x32a5705f, v94
	v_add_f32_e32 v95, v97, v95
	v_cvt_i32_f32_e32 v96, v96
	v_exp_f32_e32 v95, v95
	v_cmp_ngt_f32_e32 vcc, s15, v94
	v_ldexp_f32 v95, v95, v96
	s_nop 0
	v_cndmask_b32_e32 v95, 0, v95, vcc
	v_cmp_nlt_f32_e32 vcc, s20, v94
	s_nop 1
	v_cndmask_b32_e32 v94, v52, v95, vcc
	v_add_f32_e32 v94, 1.0, v94
	v_rcp_f32_e32 v94, v94
	s_nop 0
	v_fma_f32 v94, v94, -2.0, 1.0
.LBB71_107:                             ;   in Loop: Header=BB71_45 Depth=1
	s_andn2_saveexec_b64 s[6:7], s[6:7]
; %bb.108:                              ;   in Loop: Header=BB71_45 Depth=1
	v_mul_f32_e32 v94, v7, v7
	v_fmamk_f32 v95, v94, 0xbbbac73d, v50
	v_fmaak_f32 v95, v94, v95, 0xbd5c1c4e
	v_fmaak_f32 v95, v94, v95, 0x3e088382
	;; [unrolled: 1-line block ×3, first 2 shown]
	v_mul_f32_e64 v95, |v7|, v95
	v_fma_f32 v94, v94, v95, |v7|
; %bb.109:                              ;   in Loop: Header=BB71_45 Depth=1
	s_or_b64 exec, exec, s[6:7]
	v_bfi_b32 v6, s21, v31, v6
	v_bfi_b32 v7, s21, v94, v7
	v_fmac_f32_e32 v77, s10, v6
	v_fmac_f32_e32 v76, s10, v7
	v_add_f32_e32 v6, 0x40051340, v77
	v_add_f32_e32 v7, 0x40051340, v76
	v_max3_f32 v7, v58, v6, v7
	ds_bpermute_b32 v0, v0, v7
	s_waitcnt lgkmcnt(1)
	v_max_f32_e32 v29, v29, v29
	v_max_f32_e32 v6, v28, v28
	v_max_f32_e32 v6, v6, v29
	v_max_f32_e32 v28, v30, v30
	s_waitcnt lgkmcnt(0)
	v_max_f32_e32 v0, v0, v0
	v_max_f32_e32 v0, v7, v0
	ds_bpermute_b32 v1, v1, v0
	v_max_f32_e32 v7, v93, v93
	v_max_f32_e32 v4, v4, v4
	v_max_f32_e32 v3, v3, v3
	v_max_f32_e32 v5, v5, v5
	s_waitcnt lgkmcnt(0)
	v_max_f32_e32 v1, v1, v1
	v_max_f32_e32 v0, v0, v1
	ds_bpermute_b32 v1, v2, v0
	;; [unrolled: 8-line block ×4, first 2 shown]
	v_max_f32_e32 v28, v85, v85
	v_max_f32_e32 v1, v28, v7
	;; [unrolled: 1-line block ×5, first 2 shown]
	s_waitcnt lgkmcnt(0)
	v_max_f32_e32 v7, v30, v30
	v_sub_f32_e32 v28, v79, v0
	v_max_f32_e32 v7, v29, v7
	v_mul_f32_e32 v29, 0x3fb8aa3b, v28
	v_fma_f32 v30, v28, s9, -v29
	v_rndne_f32_e32 v31, v29
	v_fmac_f32_e32 v30, 0x32a5705f, v28
	v_sub_f32_e32 v29, v29, v31
	v_add_f32_e32 v29, v29, v30
	v_exp_f32_e32 v29, v29
	v_cvt_i32_f32_e32 v30, v31
	v_sub_f32_e32 v31, v26, v0
	v_cmp_ngt_f32_e32 vcc, s15, v28
	v_sub_f32_e32 v59, v59, v6
	v_ldexp_f32 v26, v29, v30
	v_sub_f32_e32 v29, v78, v0
	v_mul_f32_e32 v30, 0x3fb8aa3b, v29
	v_fma_f32 v78, v29, s9, -v30
	v_rndne_f32_e32 v79, v30
	v_fmac_f32_e32 v78, 0x32a5705f, v29
	v_sub_f32_e32 v30, v30, v79
	v_add_f32_e32 v30, v30, v78
	v_cvt_i32_f32_e32 v78, v79
	v_mul_f32_e32 v79, 0x3fb8aa3b, v31
	v_fma_f32 v80, v31, s9, -v79
	v_rndne_f32_e32 v81, v79
	v_fmac_f32_e32 v80, 0x32a5705f, v31
	v_sub_f32_e32 v79, v79, v81
	v_add_f32_e32 v79, v79, v80
	v_exp_f32_e32 v30, v30
	v_exp_f32_e32 v79, v79
	v_cvt_i32_f32_e32 v80, v81
	v_cndmask_b32_e32 v26, 0, v26, vcc
	v_cmp_nlt_f32_e32 vcc, s20, v28
	v_ldexp_f32 v28, v30, v78
	v_ldexp_f32 v30, v79, v80
	v_cndmask_b32_e32 v26, v52, v26, vcc
	v_cmp_ngt_f32_e32 vcc, s15, v31
	s_mul_hi_i32 s7, s2, s11
	s_mul_i32 s6, s2, s11
	v_cndmask_b32_e32 v30, 0, v30, vcc
	v_cmp_nlt_f32_e32 vcc, s20, v31
	s_barrier
	s_nop 0
	v_cndmask_b32_e32 v30, v52, v30, vcc
	v_cvt_f16_f32_e32 v31, v30
	v_cmp_ngt_f32_e32 vcc, s15, v29
	s_nop 1
	v_cndmask_b32_e32 v28, 0, v28, vcc
	v_cmp_nlt_f32_e32 vcc, s20, v29
	v_mul_u32_u24_e32 v29, 0x10001, v31
	v_sub_f32_e32 v31, v69, v1
	v_mul_f32_e32 v69, 0x3fb8aa3b, v31
	v_fma_f32 v78, v31, s9, -v69
	v_rndne_f32_e32 v79, v69
	v_fmac_f32_e32 v78, 0x32a5705f, v31
	v_sub_f32_e32 v69, v69, v79
	v_add_f32_e32 v69, v69, v78
	v_exp_f32_e32 v80, v69
	v_cvt_i32_f32_e32 v79, v79
	v_pk_mul_f16 v78, v36, v29
	v_sub_f32_e32 v36, v67, v1
	v_pk_mul_f16 v69, v37, v29
	v_mul_f32_e32 v37, 0x3fb8aa3b, v36
	v_sub_f32_e32 v29, v27, v1
	v_ldexp_f32 v27, v80, v79
	v_fma_f32 v67, v36, s9, -v37
	v_rndne_f32_e32 v79, v37
	v_fmac_f32_e32 v67, 0x32a5705f, v36
	v_sub_f32_e32 v37, v37, v79
	v_add_f32_e32 v37, v37, v67
	v_cvt_i32_f32_e32 v67, v79
	v_mul_f32_e32 v79, 0x3fb8aa3b, v29
	v_fma_f32 v80, v29, s9, -v79
	v_rndne_f32_e32 v81, v79
	v_fmac_f32_e32 v80, 0x32a5705f, v29
	v_sub_f32_e32 v79, v79, v81
	v_add_f32_e32 v79, v79, v80
	v_exp_f32_e32 v79, v79
	v_cvt_i32_f32_e32 v80, v81
	v_cndmask_b32_e32 v28, v52, v28, vcc
	v_cmp_ngt_f32_e32 vcc, s15, v31
	v_exp_f32_e32 v37, v37
	s_nop 0
	v_cndmask_b32_e32 v27, 0, v27, vcc
	v_cmp_nlt_f32_e32 vcc, s20, v31
	v_ldexp_f32 v31, v79, v80
	v_ldexp_f32 v37, v37, v67
	v_cndmask_b32_e32 v27, v52, v27, vcc
	v_cmp_ngt_f32_e32 vcc, s15, v29
	s_nop 1
	v_cndmask_b32_e32 v31, 0, v31, vcc
	v_cmp_nlt_f32_e32 vcc, s20, v29
	s_nop 1
	v_cndmask_b32_e32 v31, v52, v31, vcc
	v_cvt_f16_f32_e32 v67, v31
	v_cmp_ngt_f32_e32 vcc, s15, v36
	s_nop 1
	v_cndmask_b32_e32 v29, 0, v37, vcc
	v_sub_f32_e32 v37, v84, v2
	v_cmp_nlt_f32_e32 vcc, s20, v36
	v_mul_u32_u24_e32 v36, 0x10001, v67
	v_mul_f32_e32 v67, 0x3fb8aa3b, v37
	v_fma_f32 v79, v37, s9, -v67
	v_rndne_f32_e32 v80, v67
	v_fmac_f32_e32 v79, 0x32a5705f, v37
	v_sub_f32_e32 v67, v67, v80
	v_add_f32_e32 v67, v67, v79
	v_exp_f32_e32 v67, v67
	v_cvt_i32_f32_e32 v79, v80
	v_pk_mul_f16 v83, v34, v36
	v_sub_f32_e32 v34, v61, v2
	v_sub_f32_e32 v61, v65, v2
	v_pk_mul_f16 v82, v32, v36
	v_mul_f32_e32 v36, 0x3fb8aa3b, v61
	v_ldexp_f32 v32, v67, v79
	v_fma_f32 v65, v61, s9, -v36
	v_rndne_f32_e32 v67, v36
	v_fmac_f32_e32 v65, 0x32a5705f, v61
	v_sub_f32_e32 v36, v36, v67
	v_add_f32_e32 v36, v36, v65
	v_cvt_i32_f32_e32 v65, v67
	v_mul_f32_e32 v67, 0x3fb8aa3b, v34
	v_fma_f32 v79, v34, s9, -v67
	v_rndne_f32_e32 v80, v67
	v_fmac_f32_e32 v79, 0x32a5705f, v34
	v_sub_f32_e32 v67, v67, v80
	v_add_f32_e32 v67, v67, v79
	v_exp_f32_e32 v36, v36
	v_exp_f32_e32 v67, v67
	v_cvt_i32_f32_e32 v79, v80
	v_cndmask_b32_e32 v29, v52, v29, vcc
	v_cmp_ngt_f32_e32 vcc, s15, v37
	s_nop 1
	v_cndmask_b32_e32 v32, 0, v32, vcc
	v_cmp_nlt_f32_e32 vcc, s20, v37
	v_ldexp_f32 v37, v36, v65
	v_ldexp_f32 v36, v67, v79
	v_cndmask_b32_e32 v32, v52, v32, vcc
	v_cmp_ngt_f32_e32 vcc, s15, v34
	s_nop 1
	v_cndmask_b32_e32 v36, 0, v36, vcc
	v_cmp_nlt_f32_e32 vcc, s20, v34
	s_nop 1
	v_cndmask_b32_e32 v36, v52, v36, vcc
	v_cvt_f16_f32_e32 v65, v36
	v_cmp_ngt_f32_e32 vcc, s15, v61
	s_nop 1
	v_cndmask_b32_e32 v34, 0, v37, vcc
	v_cmp_nlt_f32_e32 vcc, s20, v61
	v_sub_f32_e32 v61, v68, v3
	v_mul_u32_u24_e32 v37, 0x10001, v65
	v_mul_f32_e32 v65, 0x3fb8aa3b, v61
	v_fma_f32 v67, v61, s9, -v65
	v_rndne_f32_e32 v68, v65
	v_fmac_f32_e32 v67, 0x32a5705f, v61
	v_sub_f32_e32 v65, v65, v68
	v_add_f32_e32 v65, v65, v67
	v_exp_f32_e32 v65, v65
	v_cvt_i32_f32_e32 v67, v68
	v_pk_mul_f16 v79, v35, v37
	v_sub_f32_e32 v35, v60, v3
	v_sub_f32_e32 v60, v63, v3
	v_pk_mul_f16 v68, v33, v37
	v_mul_f32_e32 v37, 0x3fb8aa3b, v60
	v_ldexp_f32 v33, v65, v67
	v_fma_f32 v63, v60, s9, -v37
	v_rndne_f32_e32 v65, v37
	v_fmac_f32_e32 v63, 0x32a5705f, v60
	v_sub_f32_e32 v37, v37, v65
	v_add_f32_e32 v37, v37, v63
	v_cvt_i32_f32_e32 v63, v65
	v_mul_f32_e32 v65, 0x3fb8aa3b, v35
	v_fma_f32 v67, v35, s9, -v65
	v_rndne_f32_e32 v80, v65
	v_fmac_f32_e32 v67, 0x32a5705f, v35
	v_sub_f32_e32 v65, v65, v80
	v_add_f32_e32 v65, v65, v67
	v_exp_f32_e32 v37, v37
	v_exp_f32_e32 v65, v65
	v_cvt_i32_f32_e32 v67, v80
	v_cndmask_b32_e32 v34, v52, v34, vcc
	v_cmp_ngt_f32_e32 vcc, s15, v61
	s_nop 1
	v_cndmask_b32_e32 v33, 0, v33, vcc
	v_cmp_nlt_f32_e32 vcc, s20, v61
	v_ldexp_f32 v61, v37, v63
	v_ldexp_f32 v37, v65, v67
	v_cndmask_b32_e32 v33, v52, v33, vcc
	v_cmp_ngt_f32_e32 vcc, s15, v35
	s_nop 1
	v_cndmask_b32_e32 v37, 0, v37, vcc
	v_cmp_nlt_f32_e32 vcc, s20, v35
	s_nop 1
	v_cndmask_b32_e32 v37, v52, v37, vcc
	v_cvt_f16_f32_e32 v63, v37
	v_cmp_ngt_f32_e32 vcc, s15, v60
	s_nop 1
	v_cndmask_b32_e32 v35, 0, v61, vcc
	v_sub_f32_e32 v61, v66, v4
	v_cmp_nlt_f32_e32 vcc, s20, v60
	v_mul_u32_u24_e32 v60, 0x10001, v63
	v_mul_f32_e32 v63, 0x3fb8aa3b, v61
	v_fma_f32 v65, v61, s9, -v63
	v_rndne_f32_e32 v66, v63
	v_fmac_f32_e32 v65, 0x32a5705f, v61
	v_sub_f32_e32 v63, v63, v66
	v_add_f32_e32 v63, v63, v65
	v_exp_f32_e32 v63, v63
	v_cvt_i32_f32_e32 v65, v66
	v_pk_mul_f16 v84, v38, v60
	v_pk_mul_f16 v85, v40, v60
	v_sub_f32_e32 v60, v62, v4
	v_sub_f32_e32 v40, v42, v4
	v_mul_f32_e32 v42, 0x3fb8aa3b, v60
	v_ldexp_f32 v38, v63, v65
	v_fma_f32 v62, v60, s9, -v42
	v_rndne_f32_e32 v63, v42
	v_fmac_f32_e32 v62, 0x32a5705f, v60
	v_sub_f32_e32 v42, v42, v63
	v_add_f32_e32 v42, v42, v62
	v_cvt_i32_f32_e32 v62, v63
	v_mul_f32_e32 v63, 0x3fb8aa3b, v40
	v_fma_f32 v65, v40, s9, -v63
	v_rndne_f32_e32 v66, v63
	v_fmac_f32_e32 v65, 0x32a5705f, v40
	v_sub_f32_e32 v63, v63, v66
	v_add_f32_e32 v63, v63, v65
	v_exp_f32_e32 v42, v42
	v_exp_f32_e32 v63, v63
	v_cvt_i32_f32_e32 v65, v66
	v_cndmask_b32_e32 v35, v52, v35, vcc
	v_cmp_ngt_f32_e32 vcc, s15, v61
	v_sub_f32_e32 v66, v90, v6
	s_nop 0
	v_cndmask_b32_e32 v38, 0, v38, vcc
	v_cmp_nlt_f32_e32 vcc, s20, v61
	v_ldexp_f32 v61, v42, v62
	v_ldexp_f32 v42, v63, v65
	v_cndmask_b32_e32 v38, v52, v38, vcc
	v_cmp_ngt_f32_e32 vcc, s15, v40
	s_nop 1
	v_cndmask_b32_e32 v42, 0, v42, vcc
	v_cmp_nlt_f32_e32 vcc, s20, v40
	s_nop 1
	v_cndmask_b32_e32 v42, v52, v42, vcc
	v_cvt_f16_f32_e32 v62, v42
	v_cmp_ngt_f32_e32 vcc, s15, v60
	s_nop 1
	v_cndmask_b32_e32 v40, 0, v61, vcc
	v_sub_f32_e32 v61, v89, v5
	v_cmp_nlt_f32_e32 vcc, s20, v60
	v_mul_u32_u24_e32 v60, 0x10001, v62
	v_mul_f32_e32 v62, 0x3fb8aa3b, v61
	v_fma_f32 v63, v61, s9, -v62
	v_rndne_f32_e32 v65, v62
	v_fmac_f32_e32 v63, 0x32a5705f, v61
	v_sub_f32_e32 v62, v62, v65
	v_add_f32_e32 v62, v62, v63
	v_exp_f32_e32 v62, v62
	v_cvt_i32_f32_e32 v63, v65
	v_pk_mul_f16 v86, v39, v60
	v_pk_mul_f16 v87, v41, v60
	v_sub_f32_e32 v60, v64, v5
	v_sub_f32_e32 v41, v43, v5
	v_mul_f32_e32 v43, 0x3fb8aa3b, v60
	v_ldexp_f32 v39, v62, v63
	v_fma_f32 v62, v60, s9, -v43
	v_rndne_f32_e32 v63, v43
	v_fmac_f32_e32 v62, 0x32a5705f, v60
	v_sub_f32_e32 v43, v43, v63
	v_add_f32_e32 v43, v43, v62
	v_cvt_i32_f32_e32 v62, v63
	v_mul_f32_e32 v63, 0x3fb8aa3b, v41
	v_fma_f32 v64, v41, s9, -v63
	v_rndne_f32_e32 v65, v63
	v_fmac_f32_e32 v64, 0x32a5705f, v41
	v_sub_f32_e32 v63, v63, v65
	v_add_f32_e32 v63, v63, v64
	v_exp_f32_e32 v43, v43
	v_exp_f32_e32 v63, v63
	v_cvt_i32_f32_e32 v64, v65
	v_cndmask_b32_e32 v40, v52, v40, vcc
	v_cmp_ngt_f32_e32 vcc, s15, v61
	s_nop 1
	v_cndmask_b32_e32 v39, 0, v39, vcc
	v_cmp_nlt_f32_e32 vcc, s20, v61
	v_ldexp_f32 v61, v43, v62
	v_ldexp_f32 v43, v63, v64
	v_cndmask_b32_e32 v39, v52, v39, vcc
	v_cmp_ngt_f32_e32 vcc, s15, v41
	v_sub_f32_e32 v64, v91, v6
	s_nop 0
	v_cndmask_b32_e32 v43, 0, v43, vcc
	v_cmp_nlt_f32_e32 vcc, s20, v41
	s_nop 1
	v_cndmask_b32_e32 v43, v52, v43, vcc
	v_cvt_f16_f32_e32 v62, v43
	v_cmp_ngt_f32_e32 vcc, s15, v60
	s_nop 1
	v_cndmask_b32_e32 v41, 0, v61, vcc
	v_mul_f32_e32 v61, 0x3fb8aa3b, v64
	v_cmp_nlt_f32_e32 vcc, s20, v60
	v_mul_u32_u24_e32 v60, 0x10001, v62
	v_fma_f32 v62, v64, s9, -v61
	v_rndne_f32_e32 v63, v61
	v_fmac_f32_e32 v62, 0x32a5705f, v64
	v_sub_f32_e32 v61, v61, v63
	v_add_f32_e32 v61, v61, v62
	v_exp_f32_e32 v61, v61
	v_cvt_i32_f32_e32 v62, v63
	v_cndmask_b32_e32 v41, v52, v41, vcc
	v_pk_mul_f16 v88, v56, v60
	v_cmp_ngt_f32_e32 vcc, s15, v64
	v_ldexp_f32 v56, v61, v62
	v_pk_mul_f16 v89, v57, v60
	v_cndmask_b32_e32 v65, 0, v56, vcc
	v_mul_f32_e32 v56, 0x3fb8aa3b, v66
	v_fma_f32 v57, v66, s9, -v56
	v_rndne_f32_e32 v60, v56
	v_fmac_f32_e32 v57, 0x32a5705f, v66
	v_sub_f32_e32 v56, v56, v60
	v_add_f32_e32 v56, v56, v57
	v_exp_f32_e32 v67, v56
	v_mul_f32_e32 v56, 0x3fb8aa3b, v59
	v_cvt_i32_f32_e32 v80, v60
	v_fma_f32 v57, v59, s9, -v56
	v_rndne_f32_e32 v60, v56
	v_fmac_f32_e32 v57, 0x32a5705f, v59
	v_sub_f32_e32 v56, v56, v60
	v_add_f32_e32 v56, v56, v57
	v_exp_f32_e32 v81, v56
	v_lshl_add_u64 v[56:57], s[6:7], 2, v[22:23]
	v_cvt_i32_f32_e32 v90, v60
	global_load_dwordx4 v[60:63], v[56:57], off
	v_cmp_nlt_f32_e32 vcc, s20, v64
	v_ldexp_f32 v57, v67, v80
	v_ldexp_f32 v64, v81, v90
	v_cndmask_b32_e32 v56, v52, v65, vcc
	v_cmp_ngt_f32_e32 vcc, s15, v59
	s_or_b32 s6, s2, 16
	s_mul_hi_i32 s7, s6, s11
	v_cndmask_b32_e32 v64, 0, v64, vcc
	v_cmp_nlt_f32_e32 vcc, s20, v59
	s_mul_i32 s6, s6, s11
	s_nop 0
	v_cndmask_b32_e32 v64, v52, v64, vcc
	v_cvt_f16_f32_e32 v59, v64
	v_cmp_ngt_f32_e32 vcc, s15, v66
	s_nop 1
	v_cndmask_b32_e32 v57, 0, v57, vcc
	v_cmp_nlt_f32_e32 vcc, s20, v66
	s_nop 1
	v_cndmask_b32_e32 v66, v52, v57, vcc
	v_mul_u32_u24_e32 v57, 0x10001, v59
	v_sub_f32_e32 v59, v77, v7
	v_mul_f32_e32 v65, 0x3fb8aa3b, v59
	v_fma_f32 v67, v59, s9, -v65
	v_rndne_f32_e32 v77, v65
	v_fmac_f32_e32 v67, 0x32a5705f, v59
	v_sub_f32_e32 v65, v65, v77
	v_add_f32_e32 v65, v65, v67
	v_exp_f32_e32 v65, v65
	v_cvt_i32_f32_e32 v67, v77
	v_pk_mul_f16 v90, v54, v57
	v_sub_f32_e32 v54, v58, v7
	v_sub_f32_e32 v58, v76, v7
	v_pk_mul_f16 v91, v55, v57
	v_mul_f32_e32 v57, 0x3fb8aa3b, v58
	v_ldexp_f32 v55, v65, v67
	v_fma_f32 v65, v58, s9, -v57
	v_rndne_f32_e32 v67, v57
	v_fmac_f32_e32 v65, 0x32a5705f, v58
	v_sub_f32_e32 v57, v57, v67
	v_add_f32_e32 v57, v57, v65
	v_exp_f32_e32 v65, v57
	v_cvt_i32_f32_e32 v67, v67
	v_cmp_ngt_f32_e32 vcc, s15, v59
	v_pk_add_f32 v[76:77], v[38:39], v[40:41]
	s_nop 0
	v_cndmask_b32_e32 v55, 0, v55, vcc
	v_cmp_nlt_f32_e32 vcc, s20, v59
	v_mul_f32_e32 v59, 0x3fb8aa3b, v54
	v_pk_fma_f32 v[10:11], v[10:11], v[42:43], v[76:77]
	v_cndmask_b32_e32 v57, v52, v55, vcc
	v_ldexp_f32 v55, v65, v67
	v_fma_f32 v65, v54, s9, -v59
	v_rndne_f32_e32 v67, v59
	v_fmac_f32_e32 v65, 0x32a5705f, v54
	v_sub_f32_e32 v59, v59, v67
	v_add_f32_e32 v59, v59, v65
	v_exp_f32_e32 v59, v59
	v_cvt_i32_f32_e32 v65, v67
	v_cmp_ngt_f32_e32 vcc, s15, v58
	s_nop 1
	v_cndmask_b32_e32 v55, 0, v55, vcc
	v_cmp_nlt_f32_e32 vcc, s20, v58
	s_nop 1
	v_cndmask_b32_e32 v67, v52, v55, vcc
	v_ldexp_f32 v55, v59, v65
	v_cmp_ngt_f32_e32 vcc, s15, v54
	v_pk_add_f32 v[80:81], v[56:57], v[66:67]
	v_pk_add_f32 v[58:59], v[32:33], v[34:35]
	v_cndmask_b32_e32 v55, 0, v55, vcc
	v_cmp_nlt_f32_e32 vcc, s20, v54
	v_cvt_pk_f16_f32 v57, v56, v57
	v_cvt_pk_f16_f32 v56, v38, v39
	v_cndmask_b32_e32 v65, v52, v55, vcc
	v_pk_fma_f32 v[8:9], v[8:9], v[64:65], v[80:81]
	v_cvt_f16_f32_e32 v64, v65
	v_pk_add_f32 v[54:55], v[26:27], v[28:29]
	v_pk_fma_f32 v[12:13], v[12:13], v[36:37], v[58:59]
	v_pk_fma_f32 v[14:15], v[14:15], v[30:31], v[54:55]
	v_mul_u32_u24_e32 v30, 0x10001, v64
	v_pk_mul_f16 v42, v53, v30
	v_pk_mul_f16 v25, v25, v30
	v_cvt_pk_f16_f32 v55, v32, v33
	v_cvt_pk_f16_f32 v54, v26, v27
	;; [unrolled: 1-line block ×6, first 2 shown]
	ds_write_b128 v51, v[54:57]
	ds_write_b128 v51, v[30:33] offset:512
	s_waitcnt vmcnt(0)
	ds_write_b128 v49, v[60:63]
	s_waitcnt lgkmcnt(0)
	s_barrier
	ds_read_b128 v[26:29], v48
	ds_read2_b64 v[30:33], v24 offset1:32
	ds_read_b128 v[34:37], v48 offset:16
	ds_read_b128 v[38:41], v48 offset:32
	;; [unrolled: 1-line block ×3, first 2 shown]
	s_waitcnt lgkmcnt(4)
	v_mul_u32_u24_sdwa v43, v26, s24 dst_sel:DWORD dst_unused:UNUSED_PAD src0_sel:WORD_0 src1_sel:DWORD
	v_mul_u32_u24_sdwa v26, v26, s24 dst_sel:DWORD dst_unused:UNUSED_PAD src0_sel:WORD_1 src1_sel:DWORD
	v_mul_u32_u24_sdwa v53, v27, s24 dst_sel:DWORD dst_unused:UNUSED_PAD src0_sel:WORD_0 src1_sel:DWORD
	v_mul_u32_u24_sdwa v27, v27, s24 dst_sel:DWORD dst_unused:UNUSED_PAD src0_sel:WORD_1 src1_sel:DWORD
	;; [unrolled: 2-line block ×4, first 2 shown]
	s_waitcnt lgkmcnt(3)
	v_pk_fma_f16 v60, v30, v43, v78
	v_pk_fma_f16 v61, v30, v26, v82
	;; [unrolled: 1-line block ×16, first 2 shown]
	s_waitcnt lgkmcnt(2)
	v_mul_u32_u24_sdwa v29, v34, s24 dst_sel:DWORD dst_unused:UNUSED_PAD src0_sel:WORD_0 src1_sel:DWORD
	v_mul_u32_u24_sdwa v31, v34, s24 dst_sel:DWORD dst_unused:UNUSED_PAD src0_sel:WORD_1 src1_sel:DWORD
	v_mul_u32_u24_sdwa v34, v35, s24 dst_sel:DWORD dst_unused:UNUSED_PAD src0_sel:WORD_0 src1_sel:DWORD
	v_mul_u32_u24_sdwa v35, v35, s24 dst_sel:DWORD dst_unused:UNUSED_PAD src0_sel:WORD_1 src1_sel:DWORD
	;; [unrolled: 2-line block ×4, first 2 shown]
	v_pk_fma_f16 v60, v32, v29, v60
	v_pk_fma_f16 v61, v32, v31, v61
	;; [unrolled: 1-line block ×12, first 2 shown]
	ds_read2_b64 v[26:29], v24 offset0:64 offset1:96
	v_pk_fma_f16 v34, v33, v34, v43
	v_pk_fma_f16 v42, v33, v59, v53
	v_pk_fma_f16 v43, v33, v67, v58
	v_pk_fma_f16 v25, v33, v37, v25
	s_waitcnt lgkmcnt(2)
	v_mul_u32_u24_sdwa v33, v38, s24 dst_sel:DWORD dst_unused:UNUSED_PAD src0_sel:WORD_0 src1_sel:DWORD
	v_mul_u32_u24_sdwa v37, v38, s24 dst_sel:DWORD dst_unused:UNUSED_PAD src0_sel:WORD_1 src1_sel:DWORD
	v_mul_u32_u24_sdwa v38, v39, s24 dst_sel:DWORD dst_unused:UNUSED_PAD src0_sel:WORD_0 src1_sel:DWORD
	v_mul_u32_u24_sdwa v39, v39, s24 dst_sel:DWORD dst_unused:UNUSED_PAD src0_sel:WORD_1 src1_sel:DWORD
	;; [unrolled: 2-line block ×4, first 2 shown]
	s_waitcnt lgkmcnt(0)
	v_pk_fma_f16 v59, v26, v33, v60
	v_pk_fma_f16 v60, v26, v37, v61
	;; [unrolled: 1-line block ×16, first 2 shown]
	v_mul_u32_u24_sdwa v27, v54, s24 dst_sel:DWORD dst_unused:UNUSED_PAD src0_sel:WORD_0 src1_sel:DWORD
	v_mul_u32_u24_sdwa v37, v54, s24 dst_sel:DWORD dst_unused:UNUSED_PAD src0_sel:WORD_1 src1_sel:DWORD
	v_mul_u32_u24_sdwa v38, v55, s24 dst_sel:DWORD dst_unused:UNUSED_PAD src0_sel:WORD_0 src1_sel:DWORD
	v_mul_u32_u24_sdwa v39, v55, s24 dst_sel:DWORD dst_unused:UNUSED_PAD src0_sel:WORD_1 src1_sel:DWORD
	;; [unrolled: 2-line block ×4, first 2 shown]
	v_pk_fma_f16 v55, v28, v38, v61
	v_pk_fma_f16 v56, v28, v39, v62
	;; [unrolled: 1-line block ×6, first 2 shown]
	ds_read_b128 v[30:33], v48 offset:64
	v_pk_fma_f16 v53, v28, v27, v59
	v_pk_fma_f16 v54, v28, v37, v60
	;; [unrolled: 1-line block ×10, first 2 shown]
	ds_read2_b64 v[26:29], v24 offset0:128 offset1:160
	ds_read_b128 v[34:37], v48 offset:80
	s_waitcnt lgkmcnt(2)
	v_mul_u32_u24_sdwa v43, v30, s24 dst_sel:DWORD dst_unused:UNUSED_PAD src0_sel:WORD_0 src1_sel:DWORD
	v_mul_u32_u24_sdwa v30, v30, s24 dst_sel:DWORD dst_unused:UNUSED_PAD src0_sel:WORD_1 src1_sel:DWORD
	v_mul_u32_u24_sdwa v63, v31, s24 dst_sel:DWORD dst_unused:UNUSED_PAD src0_sel:WORD_0 src1_sel:DWORD
	v_mul_u32_u24_sdwa v31, v31, s24 dst_sel:DWORD dst_unused:UNUSED_PAD src0_sel:WORD_1 src1_sel:DWORD
	;; [unrolled: 2-line block ×4, first 2 shown]
	s_waitcnt lgkmcnt(1)
	v_pk_fma_f16 v53, v26, v43, v53
	v_pk_fma_f16 v54, v26, v30, v54
	v_pk_fma_f16 v55, v26, v63, v55
	v_pk_fma_f16 v56, v26, v31, v56
	v_pk_fma_f16 v57, v26, v64, v57
	v_pk_fma_f16 v58, v26, v32, v58
	v_pk_fma_f16 v59, v26, v65, v59
	v_pk_fma_f16 v26, v26, v33, v60
	v_pk_fma_f16 v43, v27, v43, v61
	v_pk_fma_f16 v30, v27, v30, v62
	v_pk_fma_f16 v38, v27, v63, v38
	v_pk_fma_f16 v31, v27, v31, v39
	v_pk_fma_f16 v39, v27, v64, v40
	v_pk_fma_f16 v32, v27, v32, v41
	v_pk_fma_f16 v40, v27, v65, v42
	v_pk_fma_f16 v25, v27, v33, v25
	s_waitcnt lgkmcnt(0)
	v_mul_u32_u24_sdwa v27, v34, s24 dst_sel:DWORD dst_unused:UNUSED_PAD src0_sel:WORD_0 src1_sel:DWORD
	v_mul_u32_u24_sdwa v33, v34, s24 dst_sel:DWORD dst_unused:UNUSED_PAD src0_sel:WORD_1 src1_sel:DWORD
	v_mul_u32_u24_sdwa v34, v35, s24 dst_sel:DWORD dst_unused:UNUSED_PAD src0_sel:WORD_0 src1_sel:DWORD
	v_mul_u32_u24_sdwa v35, v35, s24 dst_sel:DWORD dst_unused:UNUSED_PAD src0_sel:WORD_1 src1_sel:DWORD
	;; [unrolled: 2-line block ×4, first 2 shown]
	v_pk_fma_f16 v54, v28, v33, v54
	v_pk_fma_f16 v57, v28, v41, v57
	;; [unrolled: 1-line block ×6, first 2 shown]
	ds_read_b128 v[30:33], v48 offset:96
	v_pk_fma_f16 v53, v28, v27, v53
	v_pk_fma_f16 v55, v28, v34, v55
	;; [unrolled: 1-line block ×10, first 2 shown]
	ds_read2_b64 v[26:29], v24 offset0:192 offset1:224
	ds_read_b128 v[34:37], v48 offset:112
	s_waitcnt lgkmcnt(2)
	v_mul_u32_u24_sdwa v42, v30, s24 dst_sel:DWORD dst_unused:UNUSED_PAD src0_sel:WORD_0 src1_sel:DWORD
	v_mul_u32_u24_sdwa v30, v30, s24 dst_sel:DWORD dst_unused:UNUSED_PAD src0_sel:WORD_1 src1_sel:DWORD
	v_mul_u32_u24_sdwa v63, v31, s24 dst_sel:DWORD dst_unused:UNUSED_PAD src0_sel:WORD_0 src1_sel:DWORD
	v_mul_u32_u24_sdwa v31, v31, s24 dst_sel:DWORD dst_unused:UNUSED_PAD src0_sel:WORD_1 src1_sel:DWORD
	;; [unrolled: 2-line block ×4, first 2 shown]
	s_waitcnt lgkmcnt(1)
	v_pk_fma_f16 v53, v26, v42, v53
	v_pk_fma_f16 v54, v26, v30, v54
	;; [unrolled: 1-line block ×16, first 2 shown]
	s_waitcnt lgkmcnt(0)
	v_mul_u32_u24_sdwa v27, v34, s24 dst_sel:DWORD dst_unused:UNUSED_PAD src0_sel:WORD_0 src1_sel:DWORD
	v_mul_u32_u24_sdwa v33, v34, s24 dst_sel:DWORD dst_unused:UNUSED_PAD src0_sel:WORD_1 src1_sel:DWORD
	v_mul_u32_u24_sdwa v34, v35, s24 dst_sel:DWORD dst_unused:UNUSED_PAD src0_sel:WORD_0 src1_sel:DWORD
	v_mul_u32_u24_sdwa v35, v35, s24 dst_sel:DWORD dst_unused:UNUSED_PAD src0_sel:WORD_1 src1_sel:DWORD
	;; [unrolled: 2-line block ×4, first 2 shown]
	v_pk_fma_f16 v54, v28, v33, v54
	v_pk_fma_f16 v57, v28, v41, v57
	v_pk_fma_f16 v59, v28, v43, v59
	v_pk_fma_f16 v61, v29, v33, v30
	v_pk_fma_f16 v62, v29, v35, v31
	v_pk_fma_f16 v39, v29, v41, v39
	v_pk_fma_f16 v41, v29, v36, v32
	v_pk_fma_f16 v40, v29, v43, v40
	ds_read_b128 v[30:33], v48 offset:128
	v_pk_fma_f16 v43, v29, v37, v25
	v_add_u32_e32 v25, 0x800, v24
	v_pk_fma_f16 v53, v28, v27, v53
	v_pk_fma_f16 v55, v28, v34, v55
	;; [unrolled: 1-line block ×7, first 2 shown]
	ds_read2_b64 v[26:29], v25 offset1:32
	ds_read_b128 v[34:37], v48 offset:144
	s_waitcnt lgkmcnt(2)
	v_mul_u32_u24_sdwa v63, v30, s24 dst_sel:DWORD dst_unused:UNUSED_PAD src0_sel:WORD_0 src1_sel:DWORD
	v_mul_u32_u24_sdwa v30, v30, s24 dst_sel:DWORD dst_unused:UNUSED_PAD src0_sel:WORD_1 src1_sel:DWORD
	v_mul_u32_u24_sdwa v64, v31, s24 dst_sel:DWORD dst_unused:UNUSED_PAD src0_sel:WORD_0 src1_sel:DWORD
	v_mul_u32_u24_sdwa v31, v31, s24 dst_sel:DWORD dst_unused:UNUSED_PAD src0_sel:WORD_1 src1_sel:DWORD
	;; [unrolled: 2-line block ×4, first 2 shown]
	s_waitcnt lgkmcnt(1)
	v_pk_fma_f16 v53, v26, v63, v53
	v_pk_fma_f16 v54, v26, v30, v54
	;; [unrolled: 1-line block ×16, first 2 shown]
	s_waitcnt lgkmcnt(0)
	v_mul_u32_u24_sdwa v33, v34, s24 dst_sel:DWORD dst_unused:UNUSED_PAD src0_sel:WORD_0 src1_sel:DWORD
	v_mul_u32_u24_sdwa v34, v34, s24 dst_sel:DWORD dst_unused:UNUSED_PAD src0_sel:WORD_1 src1_sel:DWORD
	v_mul_u32_u24_sdwa v41, v35, s24 dst_sel:DWORD dst_unused:UNUSED_PAD src0_sel:WORD_0 src1_sel:DWORD
	v_mul_u32_u24_sdwa v35, v35, s24 dst_sel:DWORD dst_unused:UNUSED_PAD src0_sel:WORD_1 src1_sel:DWORD
	;; [unrolled: 2-line block ×4, first 2 shown]
	v_pk_fma_f16 v53, v28, v33, v53
	v_pk_fma_f16 v55, v28, v41, v55
	;; [unrolled: 1-line block ×9, first 2 shown]
	ds_read_b128 v[30:33], v48 offset:160
	v_pk_fma_f16 v54, v28, v34, v54
	v_pk_fma_f16 v56, v28, v35, v56
	;; [unrolled: 1-line block ×7, first 2 shown]
	ds_read2_b64 v[26:29], v25 offset0:64 offset1:96
	ds_read_b128 v[34:37], v48 offset:176
	s_waitcnt lgkmcnt(2)
	v_mul_u32_u24_sdwa v63, v30, s24 dst_sel:DWORD dst_unused:UNUSED_PAD src0_sel:WORD_0 src1_sel:DWORD
	v_mul_u32_u24_sdwa v30, v30, s24 dst_sel:DWORD dst_unused:UNUSED_PAD src0_sel:WORD_1 src1_sel:DWORD
	v_mul_u32_u24_sdwa v64, v31, s24 dst_sel:DWORD dst_unused:UNUSED_PAD src0_sel:WORD_0 src1_sel:DWORD
	v_mul_u32_u24_sdwa v31, v31, s24 dst_sel:DWORD dst_unused:UNUSED_PAD src0_sel:WORD_1 src1_sel:DWORD
	v_mul_u32_u24_sdwa v65, v32, s24 dst_sel:DWORD dst_unused:UNUSED_PAD src0_sel:WORD_0 src1_sel:DWORD
	v_mul_u32_u24_sdwa v32, v32, s24 dst_sel:DWORD dst_unused:UNUSED_PAD src0_sel:WORD_1 src1_sel:DWORD
	v_mul_u32_u24_sdwa v66, v33, s24 dst_sel:DWORD dst_unused:UNUSED_PAD src0_sel:WORD_0 src1_sel:DWORD
	v_mul_u32_u24_sdwa v33, v33, s24 dst_sel:DWORD dst_unused:UNUSED_PAD src0_sel:WORD_1 src1_sel:DWORD
	s_waitcnt lgkmcnt(1)
	v_pk_fma_f16 v53, v26, v63, v53
	v_pk_fma_f16 v54, v26, v30, v54
	v_pk_fma_f16 v55, v26, v64, v55
	v_pk_fma_f16 v56, v26, v31, v56
	v_pk_fma_f16 v57, v26, v65, v57
	v_pk_fma_f16 v58, v26, v32, v58
	v_pk_fma_f16 v59, v26, v66, v59
	v_pk_fma_f16 v26, v26, v33, v61
	v_pk_fma_f16 v42, v27, v63, v42
	v_pk_fma_f16 v30, v27, v30, v62
	v_pk_fma_f16 v38, v27, v64, v38
	v_pk_fma_f16 v31, v27, v31, v41
	v_pk_fma_f16 v39, v27, v65, v39
	v_pk_fma_f16 v32, v27, v32, v43
	v_pk_fma_f16 v40, v27, v66, v40
	v_pk_fma_f16 v27, v27, v33, v60
	s_waitcnt lgkmcnt(0)
	v_mul_u32_u24_sdwa v33, v34, s24 dst_sel:DWORD dst_unused:UNUSED_PAD src0_sel:WORD_0 src1_sel:DWORD
	v_mul_u32_u24_sdwa v34, v34, s24 dst_sel:DWORD dst_unused:UNUSED_PAD src0_sel:WORD_1 src1_sel:DWORD
	v_mul_u32_u24_sdwa v41, v35, s24 dst_sel:DWORD dst_unused:UNUSED_PAD src0_sel:WORD_0 src1_sel:DWORD
	v_mul_u32_u24_sdwa v35, v35, s24 dst_sel:DWORD dst_unused:UNUSED_PAD src0_sel:WORD_1 src1_sel:DWORD
	;; [unrolled: 2-line block ×3, first 2 shown]
	v_pk_fma_f16 v53, v28, v33, v53
	v_pk_fma_f16 v42, v29, v33, v42
	;; [unrolled: 1-line block ×5, first 2 shown]
	ds_read_b128 v[30:33], v48 offset:192
	v_mul_u32_u24_sdwa v60, v37, s24 dst_sel:DWORD dst_unused:UNUSED_PAD src0_sel:WORD_0 src1_sel:DWORD
	v_mul_u32_u24_sdwa v37, v37, s24 dst_sel:DWORD dst_unused:UNUSED_PAD src0_sel:WORD_1 src1_sel:DWORD
	v_pk_fma_f16 v54, v28, v34, v54
	v_pk_fma_f16 v55, v28, v41, v55
	;; [unrolled: 1-line block ×11, first 2 shown]
	ds_read2_b64 v[26:29], v25 offset0:128 offset1:160
	ds_read_b128 v[34:37], v48 offset:208
	s_waitcnt lgkmcnt(2)
	v_mul_u32_u24_sdwa v38, v30, s24 dst_sel:DWORD dst_unused:UNUSED_PAD src0_sel:WORD_0 src1_sel:DWORD
	v_mul_u32_u24_sdwa v69, v30, s24 dst_sel:DWORD dst_unused:UNUSED_PAD src0_sel:WORD_1 src1_sel:DWORD
	v_mul_u32_u24_sdwa v76, v31, s24 dst_sel:DWORD dst_unused:UNUSED_PAD src0_sel:WORD_0 src1_sel:DWORD
	v_mul_u32_u24_sdwa v77, v31, s24 dst_sel:DWORD dst_unused:UNUSED_PAD src0_sel:WORD_1 src1_sel:DWORD
	;; [unrolled: 2-line block ×4, first 2 shown]
	s_waitcnt lgkmcnt(1)
	v_pk_fma_f16 v88, v27, v38, v42
	v_lshl_add_u64 v[42:43], s[6:7], 2, v[22:23]
	v_pk_fma_f16 v53, v26, v38, v53
	v_pk_fma_f16 v82, v26, v69, v54
	;; [unrolled: 1-line block ×8, first 2 shown]
	ds_read2_b64 v[30:33], v25 offset0:192 offset1:224
	ds_read_b128 v[38:41], v48 offset:224
	ds_read_b128 v[54:57], v48 offset:240
	s_waitcnt lgkmcnt(0)
	s_barrier
	global_load_dwordx4 v[58:61], v[42:43], off
	v_pk_fma_f16 v42, v27, v69, v62
	v_pk_fma_f16 v43, v27, v76, v63
	v_pk_fma_f16 v62, v27, v77, v64
	v_pk_fma_f16 v63, v27, v78, v65
	v_pk_fma_f16 v64, v27, v79, v66
	v_pk_fma_f16 v65, v27, v80, v67
	v_pk_fma_f16 v27, v27, v81, v68
	v_mul_u32_u24_sdwa v66, v34, s24 dst_sel:DWORD dst_unused:UNUSED_PAD src0_sel:WORD_0 src1_sel:DWORD
	v_mul_u32_u24_sdwa v34, v34, s24 dst_sel:DWORD dst_unused:UNUSED_PAD src0_sel:WORD_1 src1_sel:DWORD
	v_mul_u32_u24_sdwa v67, v35, s24 dst_sel:DWORD dst_unused:UNUSED_PAD src0_sel:WORD_0 src1_sel:DWORD
	v_mul_u32_u24_sdwa v35, v35, s24 dst_sel:DWORD dst_unused:UNUSED_PAD src0_sel:WORD_1 src1_sel:DWORD
	v_mul_u32_u24_sdwa v68, v36, s24 dst_sel:DWORD dst_unused:UNUSED_PAD src0_sel:WORD_0 src1_sel:DWORD
	v_mul_u32_u24_sdwa v36, v36, s24 dst_sel:DWORD dst_unused:UNUSED_PAD src0_sel:WORD_1 src1_sel:DWORD
	v_mul_u32_u24_sdwa v69, v37, s24 dst_sel:DWORD dst_unused:UNUSED_PAD src0_sel:WORD_0 src1_sel:DWORD
	v_mul_u32_u24_sdwa v37, v37, s24 dst_sel:DWORD dst_unused:UNUSED_PAD src0_sel:WORD_1 src1_sel:DWORD
	v_pk_fma_f16 v53, v28, v66, v53
	v_pk_fma_f16 v76, v28, v34, v82
	v_pk_fma_f16 v77, v28, v67, v83
	v_pk_fma_f16 v78, v28, v35, v84
	v_pk_fma_f16 v79, v28, v68, v85
	v_pk_fma_f16 v80, v28, v36, v86
	v_pk_fma_f16 v81, v28, v69, v87
	v_pk_fma_f16 v26, v28, v37, v26
	v_pk_fma_f16 v28, v29, v66, v88
	v_pk_fma_f16 v34, v29, v34, v42
	v_pk_fma_f16 v42, v29, v67, v43
	v_pk_fma_f16 v35, v29, v35, v62
	v_pk_fma_f16 v43, v29, v68, v63
	v_pk_fma_f16 v36, v29, v36, v64
	v_pk_fma_f16 v62, v29, v69, v65
	v_pk_fma_f16 v27, v29, v37, v27
	v_mul_u32_u24_sdwa v29, v38, s24 dst_sel:DWORD dst_unused:UNUSED_PAD src0_sel:WORD_0 src1_sel:DWORD
	v_mul_u32_u24_sdwa v37, v38, s24 dst_sel:DWORD dst_unused:UNUSED_PAD src0_sel:WORD_1 src1_sel:DWORD
	v_mul_u32_u24_sdwa v38, v39, s24 dst_sel:DWORD dst_unused:UNUSED_PAD src0_sel:WORD_0 src1_sel:DWORD
	v_mul_u32_u24_sdwa v39, v39, s24 dst_sel:DWORD dst_unused:UNUSED_PAD src0_sel:WORD_1 src1_sel:DWORD
	v_mul_u32_u24_sdwa v63, v40, s24 dst_sel:DWORD dst_unused:UNUSED_PAD src0_sel:WORD_0 src1_sel:DWORD
	v_mul_u32_u24_sdwa v40, v40, s24 dst_sel:DWORD dst_unused:UNUSED_PAD src0_sel:WORD_1 src1_sel:DWORD
	v_mul_u32_u24_sdwa v64, v41, s24 dst_sel:DWORD dst_unused:UNUSED_PAD src0_sel:WORD_0 src1_sel:DWORD
	v_mul_u32_u24_sdwa v41, v41, s24 dst_sel:DWORD dst_unused:UNUSED_PAD src0_sel:WORD_1 src1_sel:DWORD
	v_pk_fma_f16 v53, v30, v29, v53
	v_pk_fma_f16 v65, v30, v37, v76
	v_pk_fma_f16 v66, v30, v38, v77
	v_pk_fma_f16 v67, v30, v39, v78
	v_pk_fma_f16 v68, v30, v63, v79
	v_pk_fma_f16 v69, v30, v40, v80
	v_pk_fma_f16 v76, v30, v64, v81
	v_pk_fma_f16 v26, v30, v41, v26
	v_pk_fma_f16 v28, v31, v29, v28
	;; [unrolled: 24-line block ×3, first 2 shown]
	v_pk_fma_f16 v76, v33, v38, v29
	v_pk_fma_f16 v77, v33, v39, v30
	;; [unrolled: 1-line block ×7, first 2 shown]
	s_waitcnt vmcnt(0)
	ds_write_b128 v49, v[58:61]
	s_waitcnt lgkmcnt(0)
	s_barrier
	ds_read_b128 v[26:29], v48 offset:256
	ds_read2_b64 v[30:33], v24 offset1:32
	ds_read_b128 v[34:37], v48 offset:272
	ds_read_b128 v[38:41], v48 offset:288
	;; [unrolled: 1-line block ×3, first 2 shown]
	s_waitcnt lgkmcnt(4)
	v_mul_u32_u24_sdwa v58, v26, s24 dst_sel:DWORD dst_unused:UNUSED_PAD src0_sel:WORD_0 src1_sel:DWORD
	v_mul_u32_u24_sdwa v26, v26, s24 dst_sel:DWORD dst_unused:UNUSED_PAD src0_sel:WORD_1 src1_sel:DWORD
	v_mul_u32_u24_sdwa v59, v27, s24 dst_sel:DWORD dst_unused:UNUSED_PAD src0_sel:WORD_0 src1_sel:DWORD
	v_mul_u32_u24_sdwa v27, v27, s24 dst_sel:DWORD dst_unused:UNUSED_PAD src0_sel:WORD_1 src1_sel:DWORD
	;; [unrolled: 2-line block ×4, first 2 shown]
	s_waitcnt lgkmcnt(3)
	v_pk_fma_f16 v53, v30, v58, v53
	v_pk_fma_f16 v62, v30, v26, v62
	;; [unrolled: 1-line block ×16, first 2 shown]
	s_waitcnt lgkmcnt(2)
	v_mul_u32_u24_sdwa v31, v34, s24 dst_sel:DWORD dst_unused:UNUSED_PAD src0_sel:WORD_0 src1_sel:DWORD
	v_mul_u32_u24_sdwa v34, v34, s24 dst_sel:DWORD dst_unused:UNUSED_PAD src0_sel:WORD_1 src1_sel:DWORD
	v_mul_u32_u24_sdwa v43, v35, s24 dst_sel:DWORD dst_unused:UNUSED_PAD src0_sel:WORD_0 src1_sel:DWORD
	v_mul_u32_u24_sdwa v35, v35, s24 dst_sel:DWORD dst_unused:UNUSED_PAD src0_sel:WORD_1 src1_sel:DWORD
	;; [unrolled: 2-line block ×4, first 2 shown]
	v_pk_fma_f16 v53, v32, v31, v53
	v_pk_fma_f16 v62, v32, v34, v62
	;; [unrolled: 1-line block ×16, first 2 shown]
	ds_read2_b64 v[26:29], v24 offset0:64 offset1:96
	s_waitcnt lgkmcnt(2)
	v_mul_u32_u24_sdwa v37, v38, s24 dst_sel:DWORD dst_unused:UNUSED_PAD src0_sel:WORD_0 src1_sel:DWORD
	v_mul_u32_u24_sdwa v38, v38, s24 dst_sel:DWORD dst_unused:UNUSED_PAD src0_sel:WORD_1 src1_sel:DWORD
	v_mul_u32_u24_sdwa v58, v39, s24 dst_sel:DWORD dst_unused:UNUSED_PAD src0_sel:WORD_0 src1_sel:DWORD
	v_mul_u32_u24_sdwa v39, v39, s24 dst_sel:DWORD dst_unused:UNUSED_PAD src0_sel:WORD_1 src1_sel:DWORD
	;; [unrolled: 2-line block ×4, first 2 shown]
	s_waitcnt lgkmcnt(0)
	v_pk_fma_f16 v53, v26, v37, v53
	v_pk_fma_f16 v61, v26, v38, v62
	;; [unrolled: 1-line block ×16, first 2 shown]
	v_mul_u32_u24_sdwa v33, v54, s24 dst_sel:DWORD dst_unused:UNUSED_PAD src0_sel:WORD_0 src1_sel:DWORD
	v_mul_u32_u24_sdwa v38, v54, s24 dst_sel:DWORD dst_unused:UNUSED_PAD src0_sel:WORD_1 src1_sel:DWORD
	v_mul_u32_u24_sdwa v39, v55, s24 dst_sel:DWORD dst_unused:UNUSED_PAD src0_sel:WORD_0 src1_sel:DWORD
	v_mul_u32_u24_sdwa v40, v55, s24 dst_sel:DWORD dst_unused:UNUSED_PAD src0_sel:WORD_1 src1_sel:DWORD
	;; [unrolled: 2-line block ×4, first 2 shown]
	v_pk_fma_f16 v53, v28, v33, v53
	v_pk_fma_f16 v55, v28, v38, v61
	;; [unrolled: 1-line block ×6, first 2 shown]
	ds_read_b128 v[30:33], v48 offset:320
	v_pk_fma_f16 v57, v28, v40, v63
	v_pk_fma_f16 v58, v28, v41, v64
	;; [unrolled: 1-line block ×10, first 2 shown]
	ds_read2_b64 v[26:29], v24 offset0:128 offset1:160
	ds_read_b128 v[34:37], v48 offset:336
	s_waitcnt lgkmcnt(2)
	v_mul_u32_u24_sdwa v63, v30, s24 dst_sel:DWORD dst_unused:UNUSED_PAD src0_sel:WORD_0 src1_sel:DWORD
	v_mul_u32_u24_sdwa v30, v30, s24 dst_sel:DWORD dst_unused:UNUSED_PAD src0_sel:WORD_1 src1_sel:DWORD
	v_mul_u32_u24_sdwa v64, v31, s24 dst_sel:DWORD dst_unused:UNUSED_PAD src0_sel:WORD_0 src1_sel:DWORD
	v_mul_u32_u24_sdwa v31, v31, s24 dst_sel:DWORD dst_unused:UNUSED_PAD src0_sel:WORD_1 src1_sel:DWORD
	;; [unrolled: 2-line block ×4, first 2 shown]
	s_waitcnt lgkmcnt(1)
	v_pk_fma_f16 v53, v26, v63, v53
	v_pk_fma_f16 v55, v26, v30, v55
	v_pk_fma_f16 v56, v26, v64, v56
	v_pk_fma_f16 v57, v26, v31, v57
	v_pk_fma_f16 v58, v26, v65, v58
	v_pk_fma_f16 v59, v26, v32, v59
	v_pk_fma_f16 v60, v26, v66, v60
	v_pk_fma_f16 v26, v26, v33, v61
	v_pk_fma_f16 v61, v27, v63, v62
	v_pk_fma_f16 v30, v27, v30, v38
	v_pk_fma_f16 v38, v27, v64, v39
	v_pk_fma_f16 v31, v27, v31, v40
	v_pk_fma_f16 v39, v27, v65, v41
	v_pk_fma_f16 v32, v27, v32, v42
	v_pk_fma_f16 v40, v27, v66, v43
	v_pk_fma_f16 v27, v27, v33, v54
	s_waitcnt lgkmcnt(0)
	v_mul_u32_u24_sdwa v33, v34, s24 dst_sel:DWORD dst_unused:UNUSED_PAD src0_sel:WORD_0 src1_sel:DWORD
	v_mul_u32_u24_sdwa v34, v34, s24 dst_sel:DWORD dst_unused:UNUSED_PAD src0_sel:WORD_1 src1_sel:DWORD
	v_mul_u32_u24_sdwa v41, v35, s24 dst_sel:DWORD dst_unused:UNUSED_PAD src0_sel:WORD_0 src1_sel:DWORD
	v_mul_u32_u24_sdwa v35, v35, s24 dst_sel:DWORD dst_unused:UNUSED_PAD src0_sel:WORD_1 src1_sel:DWORD
	;; [unrolled: 2-line block ×4, first 2 shown]
	v_pk_fma_f16 v53, v28, v33, v53
	v_pk_fma_f16 v54, v28, v34, v55
	;; [unrolled: 1-line block ×11, first 2 shown]
	ds_read_b128 v[30:33], v48 offset:352
	v_pk_fma_f16 v58, v28, v36, v59
	v_pk_fma_f16 v59, v28, v43, v60
	v_pk_fma_f16 v60, v28, v37, v26
	v_pk_fma_f16 v40, v29, v43, v40
	v_pk_fma_f16 v43, v29, v37, v27
	ds_read2_b64 v[26:29], v24 offset0:192 offset1:224
	ds_read_b128 v[34:37], v48 offset:368
	s_waitcnt lgkmcnt(2)
	v_mul_u32_u24_sdwa v63, v30, s24 dst_sel:DWORD dst_unused:UNUSED_PAD src0_sel:WORD_0 src1_sel:DWORD
	v_mul_u32_u24_sdwa v30, v30, s24 dst_sel:DWORD dst_unused:UNUSED_PAD src0_sel:WORD_1 src1_sel:DWORD
	v_mul_u32_u24_sdwa v64, v31, s24 dst_sel:DWORD dst_unused:UNUSED_PAD src0_sel:WORD_0 src1_sel:DWORD
	v_mul_u32_u24_sdwa v31, v31, s24 dst_sel:DWORD dst_unused:UNUSED_PAD src0_sel:WORD_1 src1_sel:DWORD
	;; [unrolled: 2-line block ×4, first 2 shown]
	s_waitcnt lgkmcnt(1)
	v_pk_fma_f16 v53, v26, v63, v53
	v_pk_fma_f16 v54, v26, v30, v54
	;; [unrolled: 1-line block ×16, first 2 shown]
	s_waitcnt lgkmcnt(0)
	v_mul_u32_u24_sdwa v33, v34, s24 dst_sel:DWORD dst_unused:UNUSED_PAD src0_sel:WORD_0 src1_sel:DWORD
	v_mul_u32_u24_sdwa v34, v34, s24 dst_sel:DWORD dst_unused:UNUSED_PAD src0_sel:WORD_1 src1_sel:DWORD
	v_mul_u32_u24_sdwa v41, v35, s24 dst_sel:DWORD dst_unused:UNUSED_PAD src0_sel:WORD_0 src1_sel:DWORD
	v_mul_u32_u24_sdwa v35, v35, s24 dst_sel:DWORD dst_unused:UNUSED_PAD src0_sel:WORD_1 src1_sel:DWORD
	;; [unrolled: 2-line block ×4, first 2 shown]
	v_pk_fma_f16 v53, v28, v33, v53
	v_pk_fma_f16 v55, v28, v41, v55
	v_pk_fma_f16 v57, v28, v42, v57
	v_pk_fma_f16 v60, v29, v33, v60
	v_pk_fma_f16 v62, v29, v34, v30
	v_pk_fma_f16 v38, v29, v41, v38
	v_pk_fma_f16 v41, v29, v35, v31
	v_pk_fma_f16 v39, v29, v42, v39
	v_pk_fma_f16 v42, v29, v36, v32
	ds_read_b128 v[30:33], v48 offset:384
	v_pk_fma_f16 v54, v28, v34, v54
	v_pk_fma_f16 v56, v28, v35, v56
	;; [unrolled: 1-line block ×7, first 2 shown]
	ds_read2_b64 v[26:29], v25 offset1:32
	ds_read_b128 v[34:37], v48 offset:400
	s_waitcnt lgkmcnt(2)
	v_mul_u32_u24_sdwa v63, v30, s24 dst_sel:DWORD dst_unused:UNUSED_PAD src0_sel:WORD_0 src1_sel:DWORD
	v_mul_u32_u24_sdwa v30, v30, s24 dst_sel:DWORD dst_unused:UNUSED_PAD src0_sel:WORD_1 src1_sel:DWORD
	v_mul_u32_u24_sdwa v64, v31, s24 dst_sel:DWORD dst_unused:UNUSED_PAD src0_sel:WORD_0 src1_sel:DWORD
	v_mul_u32_u24_sdwa v31, v31, s24 dst_sel:DWORD dst_unused:UNUSED_PAD src0_sel:WORD_1 src1_sel:DWORD
	;; [unrolled: 2-line block ×4, first 2 shown]
	s_waitcnt lgkmcnt(1)
	v_pk_fma_f16 v53, v26, v63, v53
	v_pk_fma_f16 v54, v26, v30, v54
	;; [unrolled: 1-line block ×16, first 2 shown]
	s_waitcnt lgkmcnt(0)
	v_mul_u32_u24_sdwa v33, v34, s24 dst_sel:DWORD dst_unused:UNUSED_PAD src0_sel:WORD_0 src1_sel:DWORD
	v_mul_u32_u24_sdwa v34, v34, s24 dst_sel:DWORD dst_unused:UNUSED_PAD src0_sel:WORD_1 src1_sel:DWORD
	v_mul_u32_u24_sdwa v41, v35, s24 dst_sel:DWORD dst_unused:UNUSED_PAD src0_sel:WORD_0 src1_sel:DWORD
	v_mul_u32_u24_sdwa v35, v35, s24 dst_sel:DWORD dst_unused:UNUSED_PAD src0_sel:WORD_1 src1_sel:DWORD
	;; [unrolled: 2-line block ×4, first 2 shown]
	v_pk_fma_f16 v53, v28, v33, v53
	v_pk_fma_f16 v55, v28, v41, v55
	;; [unrolled: 1-line block ×9, first 2 shown]
	ds_read_b128 v[30:33], v48 offset:416
	v_pk_fma_f16 v54, v28, v34, v54
	v_pk_fma_f16 v56, v28, v35, v56
	;; [unrolled: 1-line block ×7, first 2 shown]
	ds_read2_b64 v[26:29], v25 offset0:64 offset1:96
	ds_read_b128 v[34:37], v48 offset:432
	s_waitcnt lgkmcnt(2)
	v_mul_u32_u24_sdwa v63, v30, s24 dst_sel:DWORD dst_unused:UNUSED_PAD src0_sel:WORD_0 src1_sel:DWORD
	v_mul_u32_u24_sdwa v30, v30, s24 dst_sel:DWORD dst_unused:UNUSED_PAD src0_sel:WORD_1 src1_sel:DWORD
	v_mul_u32_u24_sdwa v64, v31, s24 dst_sel:DWORD dst_unused:UNUSED_PAD src0_sel:WORD_0 src1_sel:DWORD
	v_mul_u32_u24_sdwa v31, v31, s24 dst_sel:DWORD dst_unused:UNUSED_PAD src0_sel:WORD_1 src1_sel:DWORD
	;; [unrolled: 2-line block ×4, first 2 shown]
	s_waitcnt lgkmcnt(1)
	v_pk_fma_f16 v53, v26, v63, v53
	v_pk_fma_f16 v54, v26, v30, v54
	;; [unrolled: 1-line block ×16, first 2 shown]
	s_waitcnt lgkmcnt(0)
	v_mul_u32_u24_sdwa v33, v34, s24 dst_sel:DWORD dst_unused:UNUSED_PAD src0_sel:WORD_0 src1_sel:DWORD
	v_mul_u32_u24_sdwa v34, v34, s24 dst_sel:DWORD dst_unused:UNUSED_PAD src0_sel:WORD_1 src1_sel:DWORD
	v_mul_u32_u24_sdwa v41, v35, s24 dst_sel:DWORD dst_unused:UNUSED_PAD src0_sel:WORD_0 src1_sel:DWORD
	v_mul_u32_u24_sdwa v35, v35, s24 dst_sel:DWORD dst_unused:UNUSED_PAD src0_sel:WORD_1 src1_sel:DWORD
	;; [unrolled: 2-line block ×3, first 2 shown]
	v_pk_fma_f16 v53, v28, v33, v53
	v_pk_fma_f16 v60, v29, v33, v60
	;; [unrolled: 1-line block ×5, first 2 shown]
	ds_read_b128 v[30:33], v48 offset:448
	v_mul_u32_u24_sdwa v43, v37, s24 dst_sel:DWORD dst_unused:UNUSED_PAD src0_sel:WORD_0 src1_sel:DWORD
	v_mul_u32_u24_sdwa v37, v37, s24 dst_sel:DWORD dst_unused:UNUSED_PAD src0_sel:WORD_1 src1_sel:DWORD
	v_pk_fma_f16 v54, v28, v34, v54
	v_pk_fma_f16 v55, v28, v41, v55
	;; [unrolled: 1-line block ×11, first 2 shown]
	ds_read2_b64 v[26:29], v25 offset0:128 offset1:160
	ds_read_b128 v[34:37], v48 offset:464
	s_or_b32 s6, s2, 32
	s_mul_hi_i32 s7, s6, s11
	s_mul_i32 s6, s6, s11
	s_waitcnt lgkmcnt(2)
	v_mul_u32_u24_sdwa v38, v30, s24 dst_sel:DWORD dst_unused:UNUSED_PAD src0_sel:WORD_0 src1_sel:DWORD
	v_mul_u32_u24_sdwa v69, v30, s24 dst_sel:DWORD dst_unused:UNUSED_PAD src0_sel:WORD_1 src1_sel:DWORD
	v_mul_u32_u24_sdwa v76, v31, s24 dst_sel:DWORD dst_unused:UNUSED_PAD src0_sel:WORD_0 src1_sel:DWORD
	v_mul_u32_u24_sdwa v77, v31, s24 dst_sel:DWORD dst_unused:UNUSED_PAD src0_sel:WORD_1 src1_sel:DWORD
	;; [unrolled: 2-line block ×4, first 2 shown]
	v_lshl_add_u64 v[42:43], s[6:7], 2, v[22:23]
	s_waitcnt lgkmcnt(1)
	v_pk_fma_f16 v53, v26, v38, v53
	v_pk_fma_f16 v82, v26, v69, v54
	v_pk_fma_f16 v83, v26, v76, v55
	v_pk_fma_f16 v84, v26, v77, v56
	v_pk_fma_f16 v85, v26, v78, v57
	v_pk_fma_f16 v86, v26, v79, v58
	v_pk_fma_f16 v87, v26, v80, v59
	v_pk_fma_f16 v26, v26, v81, v61
	v_pk_fma_f16 v88, v27, v38, v60
	ds_read2_b64 v[30:33], v25 offset0:192 offset1:224
	ds_read_b128 v[38:41], v48 offset:480
	ds_read_b128 v[54:57], v48 offset:496
	s_waitcnt lgkmcnt(0)
	s_barrier
	global_load_dwordx4 v[58:61], v[42:43], off
	v_pk_fma_f16 v42, v27, v69, v62
	v_pk_fma_f16 v43, v27, v76, v63
	v_pk_fma_f16 v62, v27, v77, v64
	v_pk_fma_f16 v63, v27, v78, v65
	v_pk_fma_f16 v64, v27, v79, v66
	v_pk_fma_f16 v65, v27, v80, v67
	v_pk_fma_f16 v27, v27, v81, v68
	v_mul_u32_u24_sdwa v66, v34, s24 dst_sel:DWORD dst_unused:UNUSED_PAD src0_sel:WORD_0 src1_sel:DWORD
	v_mul_u32_u24_sdwa v34, v34, s24 dst_sel:DWORD dst_unused:UNUSED_PAD src0_sel:WORD_1 src1_sel:DWORD
	v_mul_u32_u24_sdwa v67, v35, s24 dst_sel:DWORD dst_unused:UNUSED_PAD src0_sel:WORD_0 src1_sel:DWORD
	v_mul_u32_u24_sdwa v35, v35, s24 dst_sel:DWORD dst_unused:UNUSED_PAD src0_sel:WORD_1 src1_sel:DWORD
	v_mul_u32_u24_sdwa v68, v36, s24 dst_sel:DWORD dst_unused:UNUSED_PAD src0_sel:WORD_0 src1_sel:DWORD
	v_mul_u32_u24_sdwa v36, v36, s24 dst_sel:DWORD dst_unused:UNUSED_PAD src0_sel:WORD_1 src1_sel:DWORD
	v_mul_u32_u24_sdwa v69, v37, s24 dst_sel:DWORD dst_unused:UNUSED_PAD src0_sel:WORD_0 src1_sel:DWORD
	v_mul_u32_u24_sdwa v37, v37, s24 dst_sel:DWORD dst_unused:UNUSED_PAD src0_sel:WORD_1 src1_sel:DWORD
	v_pk_fma_f16 v53, v28, v66, v53
	v_pk_fma_f16 v76, v28, v34, v82
	v_pk_fma_f16 v77, v28, v67, v83
	v_pk_fma_f16 v78, v28, v35, v84
	v_pk_fma_f16 v79, v28, v68, v85
	v_pk_fma_f16 v80, v28, v36, v86
	v_pk_fma_f16 v81, v28, v69, v87
	v_pk_fma_f16 v26, v28, v37, v26
	v_pk_fma_f16 v28, v29, v66, v88
	v_pk_fma_f16 v34, v29, v34, v42
	v_pk_fma_f16 v42, v29, v67, v43
	v_pk_fma_f16 v35, v29, v35, v62
	v_pk_fma_f16 v43, v29, v68, v63
	v_pk_fma_f16 v36, v29, v36, v64
	v_pk_fma_f16 v62, v29, v69, v65
	v_pk_fma_f16 v27, v29, v37, v27
	v_mul_u32_u24_sdwa v29, v38, s24 dst_sel:DWORD dst_unused:UNUSED_PAD src0_sel:WORD_0 src1_sel:DWORD
	v_mul_u32_u24_sdwa v37, v38, s24 dst_sel:DWORD dst_unused:UNUSED_PAD src0_sel:WORD_1 src1_sel:DWORD
	v_mul_u32_u24_sdwa v38, v39, s24 dst_sel:DWORD dst_unused:UNUSED_PAD src0_sel:WORD_0 src1_sel:DWORD
	v_mul_u32_u24_sdwa v39, v39, s24 dst_sel:DWORD dst_unused:UNUSED_PAD src0_sel:WORD_1 src1_sel:DWORD
	v_mul_u32_u24_sdwa v63, v40, s24 dst_sel:DWORD dst_unused:UNUSED_PAD src0_sel:WORD_0 src1_sel:DWORD
	v_mul_u32_u24_sdwa v40, v40, s24 dst_sel:DWORD dst_unused:UNUSED_PAD src0_sel:WORD_1 src1_sel:DWORD
	v_mul_u32_u24_sdwa v64, v41, s24 dst_sel:DWORD dst_unused:UNUSED_PAD src0_sel:WORD_0 src1_sel:DWORD
	v_mul_u32_u24_sdwa v41, v41, s24 dst_sel:DWORD dst_unused:UNUSED_PAD src0_sel:WORD_1 src1_sel:DWORD
	v_pk_fma_f16 v53, v30, v29, v53
	v_pk_fma_f16 v65, v30, v37, v76
	v_pk_fma_f16 v66, v30, v38, v77
	v_pk_fma_f16 v67, v30, v39, v78
	v_pk_fma_f16 v68, v30, v63, v79
	v_pk_fma_f16 v69, v30, v40, v80
	v_pk_fma_f16 v76, v30, v64, v81
	v_pk_fma_f16 v26, v30, v41, v26
	v_pk_fma_f16 v28, v31, v29, v28
	;; [unrolled: 24-line block ×3, first 2 shown]
	v_pk_fma_f16 v76, v33, v38, v29
	v_pk_fma_f16 v77, v33, v39, v30
	;; [unrolled: 1-line block ×7, first 2 shown]
	s_waitcnt vmcnt(0)
	ds_write_b128 v49, v[58:61]
	s_waitcnt lgkmcnt(0)
	s_barrier
	ds_read_b128 v[26:29], v48 offset:512
	ds_read2_b64 v[30:33], v24 offset1:32
	ds_read_b128 v[34:37], v48 offset:528
	ds_read_b128 v[38:41], v48 offset:544
	;; [unrolled: 1-line block ×3, first 2 shown]
	s_waitcnt lgkmcnt(4)
	v_mul_u32_u24_sdwa v58, v26, s24 dst_sel:DWORD dst_unused:UNUSED_PAD src0_sel:WORD_0 src1_sel:DWORD
	v_mul_u32_u24_sdwa v26, v26, s24 dst_sel:DWORD dst_unused:UNUSED_PAD src0_sel:WORD_1 src1_sel:DWORD
	v_mul_u32_u24_sdwa v59, v27, s24 dst_sel:DWORD dst_unused:UNUSED_PAD src0_sel:WORD_0 src1_sel:DWORD
	v_mul_u32_u24_sdwa v27, v27, s24 dst_sel:DWORD dst_unused:UNUSED_PAD src0_sel:WORD_1 src1_sel:DWORD
	;; [unrolled: 2-line block ×4, first 2 shown]
	s_waitcnt lgkmcnt(3)
	v_pk_fma_f16 v53, v30, v58, v53
	v_pk_fma_f16 v62, v30, v26, v62
	;; [unrolled: 1-line block ×16, first 2 shown]
	s_waitcnt lgkmcnt(2)
	v_mul_u32_u24_sdwa v31, v34, s24 dst_sel:DWORD dst_unused:UNUSED_PAD src0_sel:WORD_0 src1_sel:DWORD
	v_mul_u32_u24_sdwa v34, v34, s24 dst_sel:DWORD dst_unused:UNUSED_PAD src0_sel:WORD_1 src1_sel:DWORD
	v_mul_u32_u24_sdwa v43, v35, s24 dst_sel:DWORD dst_unused:UNUSED_PAD src0_sel:WORD_0 src1_sel:DWORD
	v_mul_u32_u24_sdwa v35, v35, s24 dst_sel:DWORD dst_unused:UNUSED_PAD src0_sel:WORD_1 src1_sel:DWORD
	v_mul_u32_u24_sdwa v61, v36, s24 dst_sel:DWORD dst_unused:UNUSED_PAD src0_sel:WORD_0 src1_sel:DWORD
	v_mul_u32_u24_sdwa v36, v36, s24 dst_sel:DWORD dst_unused:UNUSED_PAD src0_sel:WORD_1 src1_sel:DWORD
	v_mul_u32_u24_sdwa v68, v37, s24 dst_sel:DWORD dst_unused:UNUSED_PAD src0_sel:WORD_0 src1_sel:DWORD
	v_mul_u32_u24_sdwa v37, v37, s24 dst_sel:DWORD dst_unused:UNUSED_PAD src0_sel:WORD_1 src1_sel:DWORD
	v_pk_fma_f16 v53, v32, v31, v53
	v_pk_fma_f16 v62, v32, v34, v62
	;; [unrolled: 1-line block ×16, first 2 shown]
	ds_read2_b64 v[26:29], v24 offset0:64 offset1:96
	s_waitcnt lgkmcnt(2)
	v_mul_u32_u24_sdwa v37, v38, s24 dst_sel:DWORD dst_unused:UNUSED_PAD src0_sel:WORD_0 src1_sel:DWORD
	v_mul_u32_u24_sdwa v38, v38, s24 dst_sel:DWORD dst_unused:UNUSED_PAD src0_sel:WORD_1 src1_sel:DWORD
	v_mul_u32_u24_sdwa v58, v39, s24 dst_sel:DWORD dst_unused:UNUSED_PAD src0_sel:WORD_0 src1_sel:DWORD
	v_mul_u32_u24_sdwa v39, v39, s24 dst_sel:DWORD dst_unused:UNUSED_PAD src0_sel:WORD_1 src1_sel:DWORD
	;; [unrolled: 2-line block ×4, first 2 shown]
	s_waitcnt lgkmcnt(0)
	v_pk_fma_f16 v53, v26, v37, v53
	v_pk_fma_f16 v61, v26, v38, v62
	v_pk_fma_f16 v62, v26, v58, v63
	v_pk_fma_f16 v63, v26, v39, v64
	v_pk_fma_f16 v64, v26, v59, v65
	v_pk_fma_f16 v65, v26, v40, v66
	v_pk_fma_f16 v66, v26, v60, v67
	v_pk_fma_f16 v26, v26, v41, v30
	v_pk_fma_f16 v30, v27, v37, v31
	v_pk_fma_f16 v31, v27, v38, v32
	v_pk_fma_f16 v32, v27, v58, v34
	v_pk_fma_f16 v34, v27, v39, v35
	v_pk_fma_f16 v35, v27, v59, v43
	v_pk_fma_f16 v36, v27, v40, v36
	v_pk_fma_f16 v37, v27, v60, v42
	v_pk_fma_f16 v27, v27, v41, v33
	v_mul_u32_u24_sdwa v33, v54, s24 dst_sel:DWORD dst_unused:UNUSED_PAD src0_sel:WORD_0 src1_sel:DWORD
	v_mul_u32_u24_sdwa v38, v54, s24 dst_sel:DWORD dst_unused:UNUSED_PAD src0_sel:WORD_1 src1_sel:DWORD
	v_mul_u32_u24_sdwa v39, v55, s24 dst_sel:DWORD dst_unused:UNUSED_PAD src0_sel:WORD_0 src1_sel:DWORD
	v_mul_u32_u24_sdwa v40, v55, s24 dst_sel:DWORD dst_unused:UNUSED_PAD src0_sel:WORD_1 src1_sel:DWORD
	;; [unrolled: 2-line block ×4, first 2 shown]
	v_pk_fma_f16 v53, v28, v33, v53
	v_pk_fma_f16 v55, v28, v38, v61
	;; [unrolled: 1-line block ×6, first 2 shown]
	ds_read_b128 v[30:33], v48 offset:576
	v_pk_fma_f16 v57, v28, v40, v63
	v_pk_fma_f16 v58, v28, v41, v64
	;; [unrolled: 1-line block ×10, first 2 shown]
	ds_read2_b64 v[26:29], v24 offset0:128 offset1:160
	ds_read_b128 v[34:37], v48 offset:592
	s_waitcnt lgkmcnt(2)
	v_mul_u32_u24_sdwa v63, v30, s24 dst_sel:DWORD dst_unused:UNUSED_PAD src0_sel:WORD_0 src1_sel:DWORD
	v_mul_u32_u24_sdwa v30, v30, s24 dst_sel:DWORD dst_unused:UNUSED_PAD src0_sel:WORD_1 src1_sel:DWORD
	v_mul_u32_u24_sdwa v64, v31, s24 dst_sel:DWORD dst_unused:UNUSED_PAD src0_sel:WORD_0 src1_sel:DWORD
	v_mul_u32_u24_sdwa v31, v31, s24 dst_sel:DWORD dst_unused:UNUSED_PAD src0_sel:WORD_1 src1_sel:DWORD
	v_mul_u32_u24_sdwa v65, v32, s24 dst_sel:DWORD dst_unused:UNUSED_PAD src0_sel:WORD_0 src1_sel:DWORD
	v_mul_u32_u24_sdwa v32, v32, s24 dst_sel:DWORD dst_unused:UNUSED_PAD src0_sel:WORD_1 src1_sel:DWORD
	v_mul_u32_u24_sdwa v66, v33, s24 dst_sel:DWORD dst_unused:UNUSED_PAD src0_sel:WORD_0 src1_sel:DWORD
	v_mul_u32_u24_sdwa v33, v33, s24 dst_sel:DWORD dst_unused:UNUSED_PAD src0_sel:WORD_1 src1_sel:DWORD
	s_waitcnt lgkmcnt(1)
	v_pk_fma_f16 v53, v26, v63, v53
	v_pk_fma_f16 v55, v26, v30, v55
	v_pk_fma_f16 v56, v26, v64, v56
	v_pk_fma_f16 v57, v26, v31, v57
	v_pk_fma_f16 v58, v26, v65, v58
	v_pk_fma_f16 v59, v26, v32, v59
	v_pk_fma_f16 v60, v26, v66, v60
	v_pk_fma_f16 v26, v26, v33, v61
	v_pk_fma_f16 v61, v27, v63, v62
	v_pk_fma_f16 v30, v27, v30, v38
	v_pk_fma_f16 v38, v27, v64, v39
	v_pk_fma_f16 v31, v27, v31, v40
	v_pk_fma_f16 v39, v27, v65, v41
	v_pk_fma_f16 v32, v27, v32, v42
	v_pk_fma_f16 v40, v27, v66, v43
	v_pk_fma_f16 v27, v27, v33, v54
	s_waitcnt lgkmcnt(0)
	v_mul_u32_u24_sdwa v33, v34, s24 dst_sel:DWORD dst_unused:UNUSED_PAD src0_sel:WORD_0 src1_sel:DWORD
	v_mul_u32_u24_sdwa v34, v34, s24 dst_sel:DWORD dst_unused:UNUSED_PAD src0_sel:WORD_1 src1_sel:DWORD
	v_mul_u32_u24_sdwa v41, v35, s24 dst_sel:DWORD dst_unused:UNUSED_PAD src0_sel:WORD_0 src1_sel:DWORD
	v_mul_u32_u24_sdwa v35, v35, s24 dst_sel:DWORD dst_unused:UNUSED_PAD src0_sel:WORD_1 src1_sel:DWORD
	;; [unrolled: 2-line block ×4, first 2 shown]
	v_pk_fma_f16 v53, v28, v33, v53
	v_pk_fma_f16 v54, v28, v34, v55
	;; [unrolled: 1-line block ×11, first 2 shown]
	ds_read_b128 v[30:33], v48 offset:608
	v_pk_fma_f16 v58, v28, v36, v59
	v_pk_fma_f16 v59, v28, v43, v60
	;; [unrolled: 1-line block ×5, first 2 shown]
	ds_read2_b64 v[26:29], v24 offset0:192 offset1:224
	ds_read_b128 v[34:37], v48 offset:624
	s_waitcnt lgkmcnt(2)
	v_mul_u32_u24_sdwa v63, v30, s24 dst_sel:DWORD dst_unused:UNUSED_PAD src0_sel:WORD_0 src1_sel:DWORD
	v_mul_u32_u24_sdwa v30, v30, s24 dst_sel:DWORD dst_unused:UNUSED_PAD src0_sel:WORD_1 src1_sel:DWORD
	v_mul_u32_u24_sdwa v64, v31, s24 dst_sel:DWORD dst_unused:UNUSED_PAD src0_sel:WORD_0 src1_sel:DWORD
	v_mul_u32_u24_sdwa v31, v31, s24 dst_sel:DWORD dst_unused:UNUSED_PAD src0_sel:WORD_1 src1_sel:DWORD
	;; [unrolled: 2-line block ×4, first 2 shown]
	s_waitcnt lgkmcnt(1)
	v_pk_fma_f16 v53, v26, v63, v53
	v_pk_fma_f16 v54, v26, v30, v54
	;; [unrolled: 1-line block ×16, first 2 shown]
	s_waitcnt lgkmcnt(0)
	v_mul_u32_u24_sdwa v33, v34, s24 dst_sel:DWORD dst_unused:UNUSED_PAD src0_sel:WORD_0 src1_sel:DWORD
	v_mul_u32_u24_sdwa v34, v34, s24 dst_sel:DWORD dst_unused:UNUSED_PAD src0_sel:WORD_1 src1_sel:DWORD
	v_mul_u32_u24_sdwa v41, v35, s24 dst_sel:DWORD dst_unused:UNUSED_PAD src0_sel:WORD_0 src1_sel:DWORD
	v_mul_u32_u24_sdwa v35, v35, s24 dst_sel:DWORD dst_unused:UNUSED_PAD src0_sel:WORD_1 src1_sel:DWORD
	v_mul_u32_u24_sdwa v42, v36, s24 dst_sel:DWORD dst_unused:UNUSED_PAD src0_sel:WORD_0 src1_sel:DWORD
	v_mul_u32_u24_sdwa v36, v36, s24 dst_sel:DWORD dst_unused:UNUSED_PAD src0_sel:WORD_1 src1_sel:DWORD
	v_mul_u32_u24_sdwa v43, v37, s24 dst_sel:DWORD dst_unused:UNUSED_PAD src0_sel:WORD_0 src1_sel:DWORD
	v_mul_u32_u24_sdwa v37, v37, s24 dst_sel:DWORD dst_unused:UNUSED_PAD src0_sel:WORD_1 src1_sel:DWORD
	v_pk_fma_f16 v53, v28, v33, v53
	v_pk_fma_f16 v55, v28, v41, v55
	;; [unrolled: 1-line block ×9, first 2 shown]
	ds_read_b128 v[30:33], v48 offset:640
	v_pk_fma_f16 v54, v28, v34, v54
	v_pk_fma_f16 v56, v28, v35, v56
	;; [unrolled: 1-line block ×7, first 2 shown]
	ds_read2_b64 v[26:29], v25 offset1:32
	ds_read_b128 v[34:37], v48 offset:656
	s_waitcnt lgkmcnt(2)
	v_mul_u32_u24_sdwa v63, v30, s24 dst_sel:DWORD dst_unused:UNUSED_PAD src0_sel:WORD_0 src1_sel:DWORD
	v_mul_u32_u24_sdwa v30, v30, s24 dst_sel:DWORD dst_unused:UNUSED_PAD src0_sel:WORD_1 src1_sel:DWORD
	v_mul_u32_u24_sdwa v64, v31, s24 dst_sel:DWORD dst_unused:UNUSED_PAD src0_sel:WORD_0 src1_sel:DWORD
	v_mul_u32_u24_sdwa v31, v31, s24 dst_sel:DWORD dst_unused:UNUSED_PAD src0_sel:WORD_1 src1_sel:DWORD
	;; [unrolled: 2-line block ×4, first 2 shown]
	s_waitcnt lgkmcnt(1)
	v_pk_fma_f16 v53, v26, v63, v53
	v_pk_fma_f16 v54, v26, v30, v54
	v_pk_fma_f16 v55, v26, v64, v55
	v_pk_fma_f16 v56, v26, v31, v56
	v_pk_fma_f16 v57, v26, v65, v57
	v_pk_fma_f16 v58, v26, v32, v58
	v_pk_fma_f16 v59, v26, v66, v59
	v_pk_fma_f16 v26, v26, v33, v61
	v_pk_fma_f16 v60, v27, v63, v60
	v_pk_fma_f16 v30, v27, v30, v62
	v_pk_fma_f16 v38, v27, v64, v38
	v_pk_fma_f16 v31, v27, v31, v41
	v_pk_fma_f16 v39, v27, v65, v39
	v_pk_fma_f16 v32, v27, v32, v42
	v_pk_fma_f16 v40, v27, v66, v40
	v_pk_fma_f16 v27, v27, v33, v43
	s_waitcnt lgkmcnt(0)
	v_mul_u32_u24_sdwa v33, v34, s24 dst_sel:DWORD dst_unused:UNUSED_PAD src0_sel:WORD_0 src1_sel:DWORD
	v_mul_u32_u24_sdwa v34, v34, s24 dst_sel:DWORD dst_unused:UNUSED_PAD src0_sel:WORD_1 src1_sel:DWORD
	v_mul_u32_u24_sdwa v41, v35, s24 dst_sel:DWORD dst_unused:UNUSED_PAD src0_sel:WORD_0 src1_sel:DWORD
	v_mul_u32_u24_sdwa v35, v35, s24 dst_sel:DWORD dst_unused:UNUSED_PAD src0_sel:WORD_1 src1_sel:DWORD
	v_mul_u32_u24_sdwa v42, v36, s24 dst_sel:DWORD dst_unused:UNUSED_PAD src0_sel:WORD_0 src1_sel:DWORD
	v_mul_u32_u24_sdwa v36, v36, s24 dst_sel:DWORD dst_unused:UNUSED_PAD src0_sel:WORD_1 src1_sel:DWORD
	v_mul_u32_u24_sdwa v43, v37, s24 dst_sel:DWORD dst_unused:UNUSED_PAD src0_sel:WORD_0 src1_sel:DWORD
	v_mul_u32_u24_sdwa v37, v37, s24 dst_sel:DWORD dst_unused:UNUSED_PAD src0_sel:WORD_1 src1_sel:DWORD
	v_pk_fma_f16 v53, v28, v33, v53
	v_pk_fma_f16 v55, v28, v41, v55
	;; [unrolled: 1-line block ×9, first 2 shown]
	ds_read_b128 v[30:33], v48 offset:672
	v_pk_fma_f16 v54, v28, v34, v54
	v_pk_fma_f16 v56, v28, v35, v56
	;; [unrolled: 1-line block ×7, first 2 shown]
	ds_read2_b64 v[26:29], v25 offset0:64 offset1:96
	ds_read_b128 v[34:37], v48 offset:688
	s_waitcnt lgkmcnt(2)
	v_mul_u32_u24_sdwa v63, v30, s24 dst_sel:DWORD dst_unused:UNUSED_PAD src0_sel:WORD_0 src1_sel:DWORD
	v_mul_u32_u24_sdwa v30, v30, s24 dst_sel:DWORD dst_unused:UNUSED_PAD src0_sel:WORD_1 src1_sel:DWORD
	v_mul_u32_u24_sdwa v64, v31, s24 dst_sel:DWORD dst_unused:UNUSED_PAD src0_sel:WORD_0 src1_sel:DWORD
	v_mul_u32_u24_sdwa v31, v31, s24 dst_sel:DWORD dst_unused:UNUSED_PAD src0_sel:WORD_1 src1_sel:DWORD
	;; [unrolled: 2-line block ×4, first 2 shown]
	s_waitcnt lgkmcnt(1)
	v_pk_fma_f16 v53, v26, v63, v53
	v_pk_fma_f16 v54, v26, v30, v54
	;; [unrolled: 1-line block ×16, first 2 shown]
	s_waitcnt lgkmcnt(0)
	v_mul_u32_u24_sdwa v33, v34, s24 dst_sel:DWORD dst_unused:UNUSED_PAD src0_sel:WORD_0 src1_sel:DWORD
	v_mul_u32_u24_sdwa v34, v34, s24 dst_sel:DWORD dst_unused:UNUSED_PAD src0_sel:WORD_1 src1_sel:DWORD
	v_mul_u32_u24_sdwa v41, v35, s24 dst_sel:DWORD dst_unused:UNUSED_PAD src0_sel:WORD_0 src1_sel:DWORD
	v_mul_u32_u24_sdwa v35, v35, s24 dst_sel:DWORD dst_unused:UNUSED_PAD src0_sel:WORD_1 src1_sel:DWORD
	;; [unrolled: 2-line block ×3, first 2 shown]
	v_pk_fma_f16 v53, v28, v33, v53
	v_pk_fma_f16 v60, v29, v33, v60
	;; [unrolled: 1-line block ×5, first 2 shown]
	ds_read_b128 v[30:33], v48 offset:704
	v_mul_u32_u24_sdwa v43, v37, s24 dst_sel:DWORD dst_unused:UNUSED_PAD src0_sel:WORD_0 src1_sel:DWORD
	v_mul_u32_u24_sdwa v37, v37, s24 dst_sel:DWORD dst_unused:UNUSED_PAD src0_sel:WORD_1 src1_sel:DWORD
	v_pk_fma_f16 v54, v28, v34, v54
	v_pk_fma_f16 v55, v28, v41, v55
	;; [unrolled: 1-line block ×11, first 2 shown]
	ds_read2_b64 v[26:29], v25 offset0:128 offset1:160
	ds_read_b128 v[34:37], v48 offset:720
	s_or_b32 s6, s2, 48
	s_mul_hi_i32 s7, s6, s11
	s_mul_i32 s6, s6, s11
	s_waitcnt lgkmcnt(2)
	v_mul_u32_u24_sdwa v38, v30, s24 dst_sel:DWORD dst_unused:UNUSED_PAD src0_sel:WORD_0 src1_sel:DWORD
	v_mul_u32_u24_sdwa v69, v30, s24 dst_sel:DWORD dst_unused:UNUSED_PAD src0_sel:WORD_1 src1_sel:DWORD
	v_mul_u32_u24_sdwa v76, v31, s24 dst_sel:DWORD dst_unused:UNUSED_PAD src0_sel:WORD_0 src1_sel:DWORD
	v_mul_u32_u24_sdwa v77, v31, s24 dst_sel:DWORD dst_unused:UNUSED_PAD src0_sel:WORD_1 src1_sel:DWORD
	;; [unrolled: 2-line block ×4, first 2 shown]
	v_lshl_add_u64 v[42:43], s[6:7], 2, v[22:23]
	s_waitcnt lgkmcnt(1)
	v_pk_fma_f16 v53, v26, v38, v53
	v_pk_fma_f16 v82, v26, v69, v54
	;; [unrolled: 1-line block ×9, first 2 shown]
	ds_read2_b64 v[30:33], v25 offset0:192 offset1:224
	ds_read_b128 v[38:41], v48 offset:736
	ds_read_b128 v[54:57], v48 offset:752
	s_waitcnt lgkmcnt(0)
	s_barrier
	global_load_dwordx4 v[58:61], v[42:43], off
	v_pk_fma_f16 v42, v27, v69, v62
	v_pk_fma_f16 v43, v27, v76, v63
	v_pk_fma_f16 v62, v27, v77, v64
	v_pk_fma_f16 v63, v27, v78, v65
	v_pk_fma_f16 v64, v27, v79, v66
	v_pk_fma_f16 v65, v27, v80, v67
	v_pk_fma_f16 v27, v27, v81, v68
	v_mul_u32_u24_sdwa v66, v34, s24 dst_sel:DWORD dst_unused:UNUSED_PAD src0_sel:WORD_0 src1_sel:DWORD
	v_mul_u32_u24_sdwa v34, v34, s24 dst_sel:DWORD dst_unused:UNUSED_PAD src0_sel:WORD_1 src1_sel:DWORD
	v_mul_u32_u24_sdwa v67, v35, s24 dst_sel:DWORD dst_unused:UNUSED_PAD src0_sel:WORD_0 src1_sel:DWORD
	v_mul_u32_u24_sdwa v35, v35, s24 dst_sel:DWORD dst_unused:UNUSED_PAD src0_sel:WORD_1 src1_sel:DWORD
	v_mul_u32_u24_sdwa v68, v36, s24 dst_sel:DWORD dst_unused:UNUSED_PAD src0_sel:WORD_0 src1_sel:DWORD
	v_mul_u32_u24_sdwa v36, v36, s24 dst_sel:DWORD dst_unused:UNUSED_PAD src0_sel:WORD_1 src1_sel:DWORD
	v_mul_u32_u24_sdwa v69, v37, s24 dst_sel:DWORD dst_unused:UNUSED_PAD src0_sel:WORD_0 src1_sel:DWORD
	v_mul_u32_u24_sdwa v37, v37, s24 dst_sel:DWORD dst_unused:UNUSED_PAD src0_sel:WORD_1 src1_sel:DWORD
	v_pk_fma_f16 v53, v28, v66, v53
	v_pk_fma_f16 v76, v28, v34, v82
	v_pk_fma_f16 v77, v28, v67, v83
	v_pk_fma_f16 v78, v28, v35, v84
	v_pk_fma_f16 v79, v28, v68, v85
	v_pk_fma_f16 v80, v28, v36, v86
	v_pk_fma_f16 v81, v28, v69, v87
	v_pk_fma_f16 v26, v28, v37, v26
	v_pk_fma_f16 v28, v29, v66, v88
	v_pk_fma_f16 v34, v29, v34, v42
	v_pk_fma_f16 v42, v29, v67, v43
	v_pk_fma_f16 v35, v29, v35, v62
	v_pk_fma_f16 v43, v29, v68, v63
	v_pk_fma_f16 v36, v29, v36, v64
	v_pk_fma_f16 v62, v29, v69, v65
	v_pk_fma_f16 v27, v29, v37, v27
	v_mul_u32_u24_sdwa v29, v38, s24 dst_sel:DWORD dst_unused:UNUSED_PAD src0_sel:WORD_0 src1_sel:DWORD
	v_mul_u32_u24_sdwa v37, v38, s24 dst_sel:DWORD dst_unused:UNUSED_PAD src0_sel:WORD_1 src1_sel:DWORD
	v_mul_u32_u24_sdwa v38, v39, s24 dst_sel:DWORD dst_unused:UNUSED_PAD src0_sel:WORD_0 src1_sel:DWORD
	v_mul_u32_u24_sdwa v39, v39, s24 dst_sel:DWORD dst_unused:UNUSED_PAD src0_sel:WORD_1 src1_sel:DWORD
	v_mul_u32_u24_sdwa v63, v40, s24 dst_sel:DWORD dst_unused:UNUSED_PAD src0_sel:WORD_0 src1_sel:DWORD
	v_mul_u32_u24_sdwa v40, v40, s24 dst_sel:DWORD dst_unused:UNUSED_PAD src0_sel:WORD_1 src1_sel:DWORD
	v_mul_u32_u24_sdwa v64, v41, s24 dst_sel:DWORD dst_unused:UNUSED_PAD src0_sel:WORD_0 src1_sel:DWORD
	v_mul_u32_u24_sdwa v41, v41, s24 dst_sel:DWORD dst_unused:UNUSED_PAD src0_sel:WORD_1 src1_sel:DWORD
	v_pk_fma_f16 v53, v30, v29, v53
	v_pk_fma_f16 v65, v30, v37, v76
	v_pk_fma_f16 v66, v30, v38, v77
	v_pk_fma_f16 v67, v30, v39, v78
	v_pk_fma_f16 v68, v30, v63, v79
	v_pk_fma_f16 v69, v30, v40, v80
	v_pk_fma_f16 v76, v30, v64, v81
	v_pk_fma_f16 v26, v30, v41, v26
	v_pk_fma_f16 v28, v31, v29, v28
	;; [unrolled: 24-line block ×3, first 2 shown]
	v_pk_fma_f16 v76, v33, v38, v29
	v_pk_fma_f16 v77, v33, v39, v30
	;; [unrolled: 1-line block ×7, first 2 shown]
	s_waitcnt vmcnt(0)
	ds_write_b128 v49, v[58:61]
	s_waitcnt lgkmcnt(0)
	s_barrier
	ds_read_b128 v[26:29], v48 offset:768
	ds_read2_b64 v[30:33], v24 offset1:32
	ds_read_b128 v[34:37], v48 offset:784
	ds_read_b128 v[38:41], v48 offset:800
	;; [unrolled: 1-line block ×3, first 2 shown]
	s_waitcnt lgkmcnt(4)
	v_mul_u32_u24_sdwa v58, v26, s24 dst_sel:DWORD dst_unused:UNUSED_PAD src0_sel:WORD_0 src1_sel:DWORD
	v_mul_u32_u24_sdwa v26, v26, s24 dst_sel:DWORD dst_unused:UNUSED_PAD src0_sel:WORD_1 src1_sel:DWORD
	v_mul_u32_u24_sdwa v59, v27, s24 dst_sel:DWORD dst_unused:UNUSED_PAD src0_sel:WORD_0 src1_sel:DWORD
	v_mul_u32_u24_sdwa v27, v27, s24 dst_sel:DWORD dst_unused:UNUSED_PAD src0_sel:WORD_1 src1_sel:DWORD
	;; [unrolled: 2-line block ×4, first 2 shown]
	s_waitcnt lgkmcnt(3)
	v_pk_fma_f16 v53, v30, v58, v53
	v_pk_fma_f16 v62, v30, v26, v62
	;; [unrolled: 1-line block ×16, first 2 shown]
	s_waitcnt lgkmcnt(2)
	v_mul_u32_u24_sdwa v31, v34, s24 dst_sel:DWORD dst_unused:UNUSED_PAD src0_sel:WORD_0 src1_sel:DWORD
	v_mul_u32_u24_sdwa v34, v34, s24 dst_sel:DWORD dst_unused:UNUSED_PAD src0_sel:WORD_1 src1_sel:DWORD
	v_mul_u32_u24_sdwa v43, v35, s24 dst_sel:DWORD dst_unused:UNUSED_PAD src0_sel:WORD_0 src1_sel:DWORD
	v_mul_u32_u24_sdwa v35, v35, s24 dst_sel:DWORD dst_unused:UNUSED_PAD src0_sel:WORD_1 src1_sel:DWORD
	;; [unrolled: 2-line block ×4, first 2 shown]
	v_pk_fma_f16 v53, v32, v31, v53
	v_pk_fma_f16 v62, v32, v34, v62
	;; [unrolled: 1-line block ×16, first 2 shown]
	ds_read2_b64 v[26:29], v24 offset0:64 offset1:96
	s_waitcnt lgkmcnt(2)
	v_mul_u32_u24_sdwa v37, v38, s24 dst_sel:DWORD dst_unused:UNUSED_PAD src0_sel:WORD_0 src1_sel:DWORD
	v_mul_u32_u24_sdwa v38, v38, s24 dst_sel:DWORD dst_unused:UNUSED_PAD src0_sel:WORD_1 src1_sel:DWORD
	v_mul_u32_u24_sdwa v58, v39, s24 dst_sel:DWORD dst_unused:UNUSED_PAD src0_sel:WORD_0 src1_sel:DWORD
	v_mul_u32_u24_sdwa v39, v39, s24 dst_sel:DWORD dst_unused:UNUSED_PAD src0_sel:WORD_1 src1_sel:DWORD
	;; [unrolled: 2-line block ×4, first 2 shown]
	s_waitcnt lgkmcnt(0)
	v_pk_fma_f16 v53, v26, v37, v53
	v_pk_fma_f16 v61, v26, v38, v62
	;; [unrolled: 1-line block ×16, first 2 shown]
	v_mul_u32_u24_sdwa v33, v54, s24 dst_sel:DWORD dst_unused:UNUSED_PAD src0_sel:WORD_0 src1_sel:DWORD
	v_mul_u32_u24_sdwa v38, v54, s24 dst_sel:DWORD dst_unused:UNUSED_PAD src0_sel:WORD_1 src1_sel:DWORD
	v_mul_u32_u24_sdwa v39, v55, s24 dst_sel:DWORD dst_unused:UNUSED_PAD src0_sel:WORD_0 src1_sel:DWORD
	v_mul_u32_u24_sdwa v40, v55, s24 dst_sel:DWORD dst_unused:UNUSED_PAD src0_sel:WORD_1 src1_sel:DWORD
	;; [unrolled: 2-line block ×4, first 2 shown]
	v_pk_fma_f16 v53, v28, v33, v53
	v_pk_fma_f16 v55, v28, v38, v61
	;; [unrolled: 1-line block ×6, first 2 shown]
	ds_read_b128 v[30:33], v48 offset:832
	v_pk_fma_f16 v57, v28, v40, v63
	v_pk_fma_f16 v58, v28, v41, v64
	;; [unrolled: 1-line block ×10, first 2 shown]
	ds_read2_b64 v[26:29], v24 offset0:128 offset1:160
	ds_read_b128 v[34:37], v48 offset:848
	s_waitcnt lgkmcnt(2)
	v_mul_u32_u24_sdwa v63, v30, s24 dst_sel:DWORD dst_unused:UNUSED_PAD src0_sel:WORD_0 src1_sel:DWORD
	v_mul_u32_u24_sdwa v30, v30, s24 dst_sel:DWORD dst_unused:UNUSED_PAD src0_sel:WORD_1 src1_sel:DWORD
	v_mul_u32_u24_sdwa v64, v31, s24 dst_sel:DWORD dst_unused:UNUSED_PAD src0_sel:WORD_0 src1_sel:DWORD
	v_mul_u32_u24_sdwa v31, v31, s24 dst_sel:DWORD dst_unused:UNUSED_PAD src0_sel:WORD_1 src1_sel:DWORD
	;; [unrolled: 2-line block ×4, first 2 shown]
	s_waitcnt lgkmcnt(1)
	v_pk_fma_f16 v53, v26, v63, v53
	v_pk_fma_f16 v55, v26, v30, v55
	;; [unrolled: 1-line block ×16, first 2 shown]
	s_waitcnt lgkmcnt(0)
	v_mul_u32_u24_sdwa v33, v34, s24 dst_sel:DWORD dst_unused:UNUSED_PAD src0_sel:WORD_0 src1_sel:DWORD
	v_mul_u32_u24_sdwa v34, v34, s24 dst_sel:DWORD dst_unused:UNUSED_PAD src0_sel:WORD_1 src1_sel:DWORD
	v_mul_u32_u24_sdwa v41, v35, s24 dst_sel:DWORD dst_unused:UNUSED_PAD src0_sel:WORD_0 src1_sel:DWORD
	v_mul_u32_u24_sdwa v35, v35, s24 dst_sel:DWORD dst_unused:UNUSED_PAD src0_sel:WORD_1 src1_sel:DWORD
	v_mul_u32_u24_sdwa v42, v36, s24 dst_sel:DWORD dst_unused:UNUSED_PAD src0_sel:WORD_0 src1_sel:DWORD
	v_mul_u32_u24_sdwa v36, v36, s24 dst_sel:DWORD dst_unused:UNUSED_PAD src0_sel:WORD_1 src1_sel:DWORD
	v_mul_u32_u24_sdwa v43, v37, s24 dst_sel:DWORD dst_unused:UNUSED_PAD src0_sel:WORD_0 src1_sel:DWORD
	v_mul_u32_u24_sdwa v37, v37, s24 dst_sel:DWORD dst_unused:UNUSED_PAD src0_sel:WORD_1 src1_sel:DWORD
	v_pk_fma_f16 v53, v28, v33, v53
	v_pk_fma_f16 v54, v28, v34, v55
	;; [unrolled: 1-line block ×11, first 2 shown]
	ds_read_b128 v[30:33], v48 offset:864
	v_pk_fma_f16 v58, v28, v36, v59
	v_pk_fma_f16 v59, v28, v43, v60
	;; [unrolled: 1-line block ×5, first 2 shown]
	ds_read2_b64 v[26:29], v24 offset0:192 offset1:224
	ds_read_b128 v[34:37], v48 offset:880
	s_waitcnt lgkmcnt(2)
	v_mul_u32_u24_sdwa v63, v30, s24 dst_sel:DWORD dst_unused:UNUSED_PAD src0_sel:WORD_0 src1_sel:DWORD
	v_mul_u32_u24_sdwa v30, v30, s24 dst_sel:DWORD dst_unused:UNUSED_PAD src0_sel:WORD_1 src1_sel:DWORD
	v_mul_u32_u24_sdwa v64, v31, s24 dst_sel:DWORD dst_unused:UNUSED_PAD src0_sel:WORD_0 src1_sel:DWORD
	v_mul_u32_u24_sdwa v31, v31, s24 dst_sel:DWORD dst_unused:UNUSED_PAD src0_sel:WORD_1 src1_sel:DWORD
	;; [unrolled: 2-line block ×4, first 2 shown]
	s_waitcnt lgkmcnt(1)
	v_pk_fma_f16 v53, v26, v63, v53
	v_pk_fma_f16 v54, v26, v30, v54
	;; [unrolled: 1-line block ×16, first 2 shown]
	s_waitcnt lgkmcnt(0)
	v_mul_u32_u24_sdwa v33, v34, s24 dst_sel:DWORD dst_unused:UNUSED_PAD src0_sel:WORD_0 src1_sel:DWORD
	v_mul_u32_u24_sdwa v34, v34, s24 dst_sel:DWORD dst_unused:UNUSED_PAD src0_sel:WORD_1 src1_sel:DWORD
	v_mul_u32_u24_sdwa v41, v35, s24 dst_sel:DWORD dst_unused:UNUSED_PAD src0_sel:WORD_0 src1_sel:DWORD
	v_mul_u32_u24_sdwa v35, v35, s24 dst_sel:DWORD dst_unused:UNUSED_PAD src0_sel:WORD_1 src1_sel:DWORD
	;; [unrolled: 2-line block ×4, first 2 shown]
	v_pk_fma_f16 v53, v28, v33, v53
	v_pk_fma_f16 v55, v28, v41, v55
	;; [unrolled: 1-line block ×9, first 2 shown]
	ds_read_b128 v[30:33], v48 offset:896
	v_pk_fma_f16 v54, v28, v34, v54
	v_pk_fma_f16 v56, v28, v35, v56
	;; [unrolled: 1-line block ×7, first 2 shown]
	ds_read2_b64 v[26:29], v25 offset1:32
	ds_read_b128 v[34:37], v48 offset:912
	s_waitcnt lgkmcnt(2)
	v_mul_u32_u24_sdwa v63, v30, s24 dst_sel:DWORD dst_unused:UNUSED_PAD src0_sel:WORD_0 src1_sel:DWORD
	v_mul_u32_u24_sdwa v30, v30, s24 dst_sel:DWORD dst_unused:UNUSED_PAD src0_sel:WORD_1 src1_sel:DWORD
	v_mul_u32_u24_sdwa v64, v31, s24 dst_sel:DWORD dst_unused:UNUSED_PAD src0_sel:WORD_0 src1_sel:DWORD
	v_mul_u32_u24_sdwa v31, v31, s24 dst_sel:DWORD dst_unused:UNUSED_PAD src0_sel:WORD_1 src1_sel:DWORD
	;; [unrolled: 2-line block ×4, first 2 shown]
	s_waitcnt lgkmcnt(1)
	v_pk_fma_f16 v53, v26, v63, v53
	v_pk_fma_f16 v54, v26, v30, v54
	;; [unrolled: 1-line block ×16, first 2 shown]
	s_waitcnt lgkmcnt(0)
	v_mul_u32_u24_sdwa v33, v34, s24 dst_sel:DWORD dst_unused:UNUSED_PAD src0_sel:WORD_0 src1_sel:DWORD
	v_mul_u32_u24_sdwa v34, v34, s24 dst_sel:DWORD dst_unused:UNUSED_PAD src0_sel:WORD_1 src1_sel:DWORD
	v_mul_u32_u24_sdwa v41, v35, s24 dst_sel:DWORD dst_unused:UNUSED_PAD src0_sel:WORD_0 src1_sel:DWORD
	v_mul_u32_u24_sdwa v35, v35, s24 dst_sel:DWORD dst_unused:UNUSED_PAD src0_sel:WORD_1 src1_sel:DWORD
	;; [unrolled: 2-line block ×4, first 2 shown]
	v_pk_fma_f16 v53, v28, v33, v53
	v_pk_fma_f16 v55, v28, v41, v55
	;; [unrolled: 1-line block ×9, first 2 shown]
	ds_read_b128 v[30:33], v48 offset:928
	v_pk_fma_f16 v54, v28, v34, v54
	v_pk_fma_f16 v56, v28, v35, v56
	;; [unrolled: 1-line block ×7, first 2 shown]
	ds_read2_b64 v[26:29], v25 offset0:64 offset1:96
	ds_read_b128 v[34:37], v48 offset:944
	s_waitcnt lgkmcnt(2)
	v_mul_u32_u24_sdwa v63, v30, s24 dst_sel:DWORD dst_unused:UNUSED_PAD src0_sel:WORD_0 src1_sel:DWORD
	v_mul_u32_u24_sdwa v30, v30, s24 dst_sel:DWORD dst_unused:UNUSED_PAD src0_sel:WORD_1 src1_sel:DWORD
	v_mul_u32_u24_sdwa v64, v31, s24 dst_sel:DWORD dst_unused:UNUSED_PAD src0_sel:WORD_0 src1_sel:DWORD
	v_mul_u32_u24_sdwa v31, v31, s24 dst_sel:DWORD dst_unused:UNUSED_PAD src0_sel:WORD_1 src1_sel:DWORD
	;; [unrolled: 2-line block ×4, first 2 shown]
	s_waitcnt lgkmcnt(1)
	v_pk_fma_f16 v53, v26, v63, v53
	v_pk_fma_f16 v54, v26, v30, v54
	;; [unrolled: 1-line block ×16, first 2 shown]
	s_waitcnt lgkmcnt(0)
	v_mul_u32_u24_sdwa v33, v34, s24 dst_sel:DWORD dst_unused:UNUSED_PAD src0_sel:WORD_0 src1_sel:DWORD
	v_mul_u32_u24_sdwa v34, v34, s24 dst_sel:DWORD dst_unused:UNUSED_PAD src0_sel:WORD_1 src1_sel:DWORD
	v_mul_u32_u24_sdwa v41, v35, s24 dst_sel:DWORD dst_unused:UNUSED_PAD src0_sel:WORD_0 src1_sel:DWORD
	v_mul_u32_u24_sdwa v35, v35, s24 dst_sel:DWORD dst_unused:UNUSED_PAD src0_sel:WORD_1 src1_sel:DWORD
	;; [unrolled: 2-line block ×4, first 2 shown]
	v_pk_fma_f16 v53, v28, v33, v53
	v_pk_fma_f16 v55, v28, v41, v55
	;; [unrolled: 1-line block ×9, first 2 shown]
	ds_read_b128 v[30:33], v48 offset:960
	v_pk_fma_f16 v54, v28, v34, v54
	v_pk_fma_f16 v56, v28, v35, v56
	;; [unrolled: 1-line block ×7, first 2 shown]
	ds_read2_b64 v[26:29], v25 offset0:128 offset1:160
	ds_read_b128 v[34:37], v48 offset:976
	s_waitcnt lgkmcnt(2)
	v_mul_u32_u24_sdwa v63, v30, s24 dst_sel:DWORD dst_unused:UNUSED_PAD src0_sel:WORD_0 src1_sel:DWORD
	v_mul_u32_u24_sdwa v30, v30, s24 dst_sel:DWORD dst_unused:UNUSED_PAD src0_sel:WORD_1 src1_sel:DWORD
	v_mul_u32_u24_sdwa v64, v31, s24 dst_sel:DWORD dst_unused:UNUSED_PAD src0_sel:WORD_0 src1_sel:DWORD
	v_mul_u32_u24_sdwa v31, v31, s24 dst_sel:DWORD dst_unused:UNUSED_PAD src0_sel:WORD_1 src1_sel:DWORD
	;; [unrolled: 2-line block ×4, first 2 shown]
	s_waitcnt lgkmcnt(1)
	v_pk_fma_f16 v53, v26, v63, v53
	v_pk_fma_f16 v54, v26, v30, v54
	v_pk_fma_f16 v55, v26, v64, v55
	v_pk_fma_f16 v56, v26, v31, v56
	v_pk_fma_f16 v57, v26, v65, v57
	v_pk_fma_f16 v58, v26, v32, v58
	v_pk_fma_f16 v59, v26, v66, v59
	v_pk_fma_f16 v26, v26, v33, v61
	v_pk_fma_f16 v60, v27, v63, v60
	v_pk_fma_f16 v30, v27, v30, v62
	v_pk_fma_f16 v38, v27, v64, v38
	v_pk_fma_f16 v31, v27, v31, v41
	v_pk_fma_f16 v39, v27, v65, v39
	v_pk_fma_f16 v32, v27, v32, v42
	v_pk_fma_f16 v40, v27, v66, v40
	v_pk_fma_f16 v27, v27, v33, v43
	s_waitcnt lgkmcnt(0)
	v_mul_u32_u24_sdwa v33, v34, s24 dst_sel:DWORD dst_unused:UNUSED_PAD src0_sel:WORD_0 src1_sel:DWORD
	v_mul_u32_u24_sdwa v34, v34, s24 dst_sel:DWORD dst_unused:UNUSED_PAD src0_sel:WORD_1 src1_sel:DWORD
	v_mul_u32_u24_sdwa v41, v35, s24 dst_sel:DWORD dst_unused:UNUSED_PAD src0_sel:WORD_0 src1_sel:DWORD
	v_mul_u32_u24_sdwa v35, v35, s24 dst_sel:DWORD dst_unused:UNUSED_PAD src0_sel:WORD_1 src1_sel:DWORD
	;; [unrolled: 2-line block ×4, first 2 shown]
	v_pk_fma_f16 v53, v28, v33, v53
	v_pk_fma_f16 v54, v28, v34, v54
	;; [unrolled: 1-line block ×14, first 2 shown]
	ds_read_b128 v[30:33], v48 offset:992
	v_pk_fma_f16 v40, v29, v43, v40
	v_pk_fma_f16 v43, v29, v37, v27
	ds_read2_b64 v[26:29], v25 offset0:192 offset1:224
	ds_read_b128 v[34:37], v48 offset:1008
	s_waitcnt lgkmcnt(0)
	s_barrier
	s_load_dword s6, s[4:5], 0x4
	v_mul_u32_u24_sdwa v25, v30, s24 dst_sel:DWORD dst_unused:UNUSED_PAD src0_sel:WORD_0 src1_sel:DWORD
	v_mul_u32_u24_sdwa v30, v30, s24 dst_sel:DWORD dst_unused:UNUSED_PAD src0_sel:WORD_1 src1_sel:DWORD
	v_mul_u32_u24_sdwa v63, v31, s24 dst_sel:DWORD dst_unused:UNUSED_PAD src0_sel:WORD_0 src1_sel:DWORD
	v_mul_u32_u24_sdwa v31, v31, s24 dst_sel:DWORD dst_unused:UNUSED_PAD src0_sel:WORD_1 src1_sel:DWORD
	;; [unrolled: 2-line block ×4, first 2 shown]
	s_waitcnt lgkmcnt(0)
	s_lshl_b32 s6, s6, 6
	v_pk_fma_f16 v53, v26, v25, v53
	v_pk_fma_f16 v54, v26, v30, v54
	;; [unrolled: 1-line block ×16, first 2 shown]
	v_mul_u32_u24_sdwa v40, v34, s24 dst_sel:DWORD dst_unused:UNUSED_PAD src0_sel:WORD_0 src1_sel:DWORD
	v_mul_u32_u24_sdwa v34, v34, s24 dst_sel:DWORD dst_unused:UNUSED_PAD src0_sel:WORD_1 src1_sel:DWORD
	v_mul_u32_u24_sdwa v43, v35, s24 dst_sel:DWORD dst_unused:UNUSED_PAD src0_sel:WORD_0 src1_sel:DWORD
	v_mul_u32_u24_sdwa v62, v35, s24 dst_sel:DWORD dst_unused:UNUSED_PAD src0_sel:WORD_1 src1_sel:DWORD
	;; [unrolled: 2-line block ×4, first 2 shown]
	s_add_i32 s2, s6, s2
	v_pk_fma_f16 v36, v28, v40, v53
	v_pk_fma_f16 v32, v28, v34, v54
	;; [unrolled: 1-line block ×15, first 2 shown]
	s_cmp_ge_i32 s2, s30
	v_pk_fma_f16 v25, v29, v66, v27
	s_cbranch_scc1 .LBB71_7
; %bb.110:                              ;   in Loop: Header=BB71_45 Depth=1
	v_mov_b32_e32 v26, v0
	v_mov_b32_e32 v27, v1
	v_mov_b32_e32 v61, v2
	v_mov_b32_e32 v60, v3
	v_mov_b32_e32 v42, v4
	v_mov_b32_e32 v43, v5
	v_mov_b32_e32 v59, v6
	v_mov_b32_e32 v58, v7
	s_branch .LBB71_45
	.section	.rodata,"a",@progbits
	.p2align	6, 0x0
	.amdhsa_kernel _ZL15flash_attn_tileILi128ELi128ELi8ELi8ELb1EEvPKcS1_S1_S1_S1_PKiPfP15HIP_vector_typeIfLj2EEffffjfiS5_IjLj3EEiiiiiiiiiiiliiliiiiil
		.amdhsa_group_segment_fixed_size 29696
		.amdhsa_private_segment_fixed_size 0
		.amdhsa_kernarg_size 464
		.amdhsa_user_sgpr_count 2
		.amdhsa_user_sgpr_dispatch_ptr 0
		.amdhsa_user_sgpr_queue_ptr 0
		.amdhsa_user_sgpr_kernarg_segment_ptr 1
		.amdhsa_user_sgpr_dispatch_id 0
		.amdhsa_user_sgpr_kernarg_preload_length 0
		.amdhsa_user_sgpr_kernarg_preload_offset 0
		.amdhsa_user_sgpr_private_segment_size 0
		.amdhsa_uses_dynamic_stack 0
		.amdhsa_enable_private_segment 0
		.amdhsa_system_sgpr_workgroup_id_x 1
		.amdhsa_system_sgpr_workgroup_id_y 1
		.amdhsa_system_sgpr_workgroup_id_z 1
		.amdhsa_system_sgpr_workgroup_info 0
		.amdhsa_system_vgpr_workitem_id 1
		.amdhsa_next_free_vgpr 108
		.amdhsa_next_free_sgpr 96
		.amdhsa_accum_offset 108
		.amdhsa_reserve_vcc 1
		.amdhsa_float_round_mode_32 0
		.amdhsa_float_round_mode_16_64 0
		.amdhsa_float_denorm_mode_32 3
		.amdhsa_float_denorm_mode_16_64 3
		.amdhsa_dx10_clamp 1
		.amdhsa_ieee_mode 1
		.amdhsa_fp16_overflow 0
		.amdhsa_tg_split 0
		.amdhsa_exception_fp_ieee_invalid_op 0
		.amdhsa_exception_fp_denorm_src 0
		.amdhsa_exception_fp_ieee_div_zero 0
		.amdhsa_exception_fp_ieee_overflow 0
		.amdhsa_exception_fp_ieee_underflow 0
		.amdhsa_exception_fp_ieee_inexact 0
		.amdhsa_exception_int_div_zero 0
	.end_amdhsa_kernel
	.section	.text._ZL15flash_attn_tileILi128ELi128ELi8ELi8ELb1EEvPKcS1_S1_S1_S1_PKiPfP15HIP_vector_typeIfLj2EEffffjfiS5_IjLj3EEiiiiiiiiiiiliiliiiiil,"axG",@progbits,_ZL15flash_attn_tileILi128ELi128ELi8ELi8ELb1EEvPKcS1_S1_S1_S1_PKiPfP15HIP_vector_typeIfLj2EEffffjfiS5_IjLj3EEiiiiiiiiiiiliiliiiiil,comdat
.Lfunc_end71:
	.size	_ZL15flash_attn_tileILi128ELi128ELi8ELi8ELb1EEvPKcS1_S1_S1_S1_PKiPfP15HIP_vector_typeIfLj2EEffffjfiS5_IjLj3EEiiiiiiiiiiiliiliiiiil, .Lfunc_end71-_ZL15flash_attn_tileILi128ELi128ELi8ELi8ELb1EEvPKcS1_S1_S1_S1_PKiPfP15HIP_vector_typeIfLj2EEffffjfiS5_IjLj3EEiiiiiiiiiiiliiliiiiil
                                        ; -- End function
	.set _ZL15flash_attn_tileILi128ELi128ELi8ELi8ELb1EEvPKcS1_S1_S1_S1_PKiPfP15HIP_vector_typeIfLj2EEffffjfiS5_IjLj3EEiiiiiiiiiiiliiliiiiil.num_vgpr, 108
	.set _ZL15flash_attn_tileILi128ELi128ELi8ELi8ELb1EEvPKcS1_S1_S1_S1_PKiPfP15HIP_vector_typeIfLj2EEffffjfiS5_IjLj3EEiiiiiiiiiiiliiliiiiil.num_agpr, 0
	.set _ZL15flash_attn_tileILi128ELi128ELi8ELi8ELb1EEvPKcS1_S1_S1_S1_PKiPfP15HIP_vector_typeIfLj2EEffffjfiS5_IjLj3EEiiiiiiiiiiiliiliiiiil.numbered_sgpr, 40
	.set _ZL15flash_attn_tileILi128ELi128ELi8ELi8ELb1EEvPKcS1_S1_S1_S1_PKiPfP15HIP_vector_typeIfLj2EEffffjfiS5_IjLj3EEiiiiiiiiiiiliiliiiiil.num_named_barrier, 0
	.set _ZL15flash_attn_tileILi128ELi128ELi8ELi8ELb1EEvPKcS1_S1_S1_S1_PKiPfP15HIP_vector_typeIfLj2EEffffjfiS5_IjLj3EEiiiiiiiiiiiliiliiiiil.private_seg_size, 0
	.set _ZL15flash_attn_tileILi128ELi128ELi8ELi8ELb1EEvPKcS1_S1_S1_S1_PKiPfP15HIP_vector_typeIfLj2EEffffjfiS5_IjLj3EEiiiiiiiiiiiliiliiiiil.uses_vcc, 1
	.set _ZL15flash_attn_tileILi128ELi128ELi8ELi8ELb1EEvPKcS1_S1_S1_S1_PKiPfP15HIP_vector_typeIfLj2EEffffjfiS5_IjLj3EEiiiiiiiiiiiliiliiiiil.uses_flat_scratch, 0
	.set _ZL15flash_attn_tileILi128ELi128ELi8ELi8ELb1EEvPKcS1_S1_S1_S1_PKiPfP15HIP_vector_typeIfLj2EEffffjfiS5_IjLj3EEiiiiiiiiiiiliiliiiiil.has_dyn_sized_stack, 0
	.set _ZL15flash_attn_tileILi128ELi128ELi8ELi8ELb1EEvPKcS1_S1_S1_S1_PKiPfP15HIP_vector_typeIfLj2EEffffjfiS5_IjLj3EEiiiiiiiiiiiliiliiiiil.has_recursion, 0
	.set _ZL15flash_attn_tileILi128ELi128ELi8ELi8ELb1EEvPKcS1_S1_S1_S1_PKiPfP15HIP_vector_typeIfLj2EEffffjfiS5_IjLj3EEiiiiiiiiiiiliiliiiiil.has_indirect_call, 0
	.section	.AMDGPU.csdata,"",@progbits
; Kernel info:
; codeLenInByte = 48068
; TotalNumSgprs: 46
; NumVgprs: 108
; NumAgprs: 0
; TotalNumVgprs: 108
; ScratchSize: 0
; MemoryBound: 0
; FloatMode: 240
; IeeeMode: 1
; LDSByteSize: 29696 bytes/workgroup (compile time only)
; SGPRBlocks: 12
; VGPRBlocks: 13
; NumSGPRsForWavesPerEU: 102
; NumVGPRsForWavesPerEU: 108
; AccumOffset: 108
; Occupancy: 4
; WaveLimiterHint : 1
; COMPUTE_PGM_RSRC2:SCRATCH_EN: 0
; COMPUTE_PGM_RSRC2:USER_SGPR: 2
; COMPUTE_PGM_RSRC2:TRAP_HANDLER: 0
; COMPUTE_PGM_RSRC2:TGID_X_EN: 1
; COMPUTE_PGM_RSRC2:TGID_Y_EN: 1
; COMPUTE_PGM_RSRC2:TGID_Z_EN: 1
; COMPUTE_PGM_RSRC2:TIDIG_COMP_CNT: 1
; COMPUTE_PGM_RSRC3_GFX90A:ACCUM_OFFSET: 26
; COMPUTE_PGM_RSRC3_GFX90A:TG_SPLIT: 0
	.section	.text._ZL15flash_attn_tileILi128ELi128ELi4ELi8ELb1EEvPKcS1_S1_S1_S1_PKiPfP15HIP_vector_typeIfLj2EEffffjfiS5_IjLj3EEiiiiiiiiiiiliiliiiiil,"axG",@progbits,_ZL15flash_attn_tileILi128ELi128ELi4ELi8ELb1EEvPKcS1_S1_S1_S1_PKiPfP15HIP_vector_typeIfLj2EEffffjfiS5_IjLj3EEiiiiiiiiiiiliiliiiiil,comdat
	.globl	_ZL15flash_attn_tileILi128ELi128ELi4ELi8ELb1EEvPKcS1_S1_S1_S1_PKiPfP15HIP_vector_typeIfLj2EEffffjfiS5_IjLj3EEiiiiiiiiiiiliiliiiiil ; -- Begin function _ZL15flash_attn_tileILi128ELi128ELi4ELi8ELb1EEvPKcS1_S1_S1_S1_PKiPfP15HIP_vector_typeIfLj2EEffffjfiS5_IjLj3EEiiiiiiiiiiiliiliiiiil
	.p2align	8
	.type	_ZL15flash_attn_tileILi128ELi128ELi4ELi8ELb1EEvPKcS1_S1_S1_S1_PKiPfP15HIP_vector_typeIfLj2EEffffjfiS5_IjLj3EEiiiiiiiiiiiliiliiiiil,@function
_ZL15flash_attn_tileILi128ELi128ELi4ELi8ELb1EEvPKcS1_S1_S1_S1_PKiPfP15HIP_vector_typeIfLj2EEffffjfiS5_IjLj3EEiiiiiiiiiiiliiliiiiil: ; @_ZL15flash_attn_tileILi128ELi128ELi4ELi8ELb1EEvPKcS1_S1_S1_S1_PKiPfP15HIP_vector_typeIfLj2EEffffjfiS5_IjLj3EEiiiiiiiiiiiliiliiiiil
; %bb.0:
	s_load_dwordx4 s[20:23], s[0:1], 0x5c
	s_load_dwordx2 s[24:25], s[0:1], 0x80
	s_load_dwordx2 s[28:29], s[0:1], 0xb8
	s_mov_b64 s[26:27], 0
	s_waitcnt lgkmcnt(0)
	s_ashr_i32 s5, s23, 31
	s_lshr_b32 s5, s5, 29
	s_add_i32 s5, s23, s5
	s_ashr_i32 s5, s5, 3
	v_cvt_f32_u32_e32 v1, s5
	s_sub_i32 s6, 0, s5
	v_rcp_iflag_f32_e32 v1, v1
	s_nop 0
	v_mul_f32_e32 v1, 0x4f7ffffe, v1
	v_cvt_u32_f32_e32 v1, v1
	s_nop 0
	v_readfirstlane_b32 s7, v1
	s_mul_i32 s6, s6, s7
	s_mul_hi_u32 s6, s7, s6
	s_add_i32 s7, s7, s6
	s_mul_hi_u32 s6, s4, s7
	s_mul_i32 s7, s6, s5
	s_sub_i32 s7, s4, s7
	s_add_i32 s8, s6, 1
	s_sub_i32 s9, s7, s5
	s_cmp_ge_u32 s7, s5
	s_cselect_b32 s6, s8, s6
	s_cselect_b32 s7, s9, s7
	s_add_i32 s8, s6, 1
	s_cmp_ge_u32 s7, s5
	s_cselect_b32 s30, s8, s6
	s_abs_i32 s5, s25
	v_cvt_f32_u32_e32 v1, s5
	s_lshl_b32 s4, s4, 3
	s_mul_i32 s8, s30, s23
	s_xor_b32 s6, s23, s25
	v_rcp_iflag_f32_e32 v1, v1
	s_sub_i32 s9, 0, s5
	s_sub_i32 s25, s4, s8
	s_abs_i32 s7, s23
	v_mul_f32_e32 v1, 0x4f7ffffe, v1
	v_cvt_u32_f32_e32 v1, v1
	s_ashr_i32 s6, s6, 31
	v_readfirstlane_b32 s4, v1
	s_mul_i32 s9, s9, s4
	s_mul_hi_u32 s8, s4, s9
	s_add_i32 s4, s4, s8
	s_mul_hi_u32 s4, s7, s4
	s_mul_i32 s8, s4, s5
	s_sub_i32 s7, s7, s8
	s_add_i32 s9, s4, 1
	s_sub_i32 s8, s7, s5
	s_cmp_ge_u32 s7, s5
	s_cselect_b32 s4, s9, s4
	s_cselect_b32 s7, s8, s7
	s_add_i32 s8, s4, 1
	s_cmp_ge_u32 s7, s5
	s_cselect_b32 s4, s8, s4
	s_xor_b32 s4, s4, s6
	s_sub_i32 s33, s4, s6
	s_abs_i32 s31, s33
	v_cvt_f32_u32_e32 v1, s31
	s_load_dwordx16 s[4:19], s[0:1], 0x0
	v_rcp_iflag_f32_e32 v1, v1
	s_waitcnt lgkmcnt(0)
	s_cmp_eq_u64 s[10:11], 0
	v_mul_f32_e32 v1, 0x4f7ffffe, v1
	v_cvt_u32_f32_e32 v1, v1
	s_nop 0
	v_readfirstlane_b32 s34, v1
	s_cbranch_scc1 .LBB72_2
; %bb.1:
	s_abs_i32 s28, s28
	v_cvt_f32_u32_e32 v1, s28
	s_sub_i32 s37, 0, s28
	s_abs_i32 s36, s30
	s_ashr_i32 s35, s30, 31
	v_rcp_iflag_f32_e32 v1, v1
	s_load_dwordx2 s[26:27], s[0:1], 0xc8
	v_mul_f32_e32 v1, 0x4f7ffffe, v1
	v_cvt_u32_f32_e32 v1, v1
	s_nop 0
	v_readfirstlane_b32 s38, v1
	s_mul_i32 s37, s37, s38
	s_mul_hi_u32 s37, s38, s37
	s_add_i32 s38, s38, s37
	s_mul_hi_u32 s37, s36, s38
	s_mul_i32 s37, s37, s28
	s_sub_i32 s36, s36, s37
	s_sub_i32 s37, s36, s28
	s_cmp_ge_u32 s36, s28
	s_cselect_b32 s36, s37, s36
	s_sub_i32 s37, s36, s28
	s_cmp_ge_u32 s36, s28
	s_cselect_b32 s28, s37, s36
	s_xor_b32 s28, s28, s35
	s_sub_i32 s28, s28, s35
	s_ashr_i32 s35, s28, 31
	s_waitcnt lgkmcnt(0)
	s_mul_hi_u32 s36, s26, s28
	s_mul_i32 s35, s26, s35
	s_mul_i32 s27, s27, s28
	s_add_i32 s35, s36, s35
	s_add_i32 s35, s35, s27
	s_mul_i32 s26, s26, s28
	s_add_u32 s26, s10, s26
	s_addc_u32 s27, s11, s35
.LBB72_2:
	s_load_dwordx4 s[36:39], s[0:1], 0x70
	v_lshrrev_b32_e32 v3, 10, v0
	v_bfe_u32 v3, v3, 1, 9
	v_lshl_add_u32 v5, s2, 2, v3
	v_mul_hi_u32 v3, s20, v5
	s_waitcnt lgkmcnt(0)
	s_mul_i32 s10, s30, s38
	s_ashr_i32 s28, s10, 31
	s_mul_i32 s11, s25, s37
	s_add_u32 s4, s4, s10
	s_addc_u32 s5, s5, s28
	s_ashr_i32 s28, s11, 31
	v_add_u32_e32 v3, v5, v3
	s_add_u32 s10, s4, s11
	v_lshrrev_b32_e32 v3, s21, v3
	s_addc_u32 s11, s5, s28
	s_ashr_i32 s39, s37, 31
	s_mov_b32 s38, s37
	v_mul_lo_u32 v3, v3, s22
	s_ashr_i32 s37, s36, 31
	v_sub_u32_e32 v3, v5, v3
	s_lshr_b64 s[20:21], s[36:37], 2
	s_lshr_b64 s[4:5], s[38:39], 2
	v_mad_u64_u32 v[6:7], s[20:21], s20, v3, 0
	v_mov_b32_e32 v4, v7
	s_lshr_b32 s5, s37, 2
	v_bfe_u32 v1, v0, 10, 10
	v_mad_u64_u32 v[8:9], s[20:21], s5, v3, v[4:5]
	v_lshlrev_b32_e32 v2, 2, v1
	v_mov_b32_e32 v7, v8
	v_and_b32_e32 v4, 0x3ff, v0
	v_lshl_add_u64 v[6:7], v[6:7], 2, s[10:11]
	v_lshlrev_b32_e32 v8, 4, v4
	v_mov_b32_e32 v9, 0
	v_and_b32_e32 v30, 4, v2
	s_lshr_b32 s20, s39, 2
	v_lshl_add_u64 v[18:19], v[6:7], 0, v[8:9]
	v_mul_lo_u32 v0, s20, v30
	v_mad_u64_u32 v[6:7], s[10:11], s4, v30, 0
	v_or_b32_e32 v7, v7, v0
	v_bitop3_b32 v8, v2, 5, 1 bitop3:0xc8
	v_lshl_add_u64 v[14:15], v[6:7], 2, v[18:19]
	v_mad_u64_u32 v[6:7], s[10:11], s4, v8, 0
	v_mov_b32_e32 v0, v7
	v_mad_u64_u32 v[8:9], s[10:11], s20, v8, v[0:1]
	v_mov_b32_e32 v7, v8
	v_lshl_add_u64 v[16:17], v[6:7], 2, v[18:19]
	global_load_dwordx4 v[6:9], v[14:15], off
	global_load_dwordx4 v[10:13], v[16:17], off
	v_bitop3_b32 v16, v2, 6, 2 bitop3:0xc8
	v_mad_u64_u32 v[14:15], s[10:11], s4, v16, 0
	v_mov_b32_e32 v0, v15
	v_mad_u64_u32 v[16:17], s[10:11], s20, v16, v[0:1]
	v_mov_b32_e32 v15, v16
	v_lshl_add_u64 v[14:15], v[14:15], 2, v[18:19]
	v_bitop3_b32 v22, v2, 7, 3 bitop3:0xc8
	global_load_dwordx4 v[14:17], v[14:15], off
	v_mad_u64_u32 v[20:21], s[4:5], s4, v22, 0
	v_mov_b32_e32 v0, v21
	v_mad_u64_u32 v[22:23], s[4:5], s20, v22, v[0:1]
	v_mov_b32_e32 v21, v22
	v_lshl_add_u64 v[18:19], v[20:21], 2, v[18:19]
	global_load_dwordx4 v[18:21], v[18:19], off
	s_load_dword s4, s[0:1], 0x40
	v_lshlrev_b32_e32 v32, 3, v4
	v_lshlrev_b32_e32 v0, 10, v1
	v_add_u32_e32 v22, 0x2400, v32
	v_or_b32_e32 v23, 1, v2
	v_add_u32_e32 v25, v22, v0
	v_lshl_add_u32 v23, v23, 8, v22
	v_or_b32_e32 v24, 2, v2
	s_cmp_eq_u64 s[14:15], 0
	s_waitcnt vmcnt(3) lgkmcnt(0)
	v_fma_mixlo_f16 v6, s4, v6, 0
	v_fma_mixlo_f16 v7, s4, v7, 0
	;; [unrolled: 1-line block ×4, first 2 shown]
	s_waitcnt vmcnt(2)
	v_fma_mixlo_f16 v10, s4, v10, 0
	v_fma_mixlo_f16 v11, s4, v11, 0
	v_lshlrev_b32_e32 v7, 16, v7
	v_and_b32_e32 v6, 0xffff, v6
	v_fma_mixlo_f16 v12, s4, v12, 0
	v_fma_mixlo_f16 v13, s4, v13, 0
	v_lshlrev_b32_e32 v9, 16, v9
	v_and_b32_e32 v8, 0xffff, v8
	v_lshlrev_b32_e32 v11, 16, v11
	v_and_b32_e32 v10, 0xffff, v10
	v_or_b32_e32 v6, v7, v6
	v_lshlrev_b32_e32 v13, 16, v13
	v_and_b32_e32 v12, 0xffff, v12
	v_or3_b32 v7, v9, v8, 0
	v_or_b32_e32 v8, v11, v10
	v_or3_b32 v6, 0, 0, v6
	s_waitcnt vmcnt(1)
	v_fma_mixlo_f16 v14, s4, v14, 0
	v_or3_b32 v9, v13, v12, 0
	v_or3_b32 v8, 0, 0, v8
	ds_write_b64 v25, v[6:7]
	ds_write_b64 v23, v[8:9]
	v_fma_mixlo_f16 v6, s4, v15, 0
	v_lshlrev_b32_e32 v6, 16, v6
	v_and_b32_e32 v7, 0xffff, v14
	v_or_b32_e32 v6, v6, v7
	v_fma_mixlo_f16 v7, s4, v16, 0
	v_fma_mixlo_f16 v8, s4, v17, 0
	v_lshlrev_b32_e32 v8, 16, v8
	v_and_b32_e32 v7, 0xffff, v7
	v_lshl_add_u32 v9, v24, 8, v22
	v_or3_b32 v7, v8, v7, 0
	v_or3_b32 v6, 0, 0, v6
	ds_write_b64 v9, v[6:7]
	s_waitcnt vmcnt(0)
	v_fma_mixlo_f16 v7, s4, v18, 0
	v_fma_mixlo_f16 v8, s4, v19, 0
	v_lshlrev_b32_e32 v8, 16, v8
	v_and_b32_e32 v7, 0xffff, v7
	v_or_b32_e32 v6, 3, v2
	v_or_b32_e32 v8, v8, v7
	v_fma_mixlo_f16 v7, s4, v20, 0
	v_fma_mixlo_f16 v9, s4, v21, 0
	v_lshl_add_u32 v10, v6, 8, v22
	v_lshlrev_b32_e32 v6, 16, v9
	v_and_b32_e32 v7, 0xffff, v7
	v_or3_b32 v7, v6, v7, 0
	v_or3_b32 v6, 0, 0, v8
	ds_write_b64 v10, v[6:7]
	s_waitcnt lgkmcnt(0)
	s_barrier
	s_cbranch_scc1 .LBB72_4
; %bb.3:
	s_load_dword s4, s[0:1], 0xd0
	s_mov_b32 s5, 0
	s_waitcnt lgkmcnt(0)
	s_mul_i32 s4, s4, s30
	s_add_i32 s4, s4, s2
	s_lshl_b64 s[4:5], s[4:5], 2
	s_add_u32 s4, s14, s4
	s_addc_u32 s5, s15, s5
	s_load_dword s24, s[4:5], 0x0
.LBB72_4:
	s_lshl_b32 s2, s3, 6
	s_waitcnt lgkmcnt(0)
	s_cmp_lt_i32 s2, s24
	v_mbcnt_lo_u32_b32 v6, -1, 0
	s_cbranch_scc1 .LBB72_27
; %bb.5:
	v_mbcnt_hi_u32_b32 v17, -1, v6
	v_and_b32_e32 v7, 0x60, v17
	v_add_u32_e32 v54, 32, v7
	v_xor_b32_e32 v57, 16, v17
	v_xor_b32_e32 v58, 8, v17
	;; [unrolled: 1-line block ×5, first 2 shown]
	v_lshlrev_b32_e32 v31, 2, v4
	s_cbranch_execz .LBB72_28
; %bb.6:
	v_mov_b32_e32 v7, 0
	v_mov_b32_e32 v47, 0
	;; [unrolled: 1-line block ×16, first 2 shown]
.LBB72_7:
	v_cmp_lt_i32_e32 vcc, v57, v54
	s_cmp_lg_u64 s[12:13], 0
	s_cselect_b64 s[4:5], -1, 0
	v_cndmask_b32_e32 v10, v17, v57, vcc
	v_cmp_lt_i32_e32 vcc, v58, v54
	v_lshlrev_b32_e32 v13, 2, v10
	ds_bpermute_b32 v11, v13, v9
	v_cndmask_b32_e32 v10, v17, v58, vcc
	v_cmp_lt_i32_e32 vcc, v59, v54
	v_lshlrev_b32_e32 v14, 2, v10
	ds_bpermute_b32 v12, v13, v6
	v_cndmask_b32_e32 v10, v17, v59, vcc
	v_lshlrev_b32_e32 v15, 2, v10
	ds_bpermute_b32 v10, v13, v8
	ds_bpermute_b32 v13, v13, v7
	v_cmp_lt_i32_e32 vcc, v56, v54
	s_cmp_eq_u32 s3, 0
	s_cselect_b64 s[6:7], -1, 0
	s_waitcnt lgkmcnt(1)
	v_pk_add_f32 v[8:9], v[8:9], v[10:11]
	s_waitcnt lgkmcnt(0)
	v_pk_add_f32 v[6:7], v[6:7], v[12:13]
	ds_bpermute_b32 v10, v14, v8
	ds_bpermute_b32 v11, v14, v9
	;; [unrolled: 1-line block ×4, first 2 shown]
	v_cndmask_b32_e32 v16, v17, v56, vcc
	v_lshlrev_b32_e32 v14, 2, v16
	s_waitcnt lgkmcnt(2)
	v_pk_add_f32 v[8:9], v[8:9], v[10:11]
	ds_bpermute_b32 v10, v15, v8
	s_waitcnt lgkmcnt(1)
	v_pk_add_f32 v[6:7], v[6:7], v[12:13]
	ds_bpermute_b32 v11, v15, v9
	ds_bpermute_b32 v12, v15, v6
	;; [unrolled: 1-line block ×3, first 2 shown]
	v_cmp_lt_i32_e32 vcc, v55, v54
	s_and_b64 s[4:5], s[6:7], s[4:5]
	s_waitcnt lgkmcnt(2)
	v_pk_add_f32 v[8:9], v[8:9], v[10:11]
	ds_bpermute_b32 v10, v14, v8
	s_waitcnt lgkmcnt(1)
	v_pk_add_f32 v[6:7], v[6:7], v[12:13]
	ds_bpermute_b32 v11, v14, v9
	ds_bpermute_b32 v12, v14, v6
	;; [unrolled: 1-line block ×3, first 2 shown]
	v_cndmask_b32_e32 v15, v17, v55, vcc
	v_lshlrev_b32_e32 v14, 2, v15
	s_waitcnt lgkmcnt(2)
	v_pk_add_f32 v[8:9], v[8:9], v[10:11]
	ds_bpermute_b32 v10, v14, v8
	s_waitcnt lgkmcnt(1)
	v_pk_add_f32 v[6:7], v[6:7], v[12:13]
	ds_bpermute_b32 v11, v14, v9
	ds_bpermute_b32 v12, v14, v6
	;; [unrolled: 1-line block ×3, first 2 shown]
	s_and_b64 vcc, exec, s[4:5]
	s_waitcnt lgkmcnt(2)
	v_pk_add_f32 v[8:9], v[8:9], v[10:11]
	s_waitcnt lgkmcnt(0)
	v_pk_add_f32 v[6:7], v[6:7], v[12:13]
	s_cbranch_vccz .LBB72_9
; %bb.8:
	v_add_u32_e32 v10, s25, v30
	v_ashrrev_i32_e32 v11, 31, v10
	v_lshl_add_u64 v[10:11], v[10:11], 2, s[12:13]
	global_load_dwordx4 v[10:13], v[10:11], off
	v_max_f32_e32 v14, v0, v0
	v_max_f32_e32 v15, v1, v1
	s_mov_b32 s5, 0x3fb8aa3b
	v_max_f32_e32 v16, v2, v2
	s_mov_b32 s2, 0xc2ce8ed0
	s_mov_b32 s4, 0x42b17218
	v_mov_b32_e32 v18, 0x7f800000
	s_waitcnt vmcnt(0)
	v_max_f32_e32 v17, v10, v10
	v_max_f32_e32 v14, v14, v17
	;; [unrolled: 1-line block ×3, first 2 shown]
	v_sub_f32_e32 v0, v0, v14
	v_max_f32_e32 v15, v15, v19
	v_sub_f32_e32 v10, v10, v14
	v_mul_f32_e32 v17, 0x3fb8aa3b, v0
	v_max_f32_e32 v20, v12, v12
	v_sub_f32_e32 v1, v1, v15
	v_mul_f32_e32 v19, 0x3fb8aa3b, v10
	v_fma_f32 v24, v0, s5, -v17
	v_rndne_f32_e32 v26, v17
	v_max_f32_e32 v16, v16, v20
	v_sub_f32_e32 v11, v11, v15
	v_mul_f32_e32 v20, 0x3fb8aa3b, v1
	v_fma_f32 v27, v10, s5, -v19
	v_rndne_f32_e32 v28, v19
	v_fmac_f32_e32 v24, 0x32a5705f, v0
	v_sub_f32_e32 v17, v17, v26
	v_sub_f32_e32 v2, v2, v16
	v_mul_f32_e32 v21, 0x3fb8aa3b, v11
	v_fma_f32 v29, v1, s5, -v20
	v_rndne_f32_e32 v32, v20
	v_fmac_f32_e32 v27, 0x32a5705f, v10
	v_sub_f32_e32 v19, v19, v28
	v_add_f32_e32 v17, v17, v24
	v_mul_f32_e32 v22, 0x3fb8aa3b, v2
	v_fma_f32 v33, v11, s5, -v21
	v_rndne_f32_e32 v34, v21
	v_cvt_i32_f32_e32 v26, v26
	v_fmac_f32_e32 v29, 0x32a5705f, v1
	v_sub_f32_e32 v20, v20, v32
	v_add_f32_e32 v19, v19, v27
	v_exp_f32_e32 v17, v17
	v_fma_f32 v35, v2, s5, -v22
	v_rndne_f32_e32 v36, v22
	v_cvt_i32_f32_e32 v28, v28
	v_fmac_f32_e32 v33, 0x32a5705f, v11
	v_sub_f32_e32 v21, v21, v34
	v_add_f32_e32 v20, v20, v29
	v_exp_f32_e32 v19, v19
	v_cvt_i32_f32_e32 v32, v32
	v_fmac_f32_e32 v35, 0x32a5705f, v2
	v_sub_f32_e32 v22, v22, v36
	v_add_f32_e32 v21, v21, v33
	v_exp_f32_e32 v20, v20
	v_cvt_i32_f32_e32 v34, v34
	v_add_f32_e32 v22, v22, v35
	v_exp_f32_e32 v21, v21
	v_cvt_i32_f32_e32 v36, v36
	v_exp_f32_e32 v22, v22
	v_ldexp_f32 v17, v17, v26
	v_cmp_ngt_f32_e32 vcc, s2, v0
	v_ldexp_f32 v19, v19, v28
	v_ldexp_f32 v20, v20, v32
	v_cndmask_b32_e32 v17, 0, v17, vcc
	v_cmp_ngt_f32_e32 vcc, s2, v10
	v_sub_f32_e32 v12, v12, v16
	v_ldexp_f32 v21, v21, v34
	v_cndmask_b32_e32 v19, 0, v19, vcc
	v_cmp_ngt_f32_e32 vcc, s2, v1
	v_mul_f32_e32 v23, 0x3fb8aa3b, v12
	v_ldexp_f32 v22, v22, v36
	v_cndmask_b32_e32 v20, 0, v20, vcc
	v_cmp_ngt_f32_e32 vcc, s2, v11
	v_fma_f32 v37, v12, s5, -v23
	v_rndne_f32_e32 v38, v23
	v_cndmask_b32_e32 v21, 0, v21, vcc
	v_cmp_ngt_f32_e32 vcc, s2, v2
	v_fmac_f32_e32 v37, 0x32a5705f, v12
	v_sub_f32_e32 v23, v23, v38
	v_cndmask_b32_e32 v22, 0, v22, vcc
	v_cmp_nlt_f32_e32 vcc, s4, v0
	v_add_f32_e32 v23, v23, v37
	v_cvt_i32_f32_e32 v38, v38
	v_cndmask_b32_e32 v0, v18, v17, vcc
	v_cvt_f16_f32_e32 v17, v0
	v_exp_f32_e32 v23, v23
	v_cmp_nlt_f32_e32 vcc, s4, v10
	v_mul_u32_u24_e32 v17, 0x10001, v17
	s_nop 0
	v_cndmask_b32_e32 v10, v18, v19, vcc
	v_cmp_nlt_f32_e32 vcc, s4, v1
	v_pk_mul_f16 v47, v47, v17
	v_pk_mul_f16 v25, v25, v17
	v_cndmask_b32_e32 v1, v18, v20, vcc
	v_cmp_nlt_f32_e32 vcc, s4, v11
	v_ldexp_f32 v17, v23, v38
	v_max_f32_e32 v20, v3, v3
	v_cndmask_b32_e32 v11, v18, v21, vcc
	v_cmp_nlt_f32_e32 vcc, s4, v2
	v_cvt_f16_f32_e32 v19, v1
	v_pk_fma_f32 v[8:9], v[8:9], v[0:1], v[10:11]
	v_cndmask_b32_e32 v2, v18, v22, vcc
	v_cmp_ngt_f32_e32 vcc, s2, v12
	v_mul_u32_u24_e32 v19, 0x10001, v19
	v_pk_mul_f16 v45, v45, v19
	v_cndmask_b32_e32 v17, 0, v17, vcc
	v_cmp_nlt_f32_e32 vcc, s4, v12
	v_pk_mul_f16 v48, v48, v19
	v_cvt_f16_f32_e32 v19, v2
	v_cndmask_b32_e32 v12, v18, v17, vcc
	v_max_f32_e32 v17, v13, v13
	v_max_f32_e32 v17, v20, v17
	v_sub_f32_e32 v3, v3, v17
	v_mul_f32_e32 v20, 0x3fb8aa3b, v3
	v_fma_f32 v21, v3, s5, -v20
	v_rndne_f32_e32 v22, v20
	v_fmac_f32_e32 v21, 0x32a5705f, v3
	v_sub_f32_e32 v20, v20, v22
	v_add_f32_e32 v20, v20, v21
	v_exp_f32_e32 v20, v20
	v_cvt_i32_f32_e32 v21, v22
	v_mul_u32_u24_e32 v19, 0x10001, v19
	v_sub_f32_e32 v13, v13, v17
	v_pk_mul_f16 v44, v44, v19
	v_pk_mul_f16 v46, v46, v19
	v_ldexp_f32 v19, v20, v21
	v_mul_f32_e32 v20, 0x3fb8aa3b, v13
	v_fma_f32 v21, v13, s5, -v20
	v_rndne_f32_e32 v22, v20
	v_fmac_f32_e32 v21, 0x32a5705f, v13
	v_sub_f32_e32 v20, v20, v22
	v_add_f32_e32 v20, v20, v21
	v_exp_f32_e32 v20, v20
	v_cvt_i32_f32_e32 v21, v22
	v_cmp_ngt_f32_e32 vcc, s2, v3
	s_nop 1
	v_cndmask_b32_e32 v19, 0, v19, vcc
	v_cmp_nlt_f32_e32 vcc, s4, v3
	s_nop 1
	v_cndmask_b32_e32 v3, v18, v19, vcc
	v_ldexp_f32 v19, v20, v21
	v_cvt_f16_f32_e32 v20, v3
	v_cmp_ngt_f32_e32 vcc, s2, v13
	s_nop 1
	v_cndmask_b32_e32 v19, 0, v19, vcc
	v_cmp_nlt_f32_e32 vcc, s4, v13
	s_nop 1
	v_cndmask_b32_e32 v13, v18, v19, vcc
	v_mul_u32_u24_e32 v18, 0x10001, v20
	v_pk_fma_f32 v[6:7], v[6:7], v[2:3], v[12:13]
	v_mov_b64_e32 v[0:1], v[14:15]
	v_pk_mul_f16 v43, v43, v18
	v_pk_mul_f16 v42, v42, v18
	v_mov_b64_e32 v[2:3], v[16:17]
.LBB72_9:
	v_cmp_gt_i32_e32 vcc, s22, v5
	s_and_saveexec_b64 s[4:5], vcc
	s_cbranch_execz .LBB72_26
; %bb.10:
	s_load_dword s8, s[0:1], 0xd4
	v_mov_b32_e32 v10, 1.0
	s_waitcnt lgkmcnt(0)
	s_cmp_lg_u32 s8, 1
	s_cselect_b64 s[0:1], -1, 0
	s_cmp_eq_u32 s8, 1
	s_cselect_b64 s[6:7], -1, 0
	s_and_b64 vcc, exec, s[0:1]
	s_cbranch_vccnz .LBB72_12
; %bb.11:
	v_div_scale_f32 v10, s[4:5], v8, v8, 1.0
	v_rcp_f32_e32 v11, v10
	v_div_scale_f32 v12, vcc, 1.0, v8, 1.0
	v_fma_f32 v13, -v10, v11, 1.0
	v_fmac_f32_e32 v11, v13, v11
	v_mul_f32_e32 v13, v12, v11
	v_fma_f32 v14, -v10, v13, v12
	v_fmac_f32_e32 v13, v14, v11
	v_fma_f32 v10, -v10, v13, v12
	v_div_fmas_f32 v10, v10, v11, v13
	v_div_fixup_f32 v10, v10, v8, 1.0
.LBB72_12:
	s_mul_i32 s30, s30, s22
	v_add_u32_e32 v5, s30, v5
	v_mul_lo_u32 v5, v5, s23
	v_add3_u32 v5, s25, v30, v5
	v_cvt_f32_f16_sdwa v15, v47 dst_sel:DWORD dst_unused:UNUSED_PAD src0_sel:WORD_1
	v_cvt_f32_f16_e32 v14, v47
	v_cvt_f32_f16_sdwa v17, v25 dst_sel:DWORD dst_unused:UNUSED_PAD src0_sel:WORD_1
	v_cvt_f32_f16_e32 v16, v25
	v_cmp_eq_u32_e32 vcc, 0, v4
	v_mul_lo_u32 v4, s8, v5
	v_add_u32_e32 v4, s3, v4
	v_lshl_add_u32 v12, v4, 7, v31
	v_mov_b32_e32 v13, 0
	s_and_b64 s[4:5], vcc, s[0:1]
	v_lshl_add_u64 v[18:19], v[12:13], 2, s[16:17]
	v_pk_mul_f32 v[12:13], v[10:11], v[14:15] op_sel_hi:[0,1]
	v_pk_mul_f32 v[14:15], v[10:11], v[16:17] op_sel_hi:[0,1]
	global_store_dwordx4 v[18:19], v[12:15], off
	s_and_saveexec_b64 s[0:1], s[4:5]
	s_cbranch_execz .LBB72_14
; %bb.13:
	v_ashrrev_i32_e32 v5, 31, v4
	v_lshl_add_u64 v[10:11], v[4:5], 3, s[18:19]
	v_mov_b32_e32 v12, v0
	v_mov_b32_e32 v13, v8
	global_store_dwordx2 v[10:11], v[12:13], off
.LBB72_14:
	s_or_b64 exec, exec, s[0:1]
	v_cndmask_b32_e64 v0, 0, 1, s[6:7]
	v_cmp_ne_u32_e64 s[0:1], 1, v0
	s_andn2_b64 vcc, exec, s[6:7]
	v_mov_b32_e32 v0, 1.0
	s_cbranch_vccnz .LBB72_16
; %bb.15:
	v_div_scale_f32 v0, s[2:3], v9, v9, 1.0
	v_rcp_f32_e32 v5, v0
	v_div_scale_f32 v8, vcc, 1.0, v9, 1.0
	v_fma_f32 v10, -v0, v5, 1.0
	v_fmac_f32_e32 v5, v10, v5
	v_mul_f32_e32 v10, v8, v5
	v_fma_f32 v11, -v0, v10, v8
	v_fmac_f32_e32 v10, v11, v5
	v_fma_f32 v0, -v0, v10, v8
	v_div_fmas_f32 v0, v0, v5, v10
	v_div_fixup_f32 v0, v0, v9, 1.0
.LBB72_16:
	v_cvt_f32_f16_sdwa v13, v45 dst_sel:DWORD dst_unused:UNUSED_PAD src0_sel:WORD_1
	v_cvt_f32_f16_e32 v12, v45
	v_cvt_f32_f16_sdwa v15, v48 dst_sel:DWORD dst_unused:UNUSED_PAD src0_sel:WORD_1
	v_cvt_f32_f16_e32 v14, v48
	v_add_u32_e32 v4, s8, v4
	v_lshl_add_u32 v10, v4, 7, v31
	v_mov_b32_e32 v11, 0
	v_lshl_add_u64 v[16:17], v[10:11], 2, s[16:17]
	v_pk_mul_f32 v[10:11], v[0:1], v[12:13] op_sel_hi:[0,1]
	v_pk_mul_f32 v[12:13], v[0:1], v[14:15] op_sel_hi:[0,1]
	global_store_dwordx4 v[16:17], v[10:13], off
	s_and_saveexec_b64 s[2:3], s[4:5]
	s_cbranch_execz .LBB72_18
; %bb.17:
	v_ashrrev_i32_e32 v5, 31, v4
	v_lshl_add_u64 v[10:11], v[4:5], 3, s[18:19]
	v_mov_b32_e32 v8, v1
	global_store_dwordx2 v[10:11], v[8:9], off
.LBB72_18:
	s_or_b64 exec, exec, s[2:3]
	s_and_b64 vcc, exec, s[0:1]
	v_mov_b32_e32 v8, 1.0
	s_cbranch_vccnz .LBB72_20
; %bb.19:
	v_div_scale_f32 v0, s[2:3], v6, v6, 1.0
	v_rcp_f32_e32 v1, v0
	v_div_scale_f32 v5, vcc, 1.0, v6, 1.0
	v_fma_f32 v8, -v0, v1, 1.0
	v_fmac_f32_e32 v1, v8, v1
	v_mul_f32_e32 v8, v5, v1
	v_fma_f32 v9, -v0, v8, v5
	v_fmac_f32_e32 v8, v9, v1
	v_fma_f32 v0, -v0, v8, v5
	v_div_fmas_f32 v0, v0, v1, v8
	v_div_fixup_f32 v8, v0, v6, 1.0
.LBB72_20:
	v_cvt_f32_f16_sdwa v11, v44 dst_sel:DWORD dst_unused:UNUSED_PAD src0_sel:WORD_1
	v_cvt_f32_f16_e32 v10, v44
	v_cvt_f32_f16_sdwa v13, v46 dst_sel:DWORD dst_unused:UNUSED_PAD src0_sel:WORD_1
	v_cvt_f32_f16_e32 v12, v46
	v_add_u32_e32 v0, s8, v4
	v_lshl_add_u32 v4, v0, 7, v31
	v_mov_b32_e32 v5, 0
	v_lshl_add_u64 v[4:5], v[4:5], 2, s[16:17]
	v_pk_mul_f32 v[10:11], v[8:9], v[10:11] op_sel_hi:[0,1]
	v_pk_mul_f32 v[12:13], v[8:9], v[12:13] op_sel_hi:[0,1]
	global_store_dwordx4 v[4:5], v[10:13], off
	s_and_saveexec_b64 s[2:3], s[4:5]
	s_cbranch_execz .LBB72_22
; %bb.21:
	v_ashrrev_i32_e32 v1, 31, v0
	v_lshl_add_u64 v[4:5], v[0:1], 3, s[18:19]
	v_mov_b32_e32 v8, v2
	v_mov_b32_e32 v9, v6
	global_store_dwordx2 v[4:5], v[8:9], off
.LBB72_22:
	s_or_b64 exec, exec, s[2:3]
	s_and_b64 vcc, exec, s[0:1]
	v_mov_b32_e32 v2, 1.0
	s_cbranch_vccnz .LBB72_24
; %bb.23:
	v_div_scale_f32 v1, s[0:1], v7, v7, 1.0
	v_rcp_f32_e32 v2, v1
	v_div_scale_f32 v4, vcc, 1.0, v7, 1.0
	v_fma_f32 v5, -v1, v2, 1.0
	v_fmac_f32_e32 v2, v5, v2
	v_mul_f32_e32 v5, v4, v2
	v_fma_f32 v6, -v1, v5, v4
	v_fmac_f32_e32 v5, v6, v2
	v_fma_f32 v1, -v1, v5, v4
	v_div_fmas_f32 v1, v1, v2, v5
	v_div_fixup_f32 v2, v1, v7, 1.0
.LBB72_24:
	v_cvt_f32_f16_sdwa v9, v43 dst_sel:DWORD dst_unused:UNUSED_PAD src0_sel:WORD_1
	v_cvt_f32_f16_e32 v8, v43
	v_cvt_f32_f16_sdwa v11, v42 dst_sel:DWORD dst_unused:UNUSED_PAD src0_sel:WORD_1
	v_cvt_f32_f16_e32 v10, v42
	v_add_u32_e32 v0, s8, v0
	v_lshl_add_u32 v4, v0, 7, v31
	v_mov_b32_e32 v5, 0
	v_lshl_add_u64 v[4:5], v[4:5], 2, s[16:17]
	v_pk_mul_f32 v[8:9], v[2:3], v[8:9] op_sel_hi:[0,1]
	v_pk_mul_f32 v[10:11], v[2:3], v[10:11] op_sel_hi:[0,1]
	global_store_dwordx4 v[4:5], v[8:11], off
	s_and_b64 exec, exec, s[4:5]
	s_cbranch_execz .LBB72_26
; %bb.25:
	v_ashrrev_i32_e32 v1, 31, v0
	v_lshl_add_u64 v[0:1], v[0:1], 3, s[18:19]
	v_mov_b32_e32 v6, v3
	global_store_dwordx2 v[0:1], v[6:7], off
.LBB72_26:
	s_endpgm
.LBB72_27:
                                        ; implicit-def: $vgpr17
                                        ; implicit-def: $vgpr54
                                        ; implicit-def: $vgpr57
                                        ; implicit-def: $vgpr58
                                        ; implicit-def: $vgpr59
                                        ; implicit-def: $vgpr56
                                        ; implicit-def: $vgpr55
	v_lshlrev_b32_e32 v31, 2, v4
.LBB72_28:
	s_sub_i32 s4, 0, s31
	s_mul_i32 s4, s4, s34
	s_mul_hi_u32 s4, s34, s4
	s_add_i32 s34, s34, s4
	s_load_dwordx4 s[36:39], s[0:1], 0x98
	s_load_dword s10, s[0:1], 0x54
	s_load_dwordx2 s[4:5], s[0:1], 0x8c
	s_ashr_i32 s28, s33, 31
	s_abs_i32 s15, s25
	s_waitcnt lgkmcnt(0)
	s_ashr_i32 s11, s38, 2
	s_mul_hi_u32 s33, s36, s30
	s_ashr_i32 s14, s4, 2
	s_ashr_i32 s4, s30, 31
	s_mul_i32 s38, s36, s4
	s_add_i32 s33, s33, s38
	s_mul_i32 s37, s37, s30
	s_ashr_i32 s21, s25, 31
	s_ashr_i32 s29, s29, 1
	s_add_i32 s33, s33, s37
	s_mul_i32 s36, s36, s30
	s_mul_hi_u32 s20, s15, s34
	s_add_u32 s6, s6, s36
	s_addc_u32 s7, s7, s33
	s_xor_b32 s21, s21, s28
	s_mul_i32 s28, s20, s31
	s_sub_i32 s15, s15, s28
	s_add_i32 s28, s20, 1
	s_sub_i32 s33, s15, s31
	s_cmp_ge_u32 s15, s31
	s_cselect_b32 s20, s28, s20
	s_cselect_b32 s15, s33, s15
	s_add_i32 s28, s20, 1
	s_cmp_ge_u32 s15, s31
	s_load_dwordx2 s[34:35], s[0:1], 0xa8
	s_cselect_b32 s15, s28, s20
	s_xor_b32 s15, s15, s21
	s_sub_i32 s21, s15, s21
	s_mul_i32 s5, s21, s5
	s_ashr_i32 s20, s5, 31
	s_add_u32 s15, s6, s5
	s_waitcnt lgkmcnt(0)
	s_mul_hi_u32 s5, s34, s30
	s_mul_i32 s4, s34, s4
	s_addc_u32 s20, s7, s20
	s_add_i32 s4, s5, s4
	s_mul_i32 s5, s35, s30
	s_add_i32 s4, s4, s5
	s_mul_i32 s5, s34, s30
	s_add_u32 s5, s8, s5
	s_mul_i32 s21, s21, s39
	s_addc_u32 s4, s9, s4
	s_ashr_i32 s6, s21, 31
	v_lshrrev_b32_e32 v7, 3, v4
	v_add_u32_e32 v35, 0x2400, v0
	v_mov_b32_e32 v0, 0x4400
	s_add_u32 s8, s5, s21
	v_add_u32_e32 v7, v7, v2
	v_and_b32_e32 v2, 28, v31
	v_lshl_add_u32 v37, v1, 9, v0
	v_lshrrev_b32_e32 v0, 4, v4
	s_addc_u32 s9, s4, s6
	v_lshlrev_b32_e32 v8, 2, v2
	s_movk_i32 s4, 0x90
	v_lshl_add_u32 v1, v1, 1, v0
	v_mad_u32_u24 v33, v7, s4, v8
	v_and_b32_e32 v0, 60, v31
	v_mul_lo_u32 v8, s11, v1
	v_mul_lo_u32 v12, s14, v7
	v_mad_u64_u32 v[16:17], s[4:5], v3, s29, v[4:5]
	v_lshlrev_b32_e32 v3, 2, v0
	v_lshl_add_u32 v22, s11, 4, v8
	v_mov_b32_e32 v11, 0
	v_lshl_add_u32 v14, s14, 5, v12
	v_lshl_or_b32 v38, v1, 8, v3
	v_ashrrev_i32_e32 v9, 31, v8
	v_ashrrev_i32_e32 v23, 31, v22
	s_add_u32 s4, s0, 0xd0
	v_ashrrev_i32_e32 v13, 31, v12
	v_add_u32_e32 v34, 0x1200, v33
	v_ashrrev_i32_e32 v15, 31, v14
	v_mul_u32_u24_e32 v36, 0x90, v4
	v_add_u32_e32 v39, 0x1000, v38
	s_addc_u32 s5, s1, 0
	v_mov_b32_e32 v24, 0xfeffffff
	v_lshlrev_b32_e32 v18, 2, v2
	v_mov_b32_e32 v19, v11
	s_mov_b32 s21, 0x3f200000
	s_mov_b32 s28, 0x3fb8aa3b
	;; [unrolled: 1-line block ×4, first 2 shown]
	v_mov_b32_e32 v40, 0x3ca908c9
	s_brev_b32 s33, -2
	s_mov_b32 s34, 0x10001
	v_lshlrev_b64 v[20:21], 2, v[8:9]
	v_lshlrev_b32_e32 v10, 2, v0
	v_lshlrev_b64 v[22:23], 2, v[22:23]
	v_mov_b32_e32 v41, 0x7f800000
	v_mbcnt_hi_u32_b32 v17, -1, v6
	v_mov_b32_e32 v42, v11
	v_mov_b32_e32 v43, v11
	;; [unrolled: 1-line block ×15, first 2 shown]
                                        ; implicit-def: $vgpr1
                                        ; implicit-def: $vgpr1
	;; [unrolled: 1-line block ×3, first 2 shown]
.LBB72_29:                              ; =>This Inner Loop Header: Depth=1
	s_mul_hi_i32 s7, s2, s14
	s_mul_i32 s6, s2, s14
	s_lshl_b64 s[6:7], s[6:7], 2
	s_add_u32 s6, s15, s6
	s_addc_u32 s7, s20, s7
	v_lshl_add_u64 v[0:1], v[12:13], 2, s[6:7]
	v_lshl_add_u64 v[0:1], v[0:1], 0, v[18:19]
	;; [unrolled: 1-line block ×4, first 2 shown]
	global_load_dwordx4 v[56:59], v[0:1], off
	global_load_dwordx4 v[60:63], v[2:3], off
	v_mov_b32_e32 v54, 0
	v_mov_b32_e32 v52, 0
	v_mov_b32_e32 v29, 0
	v_mov_b32_e32 v26, 0
	v_mov_b32_e32 v55, 0
	v_mov_b32_e32 v53, 0
	v_mov_b32_e32 v51, 0
	v_mov_b32_e32 v28, 0
	s_waitcnt vmcnt(1)
	ds_write_b128 v33, v[56:59]
	s_waitcnt vmcnt(0)
	ds_write_b128 v34, v[60:63]
	s_waitcnt lgkmcnt(0)
	s_barrier
	ds_read_b128 v[56:59], v35
	ds_read_b128 v[60:63], v36
	ds_read_b128 v[64:67], v36 offset:4608
	ds_read_b128 v[68:71], v35 offset:256
	;; [unrolled: 1-line block ×4, first 2 shown]
	s_waitcnt lgkmcnt(4)
	;;#ASMSTART
	v_dot2_f32_f16 v54, v60, v56, v54
	;;#ASMEND
	s_nop 0
	;;#ASMSTART
	v_dot2_f32_f16 v54, v61, v57, v54
	;;#ASMEND
	s_nop 0
	;;#ASMSTART
	v_dot2_f32_f16 v54, v62, v58, v54
	;;#ASMEND
	s_nop 0
	;;#ASMSTART
	v_dot2_f32_f16 v54, v63, v59, v54
	;;#ASMEND
	s_waitcnt lgkmcnt(2)
	;;#ASMSTART
	v_dot2_f32_f16 v52, v60, v68, v52
	;;#ASMEND
	s_nop 0
	;;#ASMSTART
	v_dot2_f32_f16 v52, v61, v69, v52
	;;#ASMEND
	s_nop 0
	;;#ASMSTART
	v_dot2_f32_f16 v52, v62, v70, v52
	;;#ASMEND
	s_nop 0
	;;#ASMSTART
	v_dot2_f32_f16 v52, v63, v71, v52
	;;#ASMEND
	;; [unrolled: 16-line block ×4, first 2 shown]
	;;#ASMSTART
	v_dot2_f32_f16 v55, v64, v56, v55
	;;#ASMEND
	s_nop 0
	;;#ASMSTART
	v_dot2_f32_f16 v55, v65, v57, v55
	;;#ASMEND
	s_nop 0
	;;#ASMSTART
	v_dot2_f32_f16 v55, v66, v58, v55
	;;#ASMEND
	s_nop 0
	;;#ASMSTART
	v_dot2_f32_f16 v55, v67, v59, v55
	;;#ASMEND
	;;#ASMSTART
	v_dot2_f32_f16 v53, v64, v68, v53
	;;#ASMEND
	s_nop 0
	;;#ASMSTART
	v_dot2_f32_f16 v53, v65, v69, v53
	;;#ASMEND
	s_nop 0
	;;#ASMSTART
	v_dot2_f32_f16 v53, v66, v70, v53
	;;#ASMEND
	s_nop 0
	;;#ASMSTART
	v_dot2_f32_f16 v53, v67, v71, v53
	;;#ASMEND
	;; [unrolled: 15-line block ×4, first 2 shown]
	ds_read_b128 v[56:59], v35 offset:16
	ds_read_b128 v[60:63], v36 offset:16
	;; [unrolled: 1-line block ×6, first 2 shown]
	s_waitcnt lgkmcnt(4)
	;;#ASMSTART
	v_dot2_f32_f16 v54, v60, v56, v54
	;;#ASMEND
	s_nop 0
	;;#ASMSTART
	v_dot2_f32_f16 v54, v61, v57, v54
	;;#ASMEND
	s_nop 0
	;;#ASMSTART
	v_dot2_f32_f16 v54, v62, v58, v54
	;;#ASMEND
	s_nop 0
	;;#ASMSTART
	v_dot2_f32_f16 v54, v63, v59, v54
	;;#ASMEND
	s_waitcnt lgkmcnt(2)
	;;#ASMSTART
	v_dot2_f32_f16 v52, v60, v68, v52
	;;#ASMEND
	s_nop 0
	;;#ASMSTART
	v_dot2_f32_f16 v52, v61, v69, v52
	;;#ASMEND
	s_nop 0
	;;#ASMSTART
	v_dot2_f32_f16 v52, v62, v70, v52
	;;#ASMEND
	s_nop 0
	;;#ASMSTART
	v_dot2_f32_f16 v52, v63, v71, v52
	;;#ASMEND
	;; [unrolled: 16-line block ×4, first 2 shown]
	;;#ASMSTART
	v_dot2_f32_f16 v55, v64, v56, v55
	;;#ASMEND
	s_nop 0
	;;#ASMSTART
	v_dot2_f32_f16 v55, v65, v57, v55
	;;#ASMEND
	s_nop 0
	;;#ASMSTART
	v_dot2_f32_f16 v55, v66, v58, v55
	;;#ASMEND
	s_nop 0
	;;#ASMSTART
	v_dot2_f32_f16 v55, v67, v59, v55
	;;#ASMEND
	;;#ASMSTART
	v_dot2_f32_f16 v53, v64, v68, v53
	;;#ASMEND
	s_nop 0
	;;#ASMSTART
	v_dot2_f32_f16 v53, v65, v69, v53
	;;#ASMEND
	s_nop 0
	;;#ASMSTART
	v_dot2_f32_f16 v53, v66, v70, v53
	;;#ASMEND
	s_nop 0
	;;#ASMSTART
	v_dot2_f32_f16 v53, v67, v71, v53
	;;#ASMEND
	;; [unrolled: 15-line block ×4, first 2 shown]
	ds_read_b128 v[56:59], v35 offset:32
	ds_read_b128 v[60:63], v36 offset:32
	;; [unrolled: 1-line block ×6, first 2 shown]
	s_waitcnt lgkmcnt(4)
	;;#ASMSTART
	v_dot2_f32_f16 v54, v60, v56, v54
	;;#ASMEND
	s_nop 0
	;;#ASMSTART
	v_dot2_f32_f16 v54, v61, v57, v54
	;;#ASMEND
	s_nop 0
	;;#ASMSTART
	v_dot2_f32_f16 v54, v62, v58, v54
	;;#ASMEND
	s_nop 0
	;;#ASMSTART
	v_dot2_f32_f16 v54, v63, v59, v54
	;;#ASMEND
	s_waitcnt lgkmcnt(2)
	;;#ASMSTART
	v_dot2_f32_f16 v52, v60, v68, v52
	;;#ASMEND
	s_nop 0
	;;#ASMSTART
	v_dot2_f32_f16 v52, v61, v69, v52
	;;#ASMEND
	s_nop 0
	;;#ASMSTART
	v_dot2_f32_f16 v52, v62, v70, v52
	;;#ASMEND
	s_nop 0
	;;#ASMSTART
	v_dot2_f32_f16 v52, v63, v71, v52
	;;#ASMEND
	;; [unrolled: 16-line block ×4, first 2 shown]
	;;#ASMSTART
	v_dot2_f32_f16 v55, v64, v56, v55
	;;#ASMEND
	s_nop 0
	;;#ASMSTART
	v_dot2_f32_f16 v55, v65, v57, v55
	;;#ASMEND
	s_nop 0
	;;#ASMSTART
	v_dot2_f32_f16 v55, v66, v58, v55
	;;#ASMEND
	s_nop 0
	;;#ASMSTART
	v_dot2_f32_f16 v55, v67, v59, v55
	;;#ASMEND
	;;#ASMSTART
	v_dot2_f32_f16 v53, v64, v68, v53
	;;#ASMEND
	s_nop 0
	;;#ASMSTART
	v_dot2_f32_f16 v53, v65, v69, v53
	;;#ASMEND
	s_nop 0
	;;#ASMSTART
	v_dot2_f32_f16 v53, v66, v70, v53
	;;#ASMEND
	s_nop 0
	;;#ASMSTART
	v_dot2_f32_f16 v53, v67, v71, v53
	;;#ASMEND
	;; [unrolled: 15-line block ×4, first 2 shown]
	ds_read_b128 v[56:59], v35 offset:48
	ds_read_b128 v[60:63], v36 offset:48
	;; [unrolled: 1-line block ×6, first 2 shown]
	s_waitcnt lgkmcnt(4)
	;;#ASMSTART
	v_dot2_f32_f16 v54, v60, v56, v54
	;;#ASMEND
	s_nop 0
	;;#ASMSTART
	v_dot2_f32_f16 v54, v61, v57, v54
	;;#ASMEND
	s_nop 0
	;;#ASMSTART
	v_dot2_f32_f16 v54, v62, v58, v54
	;;#ASMEND
	s_nop 0
	;;#ASMSTART
	v_dot2_f32_f16 v54, v63, v59, v54
	;;#ASMEND
	s_waitcnt lgkmcnt(2)
	;;#ASMSTART
	v_dot2_f32_f16 v52, v60, v68, v52
	;;#ASMEND
	s_nop 0
	;;#ASMSTART
	v_dot2_f32_f16 v52, v61, v69, v52
	;;#ASMEND
	s_nop 0
	;;#ASMSTART
	v_dot2_f32_f16 v52, v62, v70, v52
	;;#ASMEND
	s_nop 0
	;;#ASMSTART
	v_dot2_f32_f16 v52, v63, v71, v52
	;;#ASMEND
	;; [unrolled: 16-line block ×4, first 2 shown]
	;;#ASMSTART
	v_dot2_f32_f16 v55, v64, v56, v55
	;;#ASMEND
	s_nop 0
	;;#ASMSTART
	v_dot2_f32_f16 v55, v65, v57, v55
	;;#ASMEND
	s_nop 0
	;;#ASMSTART
	v_dot2_f32_f16 v55, v66, v58, v55
	;;#ASMEND
	s_nop 0
	;;#ASMSTART
	v_dot2_f32_f16 v55, v67, v59, v55
	;;#ASMEND
	;;#ASMSTART
	v_dot2_f32_f16 v53, v64, v68, v53
	;;#ASMEND
	s_nop 0
	;;#ASMSTART
	v_dot2_f32_f16 v53, v65, v69, v53
	;;#ASMEND
	s_nop 0
	;;#ASMSTART
	v_dot2_f32_f16 v53, v66, v70, v53
	;;#ASMEND
	s_nop 0
	;;#ASMSTART
	v_dot2_f32_f16 v53, v67, v71, v53
	;;#ASMEND
	;; [unrolled: 15-line block ×4, first 2 shown]
	ds_read_b128 v[56:59], v35 offset:64
	ds_read_b128 v[60:63], v36 offset:64
	;; [unrolled: 1-line block ×6, first 2 shown]
	s_waitcnt lgkmcnt(4)
	;;#ASMSTART
	v_dot2_f32_f16 v54, v60, v56, v54
	;;#ASMEND
	s_nop 0
	;;#ASMSTART
	v_dot2_f32_f16 v54, v61, v57, v54
	;;#ASMEND
	s_nop 0
	;;#ASMSTART
	v_dot2_f32_f16 v54, v62, v58, v54
	;;#ASMEND
	s_nop 0
	;;#ASMSTART
	v_dot2_f32_f16 v54, v63, v59, v54
	;;#ASMEND
	s_waitcnt lgkmcnt(2)
	;;#ASMSTART
	v_dot2_f32_f16 v52, v60, v68, v52
	;;#ASMEND
	s_nop 0
	;;#ASMSTART
	v_dot2_f32_f16 v52, v61, v69, v52
	;;#ASMEND
	s_nop 0
	;;#ASMSTART
	v_dot2_f32_f16 v52, v62, v70, v52
	;;#ASMEND
	s_nop 0
	;;#ASMSTART
	v_dot2_f32_f16 v52, v63, v71, v52
	;;#ASMEND
	;; [unrolled: 16-line block ×4, first 2 shown]
	;;#ASMSTART
	v_dot2_f32_f16 v55, v64, v56, v55
	;;#ASMEND
	s_nop 0
	;;#ASMSTART
	v_dot2_f32_f16 v55, v65, v57, v55
	;;#ASMEND
	s_nop 0
	;;#ASMSTART
	v_dot2_f32_f16 v55, v66, v58, v55
	;;#ASMEND
	s_nop 0
	;;#ASMSTART
	v_dot2_f32_f16 v55, v67, v59, v55
	;;#ASMEND
	;;#ASMSTART
	v_dot2_f32_f16 v53, v64, v68, v53
	;;#ASMEND
	s_nop 0
	;;#ASMSTART
	v_dot2_f32_f16 v53, v65, v69, v53
	;;#ASMEND
	s_nop 0
	;;#ASMSTART
	v_dot2_f32_f16 v53, v66, v70, v53
	;;#ASMEND
	s_nop 0
	;;#ASMSTART
	v_dot2_f32_f16 v53, v67, v71, v53
	;;#ASMEND
	;; [unrolled: 15-line block ×4, first 2 shown]
	ds_read_b128 v[56:59], v35 offset:80
	ds_read_b128 v[60:63], v36 offset:80
	;; [unrolled: 1-line block ×6, first 2 shown]
	s_waitcnt lgkmcnt(4)
	;;#ASMSTART
	v_dot2_f32_f16 v54, v60, v56, v54
	;;#ASMEND
	s_nop 0
	;;#ASMSTART
	v_dot2_f32_f16 v54, v61, v57, v54
	;;#ASMEND
	s_nop 0
	;;#ASMSTART
	v_dot2_f32_f16 v54, v62, v58, v54
	;;#ASMEND
	s_nop 0
	;;#ASMSTART
	v_dot2_f32_f16 v54, v63, v59, v54
	;;#ASMEND
	s_waitcnt lgkmcnt(2)
	;;#ASMSTART
	v_dot2_f32_f16 v52, v60, v68, v52
	;;#ASMEND
	s_nop 0
	;;#ASMSTART
	v_dot2_f32_f16 v52, v61, v69, v52
	;;#ASMEND
	s_nop 0
	;;#ASMSTART
	v_dot2_f32_f16 v52, v62, v70, v52
	;;#ASMEND
	s_nop 0
	;;#ASMSTART
	v_dot2_f32_f16 v52, v63, v71, v52
	;;#ASMEND
	s_waitcnt lgkmcnt(1)
	;;#ASMSTART
	v_dot2_f32_f16 v29, v60, v72, v29
	;;#ASMEND
	s_nop 0
	;;#ASMSTART
	v_dot2_f32_f16 v29, v61, v73, v29
	;;#ASMEND
	s_nop 0
	;;#ASMSTART
	v_dot2_f32_f16 v29, v62, v74, v29
	;;#ASMEND
	s_nop 0
	;;#ASMSTART
	v_dot2_f32_f16 v29, v63, v75, v29
	;;#ASMEND
	s_waitcnt lgkmcnt(0)
	;;#ASMSTART
	v_dot2_f32_f16 v26, v60, v76, v26
	;;#ASMEND
	s_nop 0
	;;#ASMSTART
	v_dot2_f32_f16 v26, v61, v77, v26
	;;#ASMEND
	s_nop 0
	;;#ASMSTART
	v_dot2_f32_f16 v26, v62, v78, v26
	;;#ASMEND
	s_nop 0
	;;#ASMSTART
	v_dot2_f32_f16 v26, v63, v79, v26
	;;#ASMEND
	;;#ASMSTART
	v_dot2_f32_f16 v55, v64, v56, v55
	;;#ASMEND
	s_nop 0
	;;#ASMSTART
	v_dot2_f32_f16 v55, v65, v57, v55
	;;#ASMEND
	s_nop 0
	;;#ASMSTART
	v_dot2_f32_f16 v55, v66, v58, v55
	;;#ASMEND
	s_nop 0
	;;#ASMSTART
	v_dot2_f32_f16 v55, v67, v59, v55
	;;#ASMEND
	;;#ASMSTART
	v_dot2_f32_f16 v53, v64, v68, v53
	;;#ASMEND
	s_nop 0
	;;#ASMSTART
	v_dot2_f32_f16 v53, v65, v69, v53
	;;#ASMEND
	s_nop 0
	;;#ASMSTART
	v_dot2_f32_f16 v53, v66, v70, v53
	;;#ASMEND
	s_nop 0
	;;#ASMSTART
	v_dot2_f32_f16 v53, v67, v71, v53
	;;#ASMEND
	;; [unrolled: 15-line block ×4, first 2 shown]
	ds_read_b128 v[56:59], v35 offset:96
	ds_read_b128 v[60:63], v36 offset:96
	;; [unrolled: 1-line block ×6, first 2 shown]
	s_waitcnt lgkmcnt(4)
	;;#ASMSTART
	v_dot2_f32_f16 v54, v60, v56, v54
	;;#ASMEND
	s_nop 0
	;;#ASMSTART
	v_dot2_f32_f16 v54, v61, v57, v54
	;;#ASMEND
	s_nop 0
	;;#ASMSTART
	v_dot2_f32_f16 v54, v62, v58, v54
	;;#ASMEND
	s_nop 0
	;;#ASMSTART
	v_dot2_f32_f16 v54, v63, v59, v54
	;;#ASMEND
	s_waitcnt lgkmcnt(2)
	;;#ASMSTART
	v_dot2_f32_f16 v52, v60, v68, v52
	;;#ASMEND
	s_nop 0
	;;#ASMSTART
	v_dot2_f32_f16 v52, v61, v69, v52
	;;#ASMEND
	s_nop 0
	;;#ASMSTART
	v_dot2_f32_f16 v52, v62, v70, v52
	;;#ASMEND
	s_nop 0
	;;#ASMSTART
	v_dot2_f32_f16 v52, v63, v71, v52
	;;#ASMEND
	;; [unrolled: 16-line block ×4, first 2 shown]
	;;#ASMSTART
	v_dot2_f32_f16 v55, v64, v56, v55
	;;#ASMEND
	s_nop 0
	;;#ASMSTART
	v_dot2_f32_f16 v55, v65, v57, v55
	;;#ASMEND
	s_nop 0
	;;#ASMSTART
	v_dot2_f32_f16 v55, v66, v58, v55
	;;#ASMEND
	s_nop 0
	;;#ASMSTART
	v_dot2_f32_f16 v55, v67, v59, v55
	;;#ASMEND
	;;#ASMSTART
	v_dot2_f32_f16 v53, v64, v68, v53
	;;#ASMEND
	s_nop 0
	;;#ASMSTART
	v_dot2_f32_f16 v53, v65, v69, v53
	;;#ASMEND
	s_nop 0
	;;#ASMSTART
	v_dot2_f32_f16 v53, v66, v70, v53
	;;#ASMEND
	s_nop 0
	;;#ASMSTART
	v_dot2_f32_f16 v53, v67, v71, v53
	;;#ASMEND
	;; [unrolled: 15-line block ×4, first 2 shown]
	ds_read_b128 v[56:59], v35 offset:112
	ds_read_b128 v[60:63], v36 offset:112
	;; [unrolled: 1-line block ×6, first 2 shown]
	s_waitcnt lgkmcnt(4)
	;;#ASMSTART
	v_dot2_f32_f16 v54, v60, v56, v54
	;;#ASMEND
	s_nop 0
	;;#ASMSTART
	v_dot2_f32_f16 v54, v61, v57, v54
	;;#ASMEND
	s_nop 0
	;;#ASMSTART
	v_dot2_f32_f16 v54, v62, v58, v54
	;;#ASMEND
	s_nop 0
	;;#ASMSTART
	v_dot2_f32_f16 v54, v63, v59, v54
	;;#ASMEND
	s_waitcnt lgkmcnt(2)
	;;#ASMSTART
	v_dot2_f32_f16 v52, v60, v68, v52
	;;#ASMEND
	s_nop 0
	;;#ASMSTART
	v_dot2_f32_f16 v52, v61, v69, v52
	;;#ASMEND
	s_nop 0
	;;#ASMSTART
	v_dot2_f32_f16 v52, v62, v70, v52
	;;#ASMEND
	s_nop 0
	;;#ASMSTART
	v_dot2_f32_f16 v52, v63, v71, v52
	;;#ASMEND
	;; [unrolled: 16-line block ×4, first 2 shown]
	;;#ASMSTART
	v_dot2_f32_f16 v55, v64, v56, v55
	;;#ASMEND
	s_nop 0
	;;#ASMSTART
	v_dot2_f32_f16 v55, v65, v57, v55
	;;#ASMEND
	s_nop 0
	;;#ASMSTART
	v_dot2_f32_f16 v55, v66, v58, v55
	;;#ASMEND
	s_nop 0
	;;#ASMSTART
	v_dot2_f32_f16 v55, v67, v59, v55
	;;#ASMEND
	;;#ASMSTART
	v_dot2_f32_f16 v53, v64, v68, v53
	;;#ASMEND
	s_nop 0
	;;#ASMSTART
	v_dot2_f32_f16 v53, v65, v69, v53
	;;#ASMEND
	s_nop 0
	;;#ASMSTART
	v_dot2_f32_f16 v53, v66, v70, v53
	;;#ASMEND
	s_nop 0
	;;#ASMSTART
	v_dot2_f32_f16 v53, v67, v71, v53
	;;#ASMEND
	;; [unrolled: 15-line block ×4, first 2 shown]
	s_barrier
	global_load_dwordx4 v[56:59], v[0:1], off offset:128
	global_load_dwordx4 v[60:63], v[2:3], off offset:128
	s_waitcnt vmcnt(1)
	ds_write_b128 v33, v[56:59]
	s_waitcnt vmcnt(0)
	ds_write_b128 v34, v[60:63]
	s_waitcnt lgkmcnt(0)
	s_barrier
	ds_read_b128 v[0:3], v35 offset:128
	ds_read_b128 v[56:59], v36
	ds_read_b128 v[60:63], v36 offset:4608
	ds_read_b128 v[64:67], v35 offset:384
	;; [unrolled: 1-line block ×4, first 2 shown]
	s_waitcnt lgkmcnt(4)
	;;#ASMSTART
	v_dot2_f32_f16 v54, v56, v0, v54
	;;#ASMEND
	s_nop 0
	;;#ASMSTART
	v_dot2_f32_f16 v54, v57, v1, v54
	;;#ASMEND
	s_nop 0
	;;#ASMSTART
	v_dot2_f32_f16 v54, v58, v2, v54
	;;#ASMEND
	s_nop 0
	;;#ASMSTART
	v_dot2_f32_f16 v54, v59, v3, v54
	;;#ASMEND
	s_waitcnt lgkmcnt(2)
	;;#ASMSTART
	v_dot2_f32_f16 v52, v56, v64, v52
	;;#ASMEND
	s_nop 0
	;;#ASMSTART
	v_dot2_f32_f16 v52, v57, v65, v52
	;;#ASMEND
	s_nop 0
	;;#ASMSTART
	v_dot2_f32_f16 v52, v58, v66, v52
	;;#ASMEND
	s_nop 0
	;;#ASMSTART
	v_dot2_f32_f16 v52, v59, v67, v52
	;;#ASMEND
	;; [unrolled: 16-line block ×4, first 2 shown]
	;;#ASMSTART
	v_dot2_f32_f16 v55, v60, v0, v55
	;;#ASMEND
	s_nop 0
	;;#ASMSTART
	v_dot2_f32_f16 v55, v61, v1, v55
	;;#ASMEND
	s_nop 0
	;;#ASMSTART
	v_dot2_f32_f16 v55, v62, v2, v55
	;;#ASMEND
	s_nop 0
	;;#ASMSTART
	v_dot2_f32_f16 v55, v63, v3, v55
	;;#ASMEND
	;;#ASMSTART
	v_dot2_f32_f16 v53, v60, v64, v53
	;;#ASMEND
	s_nop 0
	;;#ASMSTART
	v_dot2_f32_f16 v53, v61, v65, v53
	;;#ASMEND
	s_nop 0
	;;#ASMSTART
	v_dot2_f32_f16 v53, v62, v66, v53
	;;#ASMEND
	s_nop 0
	;;#ASMSTART
	v_dot2_f32_f16 v53, v63, v67, v53
	;;#ASMEND
	;;#ASMSTART
	v_dot2_f32_f16 v51, v60, v68, v51
	;;#ASMEND
	s_nop 0
	;;#ASMSTART
	v_dot2_f32_f16 v51, v61, v69, v51
	;;#ASMEND
	s_nop 0
	;;#ASMSTART
	v_dot2_f32_f16 v51, v62, v70, v51
	;;#ASMEND
	s_nop 0
	;;#ASMSTART
	v_dot2_f32_f16 v51, v63, v71, v51
	;;#ASMEND
	;;#ASMSTART
	v_dot2_f32_f16 v28, v60, v72, v28
	;;#ASMEND
	s_nop 0
	;;#ASMSTART
	v_dot2_f32_f16 v28, v61, v73, v28
	;;#ASMEND
	s_nop 0
	;;#ASMSTART
	v_dot2_f32_f16 v28, v62, v74, v28
	;;#ASMEND
	s_nop 0
	;;#ASMSTART
	v_dot2_f32_f16 v28, v63, v75, v28
	;;#ASMEND
	ds_read_b128 v[0:3], v35 offset:144
	ds_read_b128 v[56:59], v36 offset:16
	;; [unrolled: 1-line block ×6, first 2 shown]
	s_waitcnt lgkmcnt(4)
	;;#ASMSTART
	v_dot2_f32_f16 v54, v56, v0, v54
	;;#ASMEND
	s_nop 0
	;;#ASMSTART
	v_dot2_f32_f16 v54, v57, v1, v54
	;;#ASMEND
	s_nop 0
	;;#ASMSTART
	v_dot2_f32_f16 v54, v58, v2, v54
	;;#ASMEND
	s_nop 0
	;;#ASMSTART
	v_dot2_f32_f16 v54, v59, v3, v54
	;;#ASMEND
	s_waitcnt lgkmcnt(2)
	;;#ASMSTART
	v_dot2_f32_f16 v52, v56, v64, v52
	;;#ASMEND
	s_nop 0
	;;#ASMSTART
	v_dot2_f32_f16 v52, v57, v65, v52
	;;#ASMEND
	s_nop 0
	;;#ASMSTART
	v_dot2_f32_f16 v52, v58, v66, v52
	;;#ASMEND
	s_nop 0
	;;#ASMSTART
	v_dot2_f32_f16 v52, v59, v67, v52
	;;#ASMEND
	;; [unrolled: 16-line block ×4, first 2 shown]
	;;#ASMSTART
	v_dot2_f32_f16 v55, v60, v0, v55
	;;#ASMEND
	s_nop 0
	;;#ASMSTART
	v_dot2_f32_f16 v55, v61, v1, v55
	;;#ASMEND
	s_nop 0
	;;#ASMSTART
	v_dot2_f32_f16 v55, v62, v2, v55
	;;#ASMEND
	s_nop 0
	;;#ASMSTART
	v_dot2_f32_f16 v55, v63, v3, v55
	;;#ASMEND
	;;#ASMSTART
	v_dot2_f32_f16 v53, v60, v64, v53
	;;#ASMEND
	s_nop 0
	;;#ASMSTART
	v_dot2_f32_f16 v53, v61, v65, v53
	;;#ASMEND
	s_nop 0
	;;#ASMSTART
	v_dot2_f32_f16 v53, v62, v66, v53
	;;#ASMEND
	s_nop 0
	;;#ASMSTART
	v_dot2_f32_f16 v53, v63, v67, v53
	;;#ASMEND
	;; [unrolled: 15-line block ×4, first 2 shown]
	ds_read_b128 v[0:3], v35 offset:160
	ds_read_b128 v[56:59], v36 offset:32
	ds_read_b128 v[60:63], v36 offset:4640
	ds_read_b128 v[64:67], v35 offset:416
	ds_read_b128 v[68:71], v35 offset:672
	ds_read_b128 v[72:75], v35 offset:928
	s_waitcnt lgkmcnt(4)
	;;#ASMSTART
	v_dot2_f32_f16 v54, v56, v0, v54
	;;#ASMEND
	s_nop 0
	;;#ASMSTART
	v_dot2_f32_f16 v54, v57, v1, v54
	;;#ASMEND
	s_nop 0
	;;#ASMSTART
	v_dot2_f32_f16 v54, v58, v2, v54
	;;#ASMEND
	s_nop 0
	;;#ASMSTART
	v_dot2_f32_f16 v54, v59, v3, v54
	;;#ASMEND
	s_waitcnt lgkmcnt(2)
	;;#ASMSTART
	v_dot2_f32_f16 v52, v56, v64, v52
	;;#ASMEND
	s_nop 0
	;;#ASMSTART
	v_dot2_f32_f16 v52, v57, v65, v52
	;;#ASMEND
	s_nop 0
	;;#ASMSTART
	v_dot2_f32_f16 v52, v58, v66, v52
	;;#ASMEND
	s_nop 0
	;;#ASMSTART
	v_dot2_f32_f16 v52, v59, v67, v52
	;;#ASMEND
	;; [unrolled: 16-line block ×4, first 2 shown]
	;;#ASMSTART
	v_dot2_f32_f16 v55, v60, v0, v55
	;;#ASMEND
	s_nop 0
	;;#ASMSTART
	v_dot2_f32_f16 v55, v61, v1, v55
	;;#ASMEND
	s_nop 0
	;;#ASMSTART
	v_dot2_f32_f16 v55, v62, v2, v55
	;;#ASMEND
	s_nop 0
	;;#ASMSTART
	v_dot2_f32_f16 v55, v63, v3, v55
	;;#ASMEND
	;;#ASMSTART
	v_dot2_f32_f16 v53, v60, v64, v53
	;;#ASMEND
	s_nop 0
	;;#ASMSTART
	v_dot2_f32_f16 v53, v61, v65, v53
	;;#ASMEND
	s_nop 0
	;;#ASMSTART
	v_dot2_f32_f16 v53, v62, v66, v53
	;;#ASMEND
	s_nop 0
	;;#ASMSTART
	v_dot2_f32_f16 v53, v63, v67, v53
	;;#ASMEND
	;; [unrolled: 15-line block ×4, first 2 shown]
	ds_read_b128 v[0:3], v35 offset:176
	ds_read_b128 v[56:59], v36 offset:48
	;; [unrolled: 1-line block ×6, first 2 shown]
	s_waitcnt lgkmcnt(4)
	;;#ASMSTART
	v_dot2_f32_f16 v54, v56, v0, v54
	;;#ASMEND
	s_nop 0
	;;#ASMSTART
	v_dot2_f32_f16 v54, v57, v1, v54
	;;#ASMEND
	s_nop 0
	;;#ASMSTART
	v_dot2_f32_f16 v54, v58, v2, v54
	;;#ASMEND
	s_nop 0
	;;#ASMSTART
	v_dot2_f32_f16 v54, v59, v3, v54
	;;#ASMEND
	s_waitcnt lgkmcnt(2)
	;;#ASMSTART
	v_dot2_f32_f16 v52, v56, v64, v52
	;;#ASMEND
	s_nop 0
	;;#ASMSTART
	v_dot2_f32_f16 v52, v57, v65, v52
	;;#ASMEND
	s_nop 0
	;;#ASMSTART
	v_dot2_f32_f16 v52, v58, v66, v52
	;;#ASMEND
	s_nop 0
	;;#ASMSTART
	v_dot2_f32_f16 v52, v59, v67, v52
	;;#ASMEND
	;; [unrolled: 16-line block ×4, first 2 shown]
	;;#ASMSTART
	v_dot2_f32_f16 v55, v60, v0, v55
	;;#ASMEND
	s_nop 0
	;;#ASMSTART
	v_dot2_f32_f16 v55, v61, v1, v55
	;;#ASMEND
	s_nop 0
	;;#ASMSTART
	v_dot2_f32_f16 v55, v62, v2, v55
	;;#ASMEND
	s_nop 0
	;;#ASMSTART
	v_dot2_f32_f16 v55, v63, v3, v55
	;;#ASMEND
	;;#ASMSTART
	v_dot2_f32_f16 v53, v60, v64, v53
	;;#ASMEND
	s_nop 0
	;;#ASMSTART
	v_dot2_f32_f16 v53, v61, v65, v53
	;;#ASMEND
	s_nop 0
	;;#ASMSTART
	v_dot2_f32_f16 v53, v62, v66, v53
	;;#ASMEND
	s_nop 0
	;;#ASMSTART
	v_dot2_f32_f16 v53, v63, v67, v53
	;;#ASMEND
	;; [unrolled: 15-line block ×4, first 2 shown]
	ds_read_b128 v[0:3], v35 offset:192
	ds_read_b128 v[56:59], v36 offset:64
	ds_read_b128 v[60:63], v36 offset:4672
	ds_read_b128 v[64:67], v35 offset:448
	ds_read_b128 v[68:71], v35 offset:704
	ds_read_b128 v[72:75], v35 offset:960
	s_waitcnt lgkmcnt(4)
	;;#ASMSTART
	v_dot2_f32_f16 v54, v56, v0, v54
	;;#ASMEND
	s_nop 0
	;;#ASMSTART
	v_dot2_f32_f16 v54, v57, v1, v54
	;;#ASMEND
	s_nop 0
	;;#ASMSTART
	v_dot2_f32_f16 v54, v58, v2, v54
	;;#ASMEND
	s_nop 0
	;;#ASMSTART
	v_dot2_f32_f16 v54, v59, v3, v54
	;;#ASMEND
	s_waitcnt lgkmcnt(2)
	;;#ASMSTART
	v_dot2_f32_f16 v52, v56, v64, v52
	;;#ASMEND
	s_nop 0
	;;#ASMSTART
	v_dot2_f32_f16 v52, v57, v65, v52
	;;#ASMEND
	s_nop 0
	;;#ASMSTART
	v_dot2_f32_f16 v52, v58, v66, v52
	;;#ASMEND
	s_nop 0
	;;#ASMSTART
	v_dot2_f32_f16 v52, v59, v67, v52
	;;#ASMEND
	;; [unrolled: 16-line block ×4, first 2 shown]
	;;#ASMSTART
	v_dot2_f32_f16 v55, v60, v0, v55
	;;#ASMEND
	s_nop 0
	;;#ASMSTART
	v_dot2_f32_f16 v55, v61, v1, v55
	;;#ASMEND
	s_nop 0
	;;#ASMSTART
	v_dot2_f32_f16 v55, v62, v2, v55
	;;#ASMEND
	s_nop 0
	;;#ASMSTART
	v_dot2_f32_f16 v55, v63, v3, v55
	;;#ASMEND
	;;#ASMSTART
	v_dot2_f32_f16 v53, v60, v64, v53
	;;#ASMEND
	s_nop 0
	;;#ASMSTART
	v_dot2_f32_f16 v53, v61, v65, v53
	;;#ASMEND
	s_nop 0
	;;#ASMSTART
	v_dot2_f32_f16 v53, v62, v66, v53
	;;#ASMEND
	s_nop 0
	;;#ASMSTART
	v_dot2_f32_f16 v53, v63, v67, v53
	;;#ASMEND
	;; [unrolled: 15-line block ×4, first 2 shown]
	ds_read_b128 v[0:3], v35 offset:208
	ds_read_b128 v[56:59], v36 offset:80
	;; [unrolled: 1-line block ×6, first 2 shown]
	s_waitcnt lgkmcnt(4)
	;;#ASMSTART
	v_dot2_f32_f16 v54, v56, v0, v54
	;;#ASMEND
	s_nop 0
	;;#ASMSTART
	v_dot2_f32_f16 v54, v57, v1, v54
	;;#ASMEND
	s_nop 0
	;;#ASMSTART
	v_dot2_f32_f16 v54, v58, v2, v54
	;;#ASMEND
	s_nop 0
	;;#ASMSTART
	v_dot2_f32_f16 v54, v59, v3, v54
	;;#ASMEND
	s_waitcnt lgkmcnt(2)
	;;#ASMSTART
	v_dot2_f32_f16 v52, v56, v64, v52
	;;#ASMEND
	s_nop 0
	;;#ASMSTART
	v_dot2_f32_f16 v52, v57, v65, v52
	;;#ASMEND
	s_nop 0
	;;#ASMSTART
	v_dot2_f32_f16 v52, v58, v66, v52
	;;#ASMEND
	s_nop 0
	;;#ASMSTART
	v_dot2_f32_f16 v52, v59, v67, v52
	;;#ASMEND
	;; [unrolled: 16-line block ×4, first 2 shown]
	;;#ASMSTART
	v_dot2_f32_f16 v55, v60, v0, v55
	;;#ASMEND
	s_nop 0
	;;#ASMSTART
	v_dot2_f32_f16 v55, v61, v1, v55
	;;#ASMEND
	s_nop 0
	;;#ASMSTART
	v_dot2_f32_f16 v55, v62, v2, v55
	;;#ASMEND
	s_nop 0
	;;#ASMSTART
	v_dot2_f32_f16 v55, v63, v3, v55
	;;#ASMEND
	;;#ASMSTART
	v_dot2_f32_f16 v53, v60, v64, v53
	;;#ASMEND
	s_nop 0
	;;#ASMSTART
	v_dot2_f32_f16 v53, v61, v65, v53
	;;#ASMEND
	s_nop 0
	;;#ASMSTART
	v_dot2_f32_f16 v53, v62, v66, v53
	;;#ASMEND
	s_nop 0
	;;#ASMSTART
	v_dot2_f32_f16 v53, v63, v67, v53
	;;#ASMEND
	;; [unrolled: 15-line block ×4, first 2 shown]
	ds_read_b128 v[0:3], v35 offset:224
	ds_read_b128 v[56:59], v36 offset:96
	;; [unrolled: 1-line block ×6, first 2 shown]
	s_waitcnt lgkmcnt(4)
	;;#ASMSTART
	v_dot2_f32_f16 v54, v56, v0, v54
	;;#ASMEND
	s_nop 0
	;;#ASMSTART
	v_dot2_f32_f16 v54, v57, v1, v54
	;;#ASMEND
	s_nop 0
	;;#ASMSTART
	v_dot2_f32_f16 v54, v58, v2, v54
	;;#ASMEND
	s_nop 0
	;;#ASMSTART
	v_dot2_f32_f16 v54, v59, v3, v54
	;;#ASMEND
	s_waitcnt lgkmcnt(2)
	;;#ASMSTART
	v_dot2_f32_f16 v52, v56, v64, v52
	;;#ASMEND
	s_nop 0
	;;#ASMSTART
	v_dot2_f32_f16 v52, v57, v65, v52
	;;#ASMEND
	s_nop 0
	;;#ASMSTART
	v_dot2_f32_f16 v52, v58, v66, v52
	;;#ASMEND
	s_nop 0
	;;#ASMSTART
	v_dot2_f32_f16 v52, v59, v67, v52
	;;#ASMEND
	;; [unrolled: 16-line block ×4, first 2 shown]
	;;#ASMSTART
	v_dot2_f32_f16 v55, v60, v0, v55
	;;#ASMEND
	s_nop 0
	;;#ASMSTART
	v_dot2_f32_f16 v55, v61, v1, v55
	;;#ASMEND
	s_nop 0
	;;#ASMSTART
	v_dot2_f32_f16 v55, v62, v2, v55
	;;#ASMEND
	s_nop 0
	;;#ASMSTART
	v_dot2_f32_f16 v55, v63, v3, v55
	;;#ASMEND
	;;#ASMSTART
	v_dot2_f32_f16 v53, v60, v64, v53
	;;#ASMEND
	s_nop 0
	;;#ASMSTART
	v_dot2_f32_f16 v53, v61, v65, v53
	;;#ASMEND
	s_nop 0
	;;#ASMSTART
	v_dot2_f32_f16 v53, v62, v66, v53
	;;#ASMEND
	s_nop 0
	;;#ASMSTART
	v_dot2_f32_f16 v53, v63, v67, v53
	;;#ASMEND
	;; [unrolled: 15-line block ×4, first 2 shown]
	ds_read_b128 v[0:3], v35 offset:240
	ds_read_b128 v[56:59], v36 offset:112
	;; [unrolled: 1-line block ×6, first 2 shown]
	s_waitcnt lgkmcnt(4)
	;;#ASMSTART
	v_dot2_f32_f16 v54, v56, v0, v54
	;;#ASMEND
	s_nop 0
	;;#ASMSTART
	v_dot2_f32_f16 v54, v57, v1, v54
	;;#ASMEND
	s_nop 0
	;; [unrolled: 4-line block ×3, first 2 shown]
	;;#ASMSTART
	v_dot2_f32_f16 v54, v59, v3, v54
	;;#ASMEND
	s_waitcnt lgkmcnt(2)
	;;#ASMSTART
	v_dot2_f32_f16 v52, v56, v64, v52
	;;#ASMEND
	s_nop 0
	;;#ASMSTART
	v_dot2_f32_f16 v52, v57, v65, v52
	;;#ASMEND
	v_cmp_nlt_f32_e64 s[6:7], |v54|, s21
	;;#ASMSTART
	v_dot2_f32_f16 v52, v58, v66, v52
	;;#ASMEND
	s_nop 0
	;;#ASMSTART
	v_dot2_f32_f16 v52, v59, v67, v52
	;;#ASMEND
	s_waitcnt lgkmcnt(1)
	;;#ASMSTART
	v_dot2_f32_f16 v29, v56, v68, v29
	;;#ASMEND
	s_nop 0
	;;#ASMSTART
	v_dot2_f32_f16 v29, v57, v69, v29
	;;#ASMEND
	s_nop 0
	;; [unrolled: 4-line block ×3, first 2 shown]
	;;#ASMSTART
	v_dot2_f32_f16 v29, v59, v71, v29
	;;#ASMEND
	s_waitcnt lgkmcnt(0)
	;;#ASMSTART
	v_dot2_f32_f16 v26, v56, v72, v26
	;;#ASMEND
	s_nop 0
	;;#ASMSTART
	v_dot2_f32_f16 v26, v57, v73, v26
	;;#ASMEND
	s_nop 0
	;; [unrolled: 4-line block ×3, first 2 shown]
	;;#ASMSTART
	v_dot2_f32_f16 v26, v59, v75, v26
	;;#ASMEND
	;;#ASMSTART
	v_dot2_f32_f16 v55, v60, v0, v55
	;;#ASMEND
	s_nop 0
	;;#ASMSTART
	v_dot2_f32_f16 v55, v61, v1, v55
	;;#ASMEND
	s_nop 0
	;;#ASMSTART
	v_dot2_f32_f16 v55, v62, v2, v55
	;;#ASMEND
                                        ; implicit-def: $vgpr2
	s_nop 0
	;;#ASMSTART
	v_dot2_f32_f16 v55, v63, v3, v55
	;;#ASMEND
	;;#ASMSTART
	v_dot2_f32_f16 v53, v60, v64, v53
	;;#ASMEND
	s_nop 0
	;;#ASMSTART
	v_dot2_f32_f16 v53, v61, v65, v53
	;;#ASMEND
	s_nop 0
	;;#ASMSTART
	v_dot2_f32_f16 v53, v62, v66, v53
	;;#ASMEND
	s_nop 0
	;;#ASMSTART
	v_dot2_f32_f16 v53, v63, v67, v53
	;;#ASMEND
	;;#ASMSTART
	v_dot2_f32_f16 v51, v60, v68, v51
	;;#ASMEND
	s_nop 0
	;;#ASMSTART
	v_dot2_f32_f16 v51, v61, v69, v51
	;;#ASMEND
	s_nop 0
	;;#ASMSTART
	v_dot2_f32_f16 v51, v62, v70, v51
	;;#ASMEND
	;; [unrolled: 15-line block ×3, first 2 shown]
	s_nop 0
	;;#ASMSTART
	v_dot2_f32_f16 v28, v63, v75, v28
	;;#ASMEND
	s_and_saveexec_b64 s[36:37], s[6:7]
	s_xor_b64 s[6:7], exec, s[36:37]
	s_cbranch_execz .LBB72_31
; %bb.30:                               ;   in Loop: Header=BB72_29 Depth=1
	v_add_f32_e64 v0, |v54|, |v54|
	v_mul_f32_e32 v1, 0x3fb8aa3b, v0
	v_rndne_f32_e32 v2, v1
	v_sub_f32_e32 v3, v1, v2
	v_fma_f32 v1, v0, s28, -v1
	v_fmac_f32_e32 v1, 0x32a5705f, v0
	v_add_f32_e32 v1, v3, v1
	v_cvt_i32_f32_e32 v2, v2
	v_exp_f32_e32 v1, v1
	v_cmp_ngt_f32_e32 vcc, s29, v0
	v_ldexp_f32 v1, v1, v2
	s_nop 0
	v_cndmask_b32_e32 v1, 0, v1, vcc
	v_cmp_nlt_f32_e32 vcc, s31, v0
	s_nop 1
	v_cndmask_b32_e32 v0, v41, v1, vcc
	v_add_f32_e32 v0, 1.0, v0
	v_rcp_f32_e32 v0, v0
	s_nop 0
	v_fma_f32 v2, v0, -2.0, 1.0
.LBB72_31:                              ;   in Loop: Header=BB72_29 Depth=1
	s_andn2_saveexec_b64 s[6:7], s[6:7]
; %bb.32:                               ;   in Loop: Header=BB72_29 Depth=1
	v_mul_f32_e32 v0, v54, v54
	v_fmamk_f32 v1, v0, 0xbbbac73d, v40
	v_fmaak_f32 v1, v0, v1, 0xbd5c1c4e
	v_fmaak_f32 v1, v0, v1, 0x3e088382
	;; [unrolled: 1-line block ×3, first 2 shown]
	v_mul_f32_e64 v1, |v54|, v1
	v_fma_f32 v2, v0, v1, |v54|
; %bb.33:                               ;   in Loop: Header=BB72_29 Depth=1
	s_or_b64 exec, exec, s[6:7]
	v_add_u32_e32 v0, s2, v16
	v_ashrrev_i32_e32 v1, 31, v0
	v_lshl_add_u64 v[0:1], v[0:1], 1, s[26:27]
	global_load_ushort v60, v[0:1], off
	v_cmp_nlt_f32_e64 s[6:7], |v55|, s21
                                        ; implicit-def: $vgpr56
	s_and_saveexec_b64 s[36:37], s[6:7]
	s_xor_b64 s[6:7], exec, s[36:37]
	s_cbranch_execz .LBB72_35
; %bb.34:                               ;   in Loop: Header=BB72_29 Depth=1
	v_add_f32_e64 v3, |v55|, |v55|
	v_mul_f32_e32 v56, 0x3fb8aa3b, v3
	v_rndne_f32_e32 v57, v56
	v_sub_f32_e32 v58, v56, v57
	v_fma_f32 v56, v3, s28, -v56
	v_fmac_f32_e32 v56, 0x32a5705f, v3
	v_add_f32_e32 v56, v58, v56
	v_cvt_i32_f32_e32 v57, v57
	v_exp_f32_e32 v56, v56
	v_cmp_ngt_f32_e32 vcc, s29, v3
	v_ldexp_f32 v56, v56, v57
	s_nop 0
	v_cndmask_b32_e32 v56, 0, v56, vcc
	v_cmp_nlt_f32_e32 vcc, s31, v3
	s_nop 1
	v_cndmask_b32_e32 v3, v41, v56, vcc
	v_add_f32_e32 v3, 1.0, v3
	v_rcp_f32_e32 v3, v3
	s_nop 0
	v_fma_f32 v56, v3, -2.0, 1.0
.LBB72_35:                              ;   in Loop: Header=BB72_29 Depth=1
	s_andn2_saveexec_b64 s[6:7], s[6:7]
; %bb.36:                               ;   in Loop: Header=BB72_29 Depth=1
	v_mul_f32_e32 v3, v55, v55
	v_fmamk_f32 v56, v3, 0xbbbac73d, v40
	v_fmaak_f32 v56, v3, v56, 0xbd5c1c4e
	v_fmaak_f32 v56, v3, v56, 0x3e088382
	;; [unrolled: 1-line block ×3, first 2 shown]
	v_mul_f32_e64 v56, |v55|, v56
	v_fma_f32 v56, v3, v56, |v55|
; %bb.37:                               ;   in Loop: Header=BB72_29 Depth=1
	s_or_b64 exec, exec, s[6:7]
	global_load_ushort v67, v[0:1], off offset:64
	v_and_b32_e32 v1, 0x60, v17
	v_bfi_b32 v0, s33, v2, v54
	v_add_u32_e32 v54, 32, v1
	v_xor_b32_e32 v57, 16, v17
	v_bfi_b32 v2, s33, v56, v55
	s_waitcnt vmcnt(1)
	v_fma_mix_f32 v3, s10, v0, v60 op_sel_hi:[0,0,1]
	v_cmp_lt_i32_e32 vcc, v57, v54
	v_add_f32_e32 v0, 0x40051340, v3
	v_xor_b32_e32 v58, 8, v17
	v_cndmask_b32_e32 v1, v17, v57, vcc
	v_lshlrev_b32_e32 v1, 2, v1
	v_cmp_lt_i32_e32 vcc, v58, v54
	v_xor_b32_e32 v59, 4, v17
	v_cmp_nlt_f32_e64 s[6:7], |v52|, s21
                                        ; implicit-def: $vgpr68
	s_waitcnt vmcnt(0)
	v_fma_mix_f32 v62, s10, v2, v67 op_sel_hi:[0,0,1]
	v_add_f32_e32 v2, 0x40051340, v62
	v_max3_f32 v0, v24, v0, v2
	ds_bpermute_b32 v55, v1, v0
	v_cndmask_b32_e32 v2, v17, v58, vcc
	v_lshlrev_b32_e32 v2, 2, v2
	v_cmp_lt_i32_e32 vcc, v59, v54
	s_waitcnt lgkmcnt(0)
	v_max_f32_e32 v55, v55, v55
	v_max_f32_e32 v0, v0, v55
	ds_bpermute_b32 v55, v2, v0
	v_cndmask_b32_e32 v56, v17, v59, vcc
	v_lshlrev_b32_e32 v64, 2, v56
	v_xor_b32_e32 v56, 2, v17
	v_cmp_lt_i32_e32 vcc, v56, v54
	s_waitcnt lgkmcnt(0)
	v_max_f32_e32 v55, v55, v55
	v_max_f32_e32 v55, v0, v55
	ds_bpermute_b32 v61, v64, v55
	v_cndmask_b32_e32 v0, v17, v56, vcc
	v_lshlrev_b32_e32 v0, 2, v0
	s_waitcnt lgkmcnt(0)
	v_max_f32_e32 v61, v61, v61
	v_max_f32_e32 v61, v55, v61
	ds_bpermute_b32 v65, v0, v61
	v_xor_b32_e32 v55, 1, v17
	v_cmp_lt_i32_e32 vcc, v55, v54
	s_waitcnt lgkmcnt(0)
	v_max_f32_e32 v65, v65, v65
	v_cndmask_b32_e32 v63, v17, v55, vcc
	v_lshlrev_b32_e32 v63, 2, v63
	v_max_f32_e32 v65, v61, v65
	ds_bpermute_b32 v66, v63, v65
	s_and_saveexec_b64 s[36:37], s[6:7]
	s_xor_b64 s[6:7], exec, s[36:37]
	s_cbranch_execz .LBB72_39
; %bb.38:                               ;   in Loop: Header=BB72_29 Depth=1
	v_add_f32_e64 v61, |v52|, |v52|
	v_mul_f32_e32 v68, 0x3fb8aa3b, v61
	v_rndne_f32_e32 v69, v68
	v_sub_f32_e32 v70, v68, v69
	v_fma_f32 v68, v61, s28, -v68
	v_fmac_f32_e32 v68, 0x32a5705f, v61
	v_add_f32_e32 v68, v70, v68
	v_cvt_i32_f32_e32 v69, v69
	v_exp_f32_e32 v68, v68
	v_cmp_ngt_f32_e32 vcc, s29, v61
	v_ldexp_f32 v68, v68, v69
	s_nop 0
	v_cndmask_b32_e32 v68, 0, v68, vcc
	v_cmp_nlt_f32_e32 vcc, s31, v61
	s_nop 1
	v_cndmask_b32_e32 v61, v41, v68, vcc
	v_add_f32_e32 v61, 1.0, v61
	v_rcp_f32_e32 v61, v61
	s_nop 0
	v_fma_f32 v68, v61, -2.0, 1.0
.LBB72_39:                              ;   in Loop: Header=BB72_29 Depth=1
	s_andn2_saveexec_b64 s[6:7], s[6:7]
; %bb.40:                               ;   in Loop: Header=BB72_29 Depth=1
	v_mul_f32_e32 v61, v52, v52
	v_fmamk_f32 v68, v61, 0xbbbac73d, v40
	v_fmaak_f32 v68, v61, v68, 0xbd5c1c4e
	v_fmaak_f32 v68, v61, v68, 0x3e088382
	;; [unrolled: 1-line block ×3, first 2 shown]
	v_mul_f32_e64 v68, |v52|, v68
	v_fma_f32 v68, v61, v68, |v52|
; %bb.41:                               ;   in Loop: Header=BB72_29 Depth=1
	s_or_b64 exec, exec, s[6:7]
	v_cmp_nlt_f32_e64 s[6:7], |v53|, s21
                                        ; implicit-def: $vgpr69
	s_and_saveexec_b64 s[36:37], s[6:7]
	s_xor_b64 s[6:7], exec, s[36:37]
	s_cbranch_execz .LBB72_43
; %bb.42:                               ;   in Loop: Header=BB72_29 Depth=1
	v_add_f32_e64 v61, |v53|, |v53|
	v_mul_f32_e32 v69, 0x3fb8aa3b, v61
	v_rndne_f32_e32 v70, v69
	v_sub_f32_e32 v71, v69, v70
	v_fma_f32 v69, v61, s28, -v69
	v_fmac_f32_e32 v69, 0x32a5705f, v61
	v_add_f32_e32 v69, v71, v69
	v_cvt_i32_f32_e32 v70, v70
	v_exp_f32_e32 v69, v69
	v_cmp_ngt_f32_e32 vcc, s29, v61
	v_ldexp_f32 v69, v69, v70
	s_nop 0
	v_cndmask_b32_e32 v69, 0, v69, vcc
	v_cmp_nlt_f32_e32 vcc, s31, v61
	s_nop 1
	v_cndmask_b32_e32 v61, v41, v69, vcc
	v_add_f32_e32 v61, 1.0, v61
	v_rcp_f32_e32 v61, v61
	s_nop 0
	v_fma_f32 v69, v61, -2.0, 1.0
.LBB72_43:                              ;   in Loop: Header=BB72_29 Depth=1
	s_andn2_saveexec_b64 s[6:7], s[6:7]
; %bb.44:                               ;   in Loop: Header=BB72_29 Depth=1
	v_mul_f32_e32 v61, v53, v53
	v_fmamk_f32 v69, v61, 0xbbbac73d, v40
	v_fmaak_f32 v69, v61, v69, 0xbd5c1c4e
	v_fmaak_f32 v69, v61, v69, 0x3e088382
	v_fmaak_f32 v69, v61, v69, 0xbeaaaa99
	v_mul_f32_e64 v69, |v53|, v69
	v_fma_f32 v69, v61, v69, |v53|
; %bb.45:                               ;   in Loop: Header=BB72_29 Depth=1
	s_or_b64 exec, exec, s[6:7]
	v_cvt_f32_f16_e32 v61, v60
	v_cvt_f32_f16_e32 v60, v67
	v_bfi_b32 v52, s33, v68, v52
	v_bfi_b32 v67, s33, v69, v53
	v_fma_f32 v53, s10, v52, v61
	v_fma_f32 v52, s10, v67, v60
	v_add_f32_e32 v68, 0x40051340, v53
	v_add_f32_e32 v67, 0x40051340, v52
	v_max3_f32 v67, v27, v68, v67
	ds_bpermute_b32 v68, v1, v67
	v_cmp_nlt_f32_e64 s[6:7], |v29|, s21
	s_waitcnt lgkmcnt(0)
	v_max_f32_e32 v68, v68, v68
	v_max_f32_e32 v67, v67, v68
	ds_bpermute_b32 v68, v2, v67
	s_waitcnt lgkmcnt(0)
	v_max_f32_e32 v68, v68, v68
	v_max_f32_e32 v67, v67, v68
	ds_bpermute_b32 v68, v64, v67
	;; [unrolled: 4-line block ×4, first 2 shown]
                                        ; implicit-def: $vgpr67
	s_and_saveexec_b64 s[36:37], s[6:7]
	s_xor_b64 s[6:7], exec, s[36:37]
	s_cbranch_execz .LBB72_47
; %bb.46:                               ;   in Loop: Header=BB72_29 Depth=1
	v_add_f32_e64 v67, |v29|, |v29|
	v_mul_f32_e32 v70, 0x3fb8aa3b, v67
	v_rndne_f32_e32 v71, v70
	v_sub_f32_e32 v72, v70, v71
	v_fma_f32 v70, v67, s28, -v70
	v_fmac_f32_e32 v70, 0x32a5705f, v67
	v_add_f32_e32 v70, v72, v70
	v_cvt_i32_f32_e32 v71, v71
	v_exp_f32_e32 v70, v70
	v_cmp_ngt_f32_e32 vcc, s29, v67
	v_ldexp_f32 v70, v70, v71
	s_nop 0
	v_cndmask_b32_e32 v70, 0, v70, vcc
	v_cmp_nlt_f32_e32 vcc, s31, v67
	s_nop 1
	v_cndmask_b32_e32 v67, v41, v70, vcc
	v_add_f32_e32 v67, 1.0, v67
	v_rcp_f32_e32 v67, v67
	s_nop 0
	v_fma_f32 v67, v67, -2.0, 1.0
.LBB72_47:                              ;   in Loop: Header=BB72_29 Depth=1
	s_andn2_saveexec_b64 s[6:7], s[6:7]
; %bb.48:                               ;   in Loop: Header=BB72_29 Depth=1
	v_mul_f32_e32 v67, v29, v29
	v_fmamk_f32 v70, v67, 0xbbbac73d, v40
	v_fmaak_f32 v70, v67, v70, 0xbd5c1c4e
	v_fmaak_f32 v70, v67, v70, 0x3e088382
	;; [unrolled: 1-line block ×3, first 2 shown]
	v_mul_f32_e64 v70, |v29|, v70
	v_fma_f32 v67, v67, v70, |v29|
; %bb.49:                               ;   in Loop: Header=BB72_29 Depth=1
	s_or_b64 exec, exec, s[6:7]
	v_cmp_nlt_f32_e64 s[6:7], |v51|, s21
                                        ; implicit-def: $vgpr70
	s_and_saveexec_b64 s[36:37], s[6:7]
	s_xor_b64 s[6:7], exec, s[36:37]
	s_cbranch_execz .LBB72_51
; %bb.50:                               ;   in Loop: Header=BB72_29 Depth=1
	v_add_f32_e64 v70, |v51|, |v51|
	v_mul_f32_e32 v71, 0x3fb8aa3b, v70
	v_rndne_f32_e32 v72, v71
	v_sub_f32_e32 v73, v71, v72
	v_fma_f32 v71, v70, s28, -v71
	v_fmac_f32_e32 v71, 0x32a5705f, v70
	v_add_f32_e32 v71, v73, v71
	v_cvt_i32_f32_e32 v72, v72
	v_exp_f32_e32 v71, v71
	v_cmp_ngt_f32_e32 vcc, s29, v70
	v_ldexp_f32 v71, v71, v72
	s_nop 0
	v_cndmask_b32_e32 v71, 0, v71, vcc
	v_cmp_nlt_f32_e32 vcc, s31, v70
	s_nop 1
	v_cndmask_b32_e32 v70, v41, v71, vcc
	v_add_f32_e32 v70, 1.0, v70
	v_rcp_f32_e32 v70, v70
	s_nop 0
	v_fma_f32 v70, v70, -2.0, 1.0
.LBB72_51:                              ;   in Loop: Header=BB72_29 Depth=1
	s_andn2_saveexec_b64 s[6:7], s[6:7]
; %bb.52:                               ;   in Loop: Header=BB72_29 Depth=1
	v_mul_f32_e32 v70, v51, v51
	v_fmamk_f32 v71, v70, 0xbbbac73d, v40
	v_fmaak_f32 v71, v70, v71, 0xbd5c1c4e
	v_fmaak_f32 v71, v70, v71, 0x3e088382
	;; [unrolled: 1-line block ×3, first 2 shown]
	v_mul_f32_e64 v71, |v51|, v71
	v_fma_f32 v70, v70, v71, |v51|
; %bb.53:                               ;   in Loop: Header=BB72_29 Depth=1
	s_or_b64 exec, exec, s[6:7]
	v_bfi_b32 v29, s33, v67, v29
	v_bfi_b32 v51, s33, v70, v51
	v_fma_f32 v67, s10, v29, v61
	v_fma_f32 v51, s10, v51, v60
	v_add_f32_e32 v29, 0x40051340, v67
	v_add_f32_e32 v70, 0x40051340, v51
	v_max3_f32 v29, v50, v29, v70
	ds_bpermute_b32 v70, v1, v29
	v_cmp_nlt_f32_e64 s[6:7], |v26|, s21
                                        ; implicit-def: $vgpr71
	s_waitcnt lgkmcnt(0)
	v_max_f32_e32 v70, v70, v70
	v_max_f32_e32 v29, v29, v70
	ds_bpermute_b32 v70, v2, v29
	s_waitcnt lgkmcnt(0)
	v_max_f32_e32 v70, v70, v70
	v_max_f32_e32 v29, v29, v70
	ds_bpermute_b32 v70, v64, v29
	;; [unrolled: 4-line block ×4, first 2 shown]
	s_and_saveexec_b64 s[36:37], s[6:7]
	s_xor_b64 s[6:7], exec, s[36:37]
	s_cbranch_execz .LBB72_55
; %bb.54:                               ;   in Loop: Header=BB72_29 Depth=1
	v_add_f32_e64 v71, |v26|, |v26|
	v_mul_f32_e32 v72, 0x3fb8aa3b, v71
	v_rndne_f32_e32 v73, v72
	v_sub_f32_e32 v74, v72, v73
	v_fma_f32 v72, v71, s28, -v72
	v_fmac_f32_e32 v72, 0x32a5705f, v71
	v_add_f32_e32 v72, v74, v72
	v_cvt_i32_f32_e32 v73, v73
	v_exp_f32_e32 v72, v72
	v_cmp_ngt_f32_e32 vcc, s29, v71
	v_ldexp_f32 v72, v72, v73
	s_nop 0
	v_cndmask_b32_e32 v72, 0, v72, vcc
	v_cmp_nlt_f32_e32 vcc, s31, v71
	s_nop 1
	v_cndmask_b32_e32 v71, v41, v72, vcc
	v_add_f32_e32 v71, 1.0, v71
	v_rcp_f32_e32 v71, v71
	s_nop 0
	v_fma_f32 v71, v71, -2.0, 1.0
.LBB72_55:                              ;   in Loop: Header=BB72_29 Depth=1
	s_andn2_saveexec_b64 s[6:7], s[6:7]
; %bb.56:                               ;   in Loop: Header=BB72_29 Depth=1
	v_mul_f32_e32 v71, v26, v26
	v_fmamk_f32 v72, v71, 0xbbbac73d, v40
	v_fmaak_f32 v72, v71, v72, 0xbd5c1c4e
	v_fmaak_f32 v72, v71, v72, 0x3e088382
	;; [unrolled: 1-line block ×3, first 2 shown]
	v_mul_f32_e64 v72, |v26|, v72
	v_fma_f32 v71, v71, v72, |v26|
; %bb.57:                               ;   in Loop: Header=BB72_29 Depth=1
	s_or_b64 exec, exec, s[6:7]
	v_cmp_nlt_f32_e64 s[6:7], |v28|, s21
                                        ; implicit-def: $vgpr72
	s_and_saveexec_b64 s[36:37], s[6:7]
	s_xor_b64 s[6:7], exec, s[36:37]
	s_cbranch_execz .LBB72_59
; %bb.58:                               ;   in Loop: Header=BB72_29 Depth=1
	v_add_f32_e64 v72, |v28|, |v28|
	v_mul_f32_e32 v73, 0x3fb8aa3b, v72
	v_rndne_f32_e32 v74, v73
	v_sub_f32_e32 v75, v73, v74
	v_fma_f32 v73, v72, s28, -v73
	v_fmac_f32_e32 v73, 0x32a5705f, v72
	v_add_f32_e32 v73, v75, v73
	v_cvt_i32_f32_e32 v74, v74
	v_exp_f32_e32 v73, v73
	v_cmp_ngt_f32_e32 vcc, s29, v72
	v_ldexp_f32 v73, v73, v74
	s_nop 0
	v_cndmask_b32_e32 v73, 0, v73, vcc
	v_cmp_nlt_f32_e32 vcc, s31, v72
	s_nop 1
	v_cndmask_b32_e32 v72, v41, v73, vcc
	v_add_f32_e32 v72, 1.0, v72
	v_rcp_f32_e32 v72, v72
	s_nop 0
	v_fma_f32 v72, v72, -2.0, 1.0
.LBB72_59:                              ;   in Loop: Header=BB72_29 Depth=1
	s_andn2_saveexec_b64 s[6:7], s[6:7]
; %bb.60:                               ;   in Loop: Header=BB72_29 Depth=1
	v_mul_f32_e32 v72, v28, v28
	v_fmamk_f32 v73, v72, 0xbbbac73d, v40
	v_fmaak_f32 v73, v72, v73, 0xbd5c1c4e
	v_fmaak_f32 v73, v72, v73, 0x3e088382
	;; [unrolled: 1-line block ×3, first 2 shown]
	v_mul_f32_e64 v73, |v28|, v73
	v_fma_f32 v72, v72, v73, |v28|
; %bb.61:                               ;   in Loop: Header=BB72_29 Depth=1
	s_or_b64 exec, exec, s[6:7]
	v_bfi_b32 v26, s33, v71, v26
	v_bfi_b32 v28, s33, v72, v28
	v_fmac_f32_e32 v61, s10, v26
	v_fmac_f32_e32 v60, s10, v28
	v_add_f32_e32 v26, 0x40051340, v61
	v_add_f32_e32 v28, 0x40051340, v60
	v_max3_f32 v26, v49, v26, v28
	ds_bpermute_b32 v1, v1, v26
	s_waitcnt lgkmcnt(1)
	v_max_f32_e32 v28, v70, v70
	v_max_f32_e32 v66, v66, v66
	;; [unrolled: 1-line block ×4, first 2 shown]
	s_waitcnt lgkmcnt(0)
	v_max_f32_e32 v1, v1, v1
	v_max_f32_e32 v1, v26, v1
	ds_bpermute_b32 v2, v2, v1
	v_max_f32_e32 v26, v29, v29
	v_max_f32_e32 v29, v69, v69
	s_mul_hi_i32 s7, s2, s11
	s_mul_i32 s6, s2, s11
	s_waitcnt lgkmcnt(0)
	v_max_f32_e32 v2, v2, v2
	v_max_f32_e32 v69, v1, v2
	ds_bpermute_b32 v64, v64, v69
	v_max_f32_e32 v2, v26, v28
	v_max_f32_e32 v1, v68, v29
	v_sub_f32_e32 v53, v53, v1
	v_sub_f32_e32 v70, v67, v2
	s_waitcnt lgkmcnt(0)
	v_max_f32_e32 v26, v64, v64
	v_max_f32_e32 v26, v69, v26
	ds_bpermute_b32 v28, v0, v26
	v_max_f32_e32 v0, v65, v66
	v_sub_f32_e32 v29, v3, v0
	v_mul_f32_e32 v3, 0x3fb8aa3b, v29
	v_fma_f32 v64, v29, s28, -v3
	s_waitcnt lgkmcnt(0)
	v_max_f32_e32 v28, v28, v28
	v_max_f32_e32 v26, v26, v28
	ds_bpermute_b32 v28, v63, v26
	v_rndne_f32_e32 v63, v3
	v_fmac_f32_e32 v64, 0x32a5705f, v29
	v_sub_f32_e32 v3, v3, v63
	v_add_f32_e32 v64, v3, v64
	s_waitcnt lgkmcnt(0)
	v_max_f32_e32 v3, v28, v28
	v_max_f32_e32 v3, v26, v3
	v_exp_f32_e32 v26, v64
	v_cvt_i32_f32_e32 v28, v63
	v_sub_f32_e32 v63, v24, v0
	v_cmp_ngt_f32_e32 vcc, s29, v29
	v_sub_f32_e32 v76, v51, v2
	v_ldexp_f32 v24, v26, v28
	v_sub_f32_e32 v26, v62, v0
	v_mul_f32_e32 v28, 0x3fb8aa3b, v26
	v_fma_f32 v62, v26, s28, -v28
	v_rndne_f32_e32 v64, v28
	v_fmac_f32_e32 v62, 0x32a5705f, v26
	v_sub_f32_e32 v28, v28, v64
	v_add_f32_e32 v28, v28, v62
	v_exp_f32_e32 v28, v28
	v_cvt_i32_f32_e32 v62, v64
	v_cndmask_b32_e32 v24, 0, v24, vcc
	v_cmp_nlt_f32_e32 vcc, s31, v29
	v_mul_f32_e32 v29, 0x3fb8aa3b, v63
	v_ldexp_f32 v28, v28, v62
	v_fma_f32 v62, v63, s28, -v29
	v_rndne_f32_e32 v64, v29
	v_fmac_f32_e32 v62, 0x32a5705f, v63
	v_sub_f32_e32 v29, v29, v64
	v_add_f32_e32 v29, v29, v62
	v_exp_f32_e32 v29, v29
	v_cvt_i32_f32_e32 v62, v64
	v_cndmask_b32_e32 v24, v41, v24, vcc
	v_cmp_ngt_f32_e32 vcc, s29, v26
	v_sub_f32_e32 v71, v50, v2
	v_mul_f32_e32 v50, 0x3fb8aa3b, v76
	v_cndmask_b32_e32 v28, 0, v28, vcc
	v_cmp_nlt_f32_e32 vcc, s31, v26
	v_fma_f32 v51, v76, s28, -v50
	s_lshl_b64 s[6:7], s[6:7], 2
	v_cndmask_b32_e32 v26, v41, v28, vcc
	v_ldexp_f32 v28, v29, v62
	v_cmp_ngt_f32_e32 vcc, s29, v63
	v_mul_f32_e32 v62, 0x3fb8aa3b, v53
	v_rndne_f32_e32 v64, v62
	v_cndmask_b32_e32 v28, 0, v28, vcc
	v_cmp_nlt_f32_e32 vcc, s31, v63
	v_fma_f32 v63, v53, s28, -v62
	v_fmac_f32_e32 v63, 0x32a5705f, v53
	v_cndmask_b32_e32 v28, v41, v28, vcc
	v_cvt_f16_f32_e32 v29, v28
	v_sub_f32_e32 v62, v62, v64
	v_add_f32_e32 v62, v62, v63
	v_exp_f32_e32 v62, v62
	v_cvt_i32_f32_e32 v63, v64
	v_mul_u32_u24_e32 v72, 0x10001, v29
	v_sub_f32_e32 v29, v27, v1
	v_sub_f32_e32 v27, v52, v1
	v_mul_f32_e32 v52, 0x3fb8aa3b, v27
	v_pk_mul_f16 v73, v25, v72
	v_ldexp_f32 v25, v62, v63
	v_fma_f32 v62, v27, s28, -v52
	v_rndne_f32_e32 v63, v52
	v_fmac_f32_e32 v62, 0x32a5705f, v27
	v_sub_f32_e32 v52, v52, v63
	v_add_f32_e32 v52, v52, v62
	v_exp_f32_e32 v52, v52
	v_cvt_i32_f32_e32 v62, v63
	v_cmp_ngt_f32_e32 vcc, s29, v53
	v_fmac_f32_e32 v51, 0x32a5705f, v76
	s_add_u32 s6, s8, s6
	v_cndmask_b32_e32 v25, 0, v25, vcc
	v_cmp_nlt_f32_e32 vcc, s31, v53
	v_mul_f32_e32 v53, 0x3fb8aa3b, v29
	v_ldexp_f32 v52, v52, v62
	v_fma_f32 v62, v29, s28, -v53
	v_rndne_f32_e32 v63, v53
	v_fmac_f32_e32 v62, 0x32a5705f, v29
	v_sub_f32_e32 v53, v53, v63
	v_add_f32_e32 v53, v53, v62
	v_exp_f32_e32 v53, v53
	v_cvt_i32_f32_e32 v62, v63
	v_cndmask_b32_e32 v25, v41, v25, vcc
	v_cmp_ngt_f32_e32 vcc, s29, v27
	s_addc_u32 s7, s9, s7
	s_nop 0
	v_cndmask_b32_e32 v52, 0, v52, vcc
	v_cmp_nlt_f32_e32 vcc, s31, v27
	s_barrier
	s_nop 0
	v_cndmask_b32_e32 v27, v41, v52, vcc
	v_ldexp_f32 v52, v53, v62
	v_cmp_ngt_f32_e32 vcc, s29, v29
	v_mul_f32_e32 v53, 0x3fb8aa3b, v70
	v_fma_f32 v62, v70, s28, -v53
	v_cndmask_b32_e32 v52, 0, v52, vcc
	v_cmp_nlt_f32_e32 vcc, s31, v29
	v_rndne_f32_e32 v63, v53
	v_fmac_f32_e32 v62, 0x32a5705f, v70
	v_cndmask_b32_e32 v29, v41, v52, vcc
	v_cvt_f16_f32_e32 v52, v29
	v_sub_f32_e32 v53, v53, v63
	v_add_f32_e32 v53, v53, v62
	v_exp_f32_e32 v53, v53
	v_mul_u32_u24_e32 v74, 0x10001, v52
	v_rndne_f32_e32 v52, v50
	v_cvt_i32_f32_e32 v62, v63
	v_sub_f32_e32 v50, v50, v52
	v_add_f32_e32 v50, v50, v51
	v_exp_f32_e32 v77, v50
	v_lshl_add_u64 v[50:51], s[6:7], 0, v[20:21]
	v_lshl_add_u64 v[66:67], v[50:51], 0, v[10:11]
	;; [unrolled: 1-line block ×3, first 2 shown]
	v_pk_mul_f16 v75, v48, v74
	v_ldexp_f32 v48, v53, v62
	v_cvt_i32_f32_e32 v78, v52
	v_lshl_add_u64 v[68:69], v[50:51], 0, v[10:11]
	global_load_dwordx4 v[50:53], v[66:67], off
	global_load_dwordx4 v[62:65], v[68:69], off
	v_mul_f32_e32 v67, 0x3fb8aa3b, v71
	v_fma_f32 v68, v71, s28, -v67
	v_rndne_f32_e32 v69, v67
	v_fmac_f32_e32 v68, 0x32a5705f, v71
	v_sub_f32_e32 v67, v67, v69
	v_add_f32_e32 v67, v67, v68
	v_cmp_ngt_f32_e32 vcc, s29, v70
	v_exp_f32_e32 v67, v67
	v_cvt_i32_f32_e32 v68, v69
	v_cndmask_b32_e32 v48, 0, v48, vcc
	v_cmp_nlt_f32_e32 vcc, s31, v70
	v_ldexp_f32 v66, v77, v78
	v_sub_f32_e32 v61, v61, v3
	v_cndmask_b32_e32 v48, v41, v48, vcc
	v_cmp_ngt_f32_e32 vcc, s29, v76
	v_ldexp_f32 v67, v67, v68
	v_mul_f32_e32 v69, 0x3fb8aa3b, v61
	v_cndmask_b32_e32 v66, 0, v66, vcc
	v_cmp_nlt_f32_e32 vcc, s31, v76
	v_fma_f32 v70, v61, s28, -v69
	v_fmac_f32_e32 v70, 0x32a5705f, v61
	v_cndmask_b32_e32 v66, v41, v66, vcc
	v_cmp_ngt_f32_e32 vcc, s29, v71
	v_sub_f32_e32 v60, v60, v3
	s_or_b32 s6, s2, 32
	v_cndmask_b32_e32 v67, 0, v67, vcc
	v_cmp_nlt_f32_e32 vcc, s31, v71
	v_rndne_f32_e32 v71, v69
	v_sub_f32_e32 v69, v69, v71
	v_cndmask_b32_e32 v68, v41, v67, vcc
	v_cvt_f16_f32_e32 v67, v68
	v_add_f32_e32 v69, v69, v70
	v_exp_f32_e32 v69, v69
	v_cvt_i32_f32_e32 v70, v71
	v_mul_u32_u24_e32 v76, 0x10001, v67
	v_mul_f32_e32 v67, 0x3fb8aa3b, v60
	v_sub_f32_e32 v71, v49, v3
	v_ldexp_f32 v49, v69, v70
	v_fma_f32 v69, v60, s28, -v67
	v_rndne_f32_e32 v70, v67
	v_fmac_f32_e32 v69, 0x32a5705f, v60
	v_sub_f32_e32 v67, v67, v70
	v_add_f32_e32 v67, v67, v69
	v_exp_f32_e32 v67, v67
	v_cvt_i32_f32_e32 v69, v70
	v_cmp_ngt_f32_e32 vcc, s29, v61
	v_pk_mul_f16 v46, v46, v76
	s_mul_hi_i32 s7, s6, s11
	v_cndmask_b32_e32 v49, 0, v49, vcc
	v_cmp_nlt_f32_e32 vcc, s31, v61
	v_ldexp_f32 v61, v67, v69
	v_mul_f32_e32 v67, 0x3fb8aa3b, v71
	v_fma_f32 v69, v71, s28, -v67
	v_rndne_f32_e32 v70, v67
	v_fmac_f32_e32 v69, 0x32a5705f, v71
	v_sub_f32_e32 v67, v67, v70
	v_add_f32_e32 v67, v67, v69
	v_exp_f32_e32 v69, v67
	v_cvt_i32_f32_e32 v70, v70
	v_cndmask_b32_e32 v49, v41, v49, vcc
	v_cmp_ngt_f32_e32 vcc, s29, v60
	s_mul_i32 s6, s6, s11
	s_lshl_b64 s[6:7], s[6:7], 2
	v_cndmask_b32_e32 v61, 0, v61, vcc
	v_cmp_nlt_f32_e32 vcc, s31, v60
	v_ldexp_f32 v60, v69, v70
	s_add_u32 s6, s8, s6
	v_cndmask_b32_e32 v67, v41, v61, vcc
	v_cmp_ngt_f32_e32 vcc, s29, v71
	s_addc_u32 s7, s9, s7
	s_nop 0
	v_cndmask_b32_e32 v60, 0, v60, vcc
	v_cmp_nlt_f32_e32 vcc, s31, v71
	v_pk_add_f32 v[70:71], v[48:49], v[66:67]
	s_nop 0
	v_cndmask_b32_e32 v69, v41, v60, vcc
	v_cvt_f16_f32_e32 v77, v69
	v_pk_add_f32 v[60:61], v[24:25], v[26:27]
	v_pk_fma_f32 v[6:7], v[6:7], v[68:69], v[70:71]
	v_pk_fma_f32 v[8:9], v[8:9], v[28:29], v[60:61]
	v_mul_u32_u24_e32 v28, 0x10001, v77
	v_pk_mul_f16 v43, v43, v28
	v_pk_mul_f16 v42, v42, v28
	v_add_u32_e32 v60, v37, v32
	v_cvt_pk_f16_f32 v29, v48, v49
	v_cvt_pk_f16_f32 v28, v24, v25
	;; [unrolled: 1-line block ×4, first 2 shown]
	ds_write2_b64 v60, v[28:29], v[24:25] offset1:32
	s_waitcnt vmcnt(1)
	ds_write_b128 v38, v[50:53]
	s_waitcnt vmcnt(0)
	ds_write_b128 v39, v[62:65]
	s_waitcnt lgkmcnt(0)
	s_barrier
	ds_read_b128 v[24:27], v37
	ds_read2_b64 v[48:51], v32 offset1:32
	ds_read_b128 v[60:63], v37 offset:16
	ds_read_b128 v[64:67], v37 offset:32
	;; [unrolled: 1-line block ×3, first 2 shown]
	s_waitcnt lgkmcnt(4)
	v_mul_u32_u24_sdwa v28, v24, s34 dst_sel:DWORD dst_unused:UNUSED_PAD src0_sel:WORD_0 src1_sel:DWORD
	v_mul_u32_u24_sdwa v24, v24, s34 dst_sel:DWORD dst_unused:UNUSED_PAD src0_sel:WORD_1 src1_sel:DWORD
	s_waitcnt lgkmcnt(3)
	v_pk_mul_f16 v52, v48, v28
	v_mul_u32_u24_sdwa v29, v25, s34 dst_sel:DWORD dst_unused:UNUSED_PAD src0_sel:WORD_0 src1_sel:DWORD
	v_pk_fma_f16 v47, v47, v72, v52
	v_pk_mul_f16 v52, v48, v24
	v_mul_u32_u24_sdwa v25, v25, s34 dst_sel:DWORD dst_unused:UNUSED_PAD src0_sel:WORD_1 src1_sel:DWORD
	v_pk_fma_f16 v45, v45, v74, v52
	v_pk_mul_f16 v52, v48, v29
	v_pk_fma_f16 v43, v48, v25, v43
	v_pk_fma_f16 v44, v44, v76, v52
	;; [unrolled: 1-line block ×6, first 2 shown]
	v_mul_u32_u24_sdwa v42, v26, s34 dst_sel:DWORD dst_unused:UNUSED_PAD src0_sel:WORD_0 src1_sel:DWORD
	v_mul_u32_u24_sdwa v26, v26, s34 dst_sel:DWORD dst_unused:UNUSED_PAD src0_sel:WORD_1 src1_sel:DWORD
	v_mul_u32_u24_sdwa v46, v27, s34 dst_sel:DWORD dst_unused:UNUSED_PAD src0_sel:WORD_0 src1_sel:DWORD
	v_mul_u32_u24_sdwa v27, v27, s34 dst_sel:DWORD dst_unused:UNUSED_PAD src0_sel:WORD_1 src1_sel:DWORD
	v_pk_fma_f16 v47, v50, v42, v47
	v_pk_fma_f16 v45, v50, v26, v45
	;; [unrolled: 1-line block ×8, first 2 shown]
	ds_read2_b64 v[24:27], v32 offset0:64 offset1:96
	s_waitcnt lgkmcnt(3)
	v_mul_u32_u24_sdwa v48, v60, s34 dst_sel:DWORD dst_unused:UNUSED_PAD src0_sel:WORD_0 src1_sel:DWORD
	v_mul_u32_u24_sdwa v49, v60, s34 dst_sel:DWORD dst_unused:UNUSED_PAD src0_sel:WORD_1 src1_sel:DWORD
	v_mul_u32_u24_sdwa v50, v61, s34 dst_sel:DWORD dst_unused:UNUSED_PAD src0_sel:WORD_0 src1_sel:DWORD
	v_mul_u32_u24_sdwa v51, v61, s34 dst_sel:DWORD dst_unused:UNUSED_PAD src0_sel:WORD_1 src1_sel:DWORD
	s_waitcnt lgkmcnt(0)
	v_pk_fma_f16 v47, v24, v48, v47
	v_pk_fma_f16 v45, v24, v49, v45
	;; [unrolled: 1-line block ×8, first 2 shown]
	v_mul_u32_u24_sdwa v43, v62, s34 dst_sel:DWORD dst_unused:UNUSED_PAD src0_sel:WORD_0 src1_sel:DWORD
	v_mul_u32_u24_sdwa v46, v62, s34 dst_sel:DWORD dst_unused:UNUSED_PAD src0_sel:WORD_1 src1_sel:DWORD
	v_mul_u32_u24_sdwa v48, v63, s34 dst_sel:DWORD dst_unused:UNUSED_PAD src0_sel:WORD_0 src1_sel:DWORD
	v_mul_u32_u24_sdwa v49, v63, s34 dst_sel:DWORD dst_unused:UNUSED_PAD src0_sel:WORD_1 src1_sel:DWORD
	v_pk_fma_f16 v47, v26, v43, v47
	v_pk_fma_f16 v45, v26, v46, v45
	;; [unrolled: 1-line block ×8, first 2 shown]
	ds_read2_b64 v[24:27], v32 offset0:128 offset1:160
	v_mul_u32_u24_sdwa v46, v64, s34 dst_sel:DWORD dst_unused:UNUSED_PAD src0_sel:WORD_0 src1_sel:DWORD
	v_mul_u32_u24_sdwa v48, v64, s34 dst_sel:DWORD dst_unused:UNUSED_PAD src0_sel:WORD_1 src1_sel:DWORD
	v_mul_u32_u24_sdwa v49, v65, s34 dst_sel:DWORD dst_unused:UNUSED_PAD src0_sel:WORD_0 src1_sel:DWORD
	v_mul_u32_u24_sdwa v51, v65, s34 dst_sel:DWORD dst_unused:UNUSED_PAD src0_sel:WORD_1 src1_sel:DWORD
	s_waitcnt lgkmcnt(0)
	v_pk_fma_f16 v47, v24, v46, v47
	v_pk_fma_f16 v45, v24, v48, v45
	;; [unrolled: 1-line block ×8, first 2 shown]
	v_mul_u32_u24_sdwa v43, v66, s34 dst_sel:DWORD dst_unused:UNUSED_PAD src0_sel:WORD_0 src1_sel:DWORD
	v_mul_u32_u24_sdwa v46, v66, s34 dst_sel:DWORD dst_unused:UNUSED_PAD src0_sel:WORD_1 src1_sel:DWORD
	v_mul_u32_u24_sdwa v48, v67, s34 dst_sel:DWORD dst_unused:UNUSED_PAD src0_sel:WORD_0 src1_sel:DWORD
	v_mul_u32_u24_sdwa v49, v67, s34 dst_sel:DWORD dst_unused:UNUSED_PAD src0_sel:WORD_1 src1_sel:DWORD
	v_pk_fma_f16 v47, v26, v43, v47
	v_pk_fma_f16 v45, v26, v46, v45
	;; [unrolled: 1-line block ×8, first 2 shown]
	ds_read2_b64 v[24:27], v32 offset0:192 offset1:224
	v_mul_u32_u24_sdwa v46, v68, s34 dst_sel:DWORD dst_unused:UNUSED_PAD src0_sel:WORD_0 src1_sel:DWORD
	v_mul_u32_u24_sdwa v48, v68, s34 dst_sel:DWORD dst_unused:UNUSED_PAD src0_sel:WORD_1 src1_sel:DWORD
	v_mul_u32_u24_sdwa v49, v69, s34 dst_sel:DWORD dst_unused:UNUSED_PAD src0_sel:WORD_0 src1_sel:DWORD
	v_mul_u32_u24_sdwa v51, v69, s34 dst_sel:DWORD dst_unused:UNUSED_PAD src0_sel:WORD_1 src1_sel:DWORD
	s_waitcnt lgkmcnt(0)
	v_pk_fma_f16 v47, v24, v46, v47
	v_pk_fma_f16 v45, v24, v48, v45
	;; [unrolled: 1-line block ×7, first 2 shown]
	v_mul_u32_u24_sdwa v43, v70, s34 dst_sel:DWORD dst_unused:UNUSED_PAD src0_sel:WORD_0 src1_sel:DWORD
	v_mul_u32_u24_sdwa v46, v70, s34 dst_sel:DWORD dst_unused:UNUSED_PAD src0_sel:WORD_1 src1_sel:DWORD
	v_mul_u32_u24_sdwa v48, v71, s34 dst_sel:DWORD dst_unused:UNUSED_PAD src0_sel:WORD_0 src1_sel:DWORD
	v_pk_fma_f16 v24, v24, v51, v50
	v_mul_u32_u24_sdwa v49, v71, s34 dst_sel:DWORD dst_unused:UNUSED_PAD src0_sel:WORD_1 src1_sel:DWORD
	v_pk_fma_f16 v50, v26, v43, v47
	v_pk_fma_f16 v51, v26, v46, v45
	;; [unrolled: 1-line block ×5, first 2 shown]
	ds_read_b128 v[42:45], v37 offset:64
	v_pk_fma_f16 v53, v26, v49, v24
	v_add_u32_e32 v24, 0x800, v32
	v_pk_fma_f16 v62, v27, v48, v29
	v_pk_fma_f16 v25, v27, v49, v25
	ds_read2_b64 v[26:29], v24 offset1:32
	ds_read_b128 v[46:49], v37 offset:80
	s_waitcnt lgkmcnt(2)
	v_mul_u32_u24_sdwa v63, v42, s34 dst_sel:DWORD dst_unused:UNUSED_PAD src0_sel:WORD_0 src1_sel:DWORD
	v_mul_u32_u24_sdwa v42, v42, s34 dst_sel:DWORD dst_unused:UNUSED_PAD src0_sel:WORD_1 src1_sel:DWORD
	v_mul_u32_u24_sdwa v64, v43, s34 dst_sel:DWORD dst_unused:UNUSED_PAD src0_sel:WORD_0 src1_sel:DWORD
	v_mul_u32_u24_sdwa v43, v43, s34 dst_sel:DWORD dst_unused:UNUSED_PAD src0_sel:WORD_1 src1_sel:DWORD
	s_waitcnt lgkmcnt(1)
	v_pk_fma_f16 v50, v26, v63, v50
	v_pk_fma_f16 v51, v26, v42, v51
	v_pk_fma_f16 v52, v26, v64, v52
	v_pk_fma_f16 v26, v26, v43, v53
	v_pk_fma_f16 v53, v27, v63, v60
	v_pk_fma_f16 v42, v27, v42, v61
	v_pk_fma_f16 v60, v27, v64, v62
	v_pk_fma_f16 v25, v27, v43, v25
	v_mul_u32_u24_sdwa v27, v44, s34 dst_sel:DWORD dst_unused:UNUSED_PAD src0_sel:WORD_0 src1_sel:DWORD
	v_mul_u32_u24_sdwa v43, v44, s34 dst_sel:DWORD dst_unused:UNUSED_PAD src0_sel:WORD_1 src1_sel:DWORD
	v_mul_u32_u24_sdwa v44, v45, s34 dst_sel:DWORD dst_unused:UNUSED_PAD src0_sel:WORD_0 src1_sel:DWORD
	v_mul_u32_u24_sdwa v45, v45, s34 dst_sel:DWORD dst_unused:UNUSED_PAD src0_sel:WORD_1 src1_sel:DWORD
	v_pk_fma_f16 v50, v28, v27, v50
	v_pk_fma_f16 v51, v28, v43, v51
	;; [unrolled: 1-line block ×8, first 2 shown]
	ds_read2_b64 v[26:29], v24 offset0:64 offset1:96
	s_waitcnt lgkmcnt(1)
	v_mul_u32_u24_sdwa v44, v46, s34 dst_sel:DWORD dst_unused:UNUSED_PAD src0_sel:WORD_0 src1_sel:DWORD
	v_mul_u32_u24_sdwa v45, v46, s34 dst_sel:DWORD dst_unused:UNUSED_PAD src0_sel:WORD_1 src1_sel:DWORD
	v_mul_u32_u24_sdwa v46, v47, s34 dst_sel:DWORD dst_unused:UNUSED_PAD src0_sel:WORD_0 src1_sel:DWORD
	v_mul_u32_u24_sdwa v47, v47, s34 dst_sel:DWORD dst_unused:UNUSED_PAD src0_sel:WORD_1 src1_sel:DWORD
	s_waitcnt lgkmcnt(0)
	v_pk_fma_f16 v50, v26, v44, v50
	v_pk_fma_f16 v51, v26, v45, v51
	;; [unrolled: 1-line block ×7, first 2 shown]
	v_mul_u32_u24_sdwa v27, v48, s34 dst_sel:DWORD dst_unused:UNUSED_PAD src0_sel:WORD_0 src1_sel:DWORD
	v_mul_u32_u24_sdwa v43, v48, s34 dst_sel:DWORD dst_unused:UNUSED_PAD src0_sel:WORD_1 src1_sel:DWORD
	v_pk_fma_f16 v26, v26, v47, v61
	v_pk_fma_f16 v51, v28, v43, v51
	v_pk_fma_f16 v60, v29, v27, v44
	v_pk_fma_f16 v61, v29, v43, v42
	ds_read_b128 v[42:45], v37 offset:96
	v_mul_u32_u24_sdwa v47, v49, s34 dst_sel:DWORD dst_unused:UNUSED_PAD src0_sel:WORD_0 src1_sel:DWORD
	v_mul_u32_u24_sdwa v48, v49, s34 dst_sel:DWORD dst_unused:UNUSED_PAD src0_sel:WORD_1 src1_sel:DWORD
	v_pk_fma_f16 v50, v28, v27, v50
	v_pk_fma_f16 v52, v28, v47, v52
	;; [unrolled: 1-line block ×5, first 2 shown]
	ds_read2_b64 v[26:29], v24 offset0:128 offset1:160
	ds_read_b128 v[46:49], v37 offset:112
	s_waitcnt lgkmcnt(2)
	v_mul_u32_u24_sdwa v63, v42, s34 dst_sel:DWORD dst_unused:UNUSED_PAD src0_sel:WORD_0 src1_sel:DWORD
	v_mul_u32_u24_sdwa v42, v42, s34 dst_sel:DWORD dst_unused:UNUSED_PAD src0_sel:WORD_1 src1_sel:DWORD
	v_mul_u32_u24_sdwa v64, v43, s34 dst_sel:DWORD dst_unused:UNUSED_PAD src0_sel:WORD_0 src1_sel:DWORD
	v_mul_u32_u24_sdwa v43, v43, s34 dst_sel:DWORD dst_unused:UNUSED_PAD src0_sel:WORD_1 src1_sel:DWORD
	s_waitcnt lgkmcnt(1)
	v_pk_fma_f16 v50, v26, v63, v50
	v_pk_fma_f16 v51, v26, v42, v51
	;; [unrolled: 1-line block ×8, first 2 shown]
	v_mul_u32_u24_sdwa v27, v44, s34 dst_sel:DWORD dst_unused:UNUSED_PAD src0_sel:WORD_0 src1_sel:DWORD
	v_mul_u32_u24_sdwa v43, v44, s34 dst_sel:DWORD dst_unused:UNUSED_PAD src0_sel:WORD_1 src1_sel:DWORD
	v_mul_u32_u24_sdwa v44, v45, s34 dst_sel:DWORD dst_unused:UNUSED_PAD src0_sel:WORD_0 src1_sel:DWORD
	v_mul_u32_u24_sdwa v45, v45, s34 dst_sel:DWORD dst_unused:UNUSED_PAD src0_sel:WORD_1 src1_sel:DWORD
	v_pk_fma_f16 v50, v28, v27, v50
	v_pk_fma_f16 v51, v28, v43, v51
	;; [unrolled: 1-line block ×8, first 2 shown]
	ds_read2_b64 v[26:29], v24 offset0:192 offset1:224
	s_waitcnt lgkmcnt(1)
	v_mul_u32_u24_sdwa v44, v46, s34 dst_sel:DWORD dst_unused:UNUSED_PAD src0_sel:WORD_0 src1_sel:DWORD
	v_mul_u32_u24_sdwa v45, v46, s34 dst_sel:DWORD dst_unused:UNUSED_PAD src0_sel:WORD_1 src1_sel:DWORD
	v_mul_u32_u24_sdwa v46, v47, s34 dst_sel:DWORD dst_unused:UNUSED_PAD src0_sel:WORD_0 src1_sel:DWORD
	v_mul_u32_u24_sdwa v47, v47, s34 dst_sel:DWORD dst_unused:UNUSED_PAD src0_sel:WORD_1 src1_sel:DWORD
	s_waitcnt lgkmcnt(0)
	v_pk_fma_f16 v50, v26, v44, v50
	v_pk_fma_f16 v51, v26, v45, v51
	;; [unrolled: 1-line block ×7, first 2 shown]
	v_mul_u32_u24_sdwa v27, v48, s34 dst_sel:DWORD dst_unused:UNUSED_PAD src0_sel:WORD_0 src1_sel:DWORD
	v_mul_u32_u24_sdwa v45, v48, s34 dst_sel:DWORD dst_unused:UNUSED_PAD src0_sel:WORD_1 src1_sel:DWORD
	v_mul_u32_u24_sdwa v46, v49, s34 dst_sel:DWORD dst_unused:UNUSED_PAD src0_sel:WORD_0 src1_sel:DWORD
	v_pk_fma_f16 v26, v26, v47, v61
	v_mul_u32_u24_sdwa v47, v49, s34 dst_sel:DWORD dst_unused:UNUSED_PAD src0_sel:WORD_1 src1_sel:DWORD
	v_pk_fma_f16 v51, v28, v45, v51
	v_pk_fma_f16 v60, v29, v27, v44
	;; [unrolled: 1-line block ×4, first 2 shown]
	ds_read_b128 v[42:45], v37 offset:128
	v_pk_fma_f16 v63, v29, v47, v25
	v_add_u32_e32 v25, 0x1000, v32
	v_pk_fma_f16 v50, v28, v27, v50
	v_pk_fma_f16 v52, v28, v46, v52
	;; [unrolled: 1-line block ×3, first 2 shown]
	ds_read2_b64 v[26:29], v25 offset1:32
	ds_read_b128 v[46:49], v37 offset:144
	s_waitcnt lgkmcnt(2)
	v_mul_u32_u24_sdwa v64, v42, s34 dst_sel:DWORD dst_unused:UNUSED_PAD src0_sel:WORD_0 src1_sel:DWORD
	v_mul_u32_u24_sdwa v42, v42, s34 dst_sel:DWORD dst_unused:UNUSED_PAD src0_sel:WORD_1 src1_sel:DWORD
	v_mul_u32_u24_sdwa v65, v43, s34 dst_sel:DWORD dst_unused:UNUSED_PAD src0_sel:WORD_0 src1_sel:DWORD
	v_mul_u32_u24_sdwa v43, v43, s34 dst_sel:DWORD dst_unused:UNUSED_PAD src0_sel:WORD_1 src1_sel:DWORD
	s_waitcnt lgkmcnt(1)
	v_pk_fma_f16 v50, v26, v64, v50
	v_pk_fma_f16 v51, v26, v42, v51
	;; [unrolled: 1-line block ×8, first 2 shown]
	v_mul_u32_u24_sdwa v43, v44, s34 dst_sel:DWORD dst_unused:UNUSED_PAD src0_sel:WORD_0 src1_sel:DWORD
	v_mul_u32_u24_sdwa v44, v44, s34 dst_sel:DWORD dst_unused:UNUSED_PAD src0_sel:WORD_1 src1_sel:DWORD
	v_mul_u32_u24_sdwa v61, v45, s34 dst_sel:DWORD dst_unused:UNUSED_PAD src0_sel:WORD_0 src1_sel:DWORD
	v_mul_u32_u24_sdwa v45, v45, s34 dst_sel:DWORD dst_unused:UNUSED_PAD src0_sel:WORD_1 src1_sel:DWORD
	v_pk_fma_f16 v50, v28, v43, v50
	v_pk_fma_f16 v51, v28, v44, v51
	;; [unrolled: 1-line block ×8, first 2 shown]
	ds_read2_b64 v[26:29], v25 offset0:64 offset1:96
	s_waitcnt lgkmcnt(1)
	v_mul_u32_u24_sdwa v53, v46, s34 dst_sel:DWORD dst_unused:UNUSED_PAD src0_sel:WORD_0 src1_sel:DWORD
	v_mul_u32_u24_sdwa v46, v46, s34 dst_sel:DWORD dst_unused:UNUSED_PAD src0_sel:WORD_1 src1_sel:DWORD
	v_mul_u32_u24_sdwa v60, v47, s34 dst_sel:DWORD dst_unused:UNUSED_PAD src0_sel:WORD_0 src1_sel:DWORD
	v_mul_u32_u24_sdwa v47, v47, s34 dst_sel:DWORD dst_unused:UNUSED_PAD src0_sel:WORD_1 src1_sel:DWORD
	s_waitcnt lgkmcnt(0)
	v_pk_fma_f16 v50, v26, v53, v50
	v_pk_fma_f16 v51, v26, v46, v51
	;; [unrolled: 1-line block ×6, first 2 shown]
	v_mul_u32_u24_sdwa v44, v48, s34 dst_sel:DWORD dst_unused:UNUSED_PAD src0_sel:WORD_0 src1_sel:DWORD
	v_mul_u32_u24_sdwa v45, v48, s34 dst_sel:DWORD dst_unused:UNUSED_PAD src0_sel:WORD_1 src1_sel:DWORD
	v_pk_fma_f16 v52, v26, v60, v52
	v_pk_fma_f16 v50, v28, v44, v50
	;; [unrolled: 1-line block ×5, first 2 shown]
	ds_read_b128 v[42:45], v37 offset:160
	v_pk_fma_f16 v26, v26, v47, v62
	v_mul_u32_u24_sdwa v47, v49, s34 dst_sel:DWORD dst_unused:UNUSED_PAD src0_sel:WORD_0 src1_sel:DWORD
	v_mul_u32_u24_sdwa v48, v49, s34 dst_sel:DWORD dst_unused:UNUSED_PAD src0_sel:WORD_1 src1_sel:DWORD
	v_pk_fma_f16 v52, v28, v47, v52
	v_pk_fma_f16 v53, v28, v48, v26
	;; [unrolled: 1-line block ×4, first 2 shown]
	ds_read2_b64 v[26:29], v25 offset0:128 offset1:160
	ds_read_b128 v[46:49], v37 offset:176
	s_waitcnt lgkmcnt(2)
	v_mul_u32_u24_sdwa v64, v42, s34 dst_sel:DWORD dst_unused:UNUSED_PAD src0_sel:WORD_0 src1_sel:DWORD
	v_mul_u32_u24_sdwa v42, v42, s34 dst_sel:DWORD dst_unused:UNUSED_PAD src0_sel:WORD_1 src1_sel:DWORD
	v_mul_u32_u24_sdwa v65, v43, s34 dst_sel:DWORD dst_unused:UNUSED_PAD src0_sel:WORD_0 src1_sel:DWORD
	v_mul_u32_u24_sdwa v43, v43, s34 dst_sel:DWORD dst_unused:UNUSED_PAD src0_sel:WORD_1 src1_sel:DWORD
	s_waitcnt lgkmcnt(1)
	v_pk_fma_f16 v50, v26, v64, v50
	v_pk_fma_f16 v51, v26, v42, v51
	;; [unrolled: 1-line block ×8, first 2 shown]
	v_mul_u32_u24_sdwa v43, v44, s34 dst_sel:DWORD dst_unused:UNUSED_PAD src0_sel:WORD_0 src1_sel:DWORD
	v_mul_u32_u24_sdwa v44, v44, s34 dst_sel:DWORD dst_unused:UNUSED_PAD src0_sel:WORD_1 src1_sel:DWORD
	v_mul_u32_u24_sdwa v61, v45, s34 dst_sel:DWORD dst_unused:UNUSED_PAD src0_sel:WORD_0 src1_sel:DWORD
	v_mul_u32_u24_sdwa v45, v45, s34 dst_sel:DWORD dst_unused:UNUSED_PAD src0_sel:WORD_1 src1_sel:DWORD
	v_pk_fma_f16 v50, v28, v43, v50
	v_pk_fma_f16 v51, v28, v44, v51
	;; [unrolled: 1-line block ×8, first 2 shown]
	ds_read2_b64 v[26:29], v25 offset0:192 offset1:224
	s_waitcnt lgkmcnt(1)
	v_mul_u32_u24_sdwa v53, v46, s34 dst_sel:DWORD dst_unused:UNUSED_PAD src0_sel:WORD_0 src1_sel:DWORD
	v_mul_u32_u24_sdwa v46, v46, s34 dst_sel:DWORD dst_unused:UNUSED_PAD src0_sel:WORD_1 src1_sel:DWORD
	v_mul_u32_u24_sdwa v60, v47, s34 dst_sel:DWORD dst_unused:UNUSED_PAD src0_sel:WORD_0 src1_sel:DWORD
	v_mul_u32_u24_sdwa v47, v47, s34 dst_sel:DWORD dst_unused:UNUSED_PAD src0_sel:WORD_1 src1_sel:DWORD
	s_waitcnt lgkmcnt(0)
	v_pk_fma_f16 v50, v26, v53, v50
	v_pk_fma_f16 v51, v26, v46, v51
	;; [unrolled: 1-line block ×8, first 2 shown]
	v_mul_u32_u24_sdwa v45, v48, s34 dst_sel:DWORD dst_unused:UNUSED_PAD src0_sel:WORD_0 src1_sel:DWORD
	v_mul_u32_u24_sdwa v46, v48, s34 dst_sel:DWORD dst_unused:UNUSED_PAD src0_sel:WORD_1 src1_sel:DWORD
	v_mul_u32_u24_sdwa v47, v49, s34 dst_sel:DWORD dst_unused:UNUSED_PAD src0_sel:WORD_0 src1_sel:DWORD
	v_mul_u32_u24_sdwa v48, v49, s34 dst_sel:DWORD dst_unused:UNUSED_PAD src0_sel:WORD_1 src1_sel:DWORD
	v_pk_fma_f16 v60, v28, v45, v50
	v_pk_fma_f16 v63, v29, v45, v43
	;; [unrolled: 1-line block ×4, first 2 shown]
	ds_read_b128 v[42:45], v37 offset:192
	v_pk_fma_f16 v61, v28, v46, v51
	v_pk_fma_f16 v62, v28, v47, v52
	;; [unrolled: 1-line block ×3, first 2 shown]
	v_add_u32_e32 v26, 0x1800, v32
	v_pk_fma_f16 v27, v29, v48, v27
	ds_read2_b64 v[46:49], v26 offset1:32
	ds_read_b128 v[50:53], v37 offset:208
	s_waitcnt lgkmcnt(2)
	v_mul_u32_u24_sdwa v29, v42, s34 dst_sel:DWORD dst_unused:UNUSED_PAD src0_sel:WORD_0 src1_sel:DWORD
	v_mul_u32_u24_sdwa v66, v43, s34 dst_sel:DWORD dst_unused:UNUSED_PAD src0_sel:WORD_0 src1_sel:DWORD
	v_mul_u32_u24_sdwa v43, v43, s34 dst_sel:DWORD dst_unused:UNUSED_PAD src0_sel:WORD_1 src1_sel:DWORD
	v_mul_u32_u24_sdwa v42, v42, s34 dst_sel:DWORD dst_unused:UNUSED_PAD src0_sel:WORD_1 src1_sel:DWORD
	s_waitcnt lgkmcnt(1)
	v_pk_fma_f16 v60, v46, v29, v60
	v_pk_fma_f16 v85, v46, v43, v28
	;; [unrolled: 1-line block ×3, first 2 shown]
	v_lshl_add_u64 v[28:29], s[6:7], 0, v[20:21]
	v_pk_fma_f16 v61, v46, v42, v61
	v_pk_fma_f16 v84, v46, v66, v62
	v_pk_fma_f16 v87, v47, v42, v64
	v_pk_fma_f16 v88, v47, v66, v65
	v_pk_fma_f16 v27, v47, v43, v27
	v_mul_u32_u24_sdwa v89, v44, s34 dst_sel:DWORD dst_unused:UNUSED_PAD src0_sel:WORD_0 src1_sel:DWORD
	v_mul_u32_u24_sdwa v90, v44, s34 dst_sel:DWORD dst_unused:UNUSED_PAD src0_sel:WORD_1 src1_sel:DWORD
	v_lshl_add_u64 v[28:29], v[28:29], 0, v[10:11]
	v_lshl_add_u64 v[46:47], s[6:7], 0, v[22:23]
	v_mul_u32_u24_sdwa v91, v45, s34 dst_sel:DWORD dst_unused:UNUSED_PAD src0_sel:WORD_0 src1_sel:DWORD
	v_mul_u32_u24_sdwa v92, v45, s34 dst_sel:DWORD dst_unused:UNUSED_PAD src0_sel:WORD_1 src1_sel:DWORD
	v_pk_fma_f16 v93, v48, v89, v60
	v_pk_fma_f16 v94, v48, v90, v61
	ds_read2_b64 v[42:45], v26 offset0:64 offset1:96
	ds_read2_b64 v[60:63], v26 offset0:128 offset1:160
	;; [unrolled: 1-line block ×3, first 2 shown]
	ds_read_b128 v[68:71], v37 offset:224
	ds_read_b128 v[72:75], v37 offset:240
	s_waitcnt lgkmcnt(0)
	s_barrier
	v_lshl_add_u64 v[46:47], v[46:47], 0, v[10:11]
	global_load_dwordx4 v[76:79], v[28:29], off
	global_load_dwordx4 v[80:83], v[46:47], off
	v_pk_fma_f16 v28, v48, v91, v84
	v_pk_fma_f16 v29, v48, v92, v85
	v_pk_fma_f16 v46, v49, v89, v86
	v_pk_fma_f16 v47, v49, v90, v87
	v_pk_fma_f16 v48, v49, v91, v88
	v_pk_fma_f16 v27, v49, v92, v27
	v_mul_u32_u24_sdwa v49, v50, s34 dst_sel:DWORD dst_unused:UNUSED_PAD src0_sel:WORD_0 src1_sel:DWORD
	v_mul_u32_u24_sdwa v50, v50, s34 dst_sel:DWORD dst_unused:UNUSED_PAD src0_sel:WORD_1 src1_sel:DWORD
	v_mul_u32_u24_sdwa v84, v51, s34 dst_sel:DWORD dst_unused:UNUSED_PAD src0_sel:WORD_0 src1_sel:DWORD
	v_mul_u32_u24_sdwa v51, v51, s34 dst_sel:DWORD dst_unused:UNUSED_PAD src0_sel:WORD_1 src1_sel:DWORD
	v_pk_fma_f16 v85, v42, v49, v93
	v_pk_fma_f16 v86, v42, v50, v94
	v_pk_fma_f16 v28, v42, v84, v28
	v_pk_fma_f16 v29, v42, v51, v29
	v_pk_fma_f16 v42, v43, v49, v46
	v_pk_fma_f16 v46, v43, v50, v47
	v_pk_fma_f16 v47, v43, v84, v48
	v_pk_fma_f16 v27, v43, v51, v27
	v_mul_u32_u24_sdwa v43, v52, s34 dst_sel:DWORD dst_unused:UNUSED_PAD src0_sel:WORD_0 src1_sel:DWORD
	v_mul_u32_u24_sdwa v48, v52, s34 dst_sel:DWORD dst_unused:UNUSED_PAD src0_sel:WORD_1 src1_sel:DWORD
	v_mul_u32_u24_sdwa v49, v53, s34 dst_sel:DWORD dst_unused:UNUSED_PAD src0_sel:WORD_0 src1_sel:DWORD
	v_mul_u32_u24_sdwa v50, v53, s34 dst_sel:DWORD dst_unused:UNUSED_PAD src0_sel:WORD_1 src1_sel:DWORD
	v_pk_fma_f16 v51, v44, v43, v85
	v_pk_fma_f16 v52, v44, v48, v86
	;; [unrolled: 12-line block ×6, first 2 shown]
	v_pk_fma_f16 v28, v66, v47, v28
	v_pk_fma_f16 v29, v66, v48, v29
	;; [unrolled: 1-line block ×6, first 2 shown]
	s_waitcnt vmcnt(1)
	ds_write_b128 v38, v[76:79]
	s_waitcnt vmcnt(0)
	ds_write_b128 v39, v[80:83]
	s_waitcnt lgkmcnt(0)
	s_barrier
	ds_read_b128 v[42:45], v37 offset:256
	ds_read2_b64 v[46:49], v32 offset1:32
	ds_read_b128 v[50:53], v37 offset:272
	ds_read_b128 v[60:63], v37 offset:288
	;; [unrolled: 1-line block ×3, first 2 shown]
	s_waitcnt lgkmcnt(4)
	v_mul_u32_u24_sdwa v73, v42, s34 dst_sel:DWORD dst_unused:UNUSED_PAD src0_sel:WORD_0 src1_sel:DWORD
	v_mul_u32_u24_sdwa v42, v42, s34 dst_sel:DWORD dst_unused:UNUSED_PAD src0_sel:WORD_1 src1_sel:DWORD
	v_mul_u32_u24_sdwa v74, v43, s34 dst_sel:DWORD dst_unused:UNUSED_PAD src0_sel:WORD_0 src1_sel:DWORD
	v_mul_u32_u24_sdwa v43, v43, s34 dst_sel:DWORD dst_unused:UNUSED_PAD src0_sel:WORD_1 src1_sel:DWORD
	s_waitcnt lgkmcnt(3)
	v_pk_fma_f16 v68, v46, v73, v68
	v_pk_fma_f16 v69, v46, v42, v69
	;; [unrolled: 1-line block ×8, first 2 shown]
	v_mul_u32_u24_sdwa v43, v44, s34 dst_sel:DWORD dst_unused:UNUSED_PAD src0_sel:WORD_0 src1_sel:DWORD
	v_mul_u32_u24_sdwa v44, v44, s34 dst_sel:DWORD dst_unused:UNUSED_PAD src0_sel:WORD_1 src1_sel:DWORD
	v_mul_u32_u24_sdwa v47, v45, s34 dst_sel:DWORD dst_unused:UNUSED_PAD src0_sel:WORD_0 src1_sel:DWORD
	v_mul_u32_u24_sdwa v45, v45, s34 dst_sel:DWORD dst_unused:UNUSED_PAD src0_sel:WORD_1 src1_sel:DWORD
	v_pk_fma_f16 v68, v48, v43, v68
	v_pk_fma_f16 v69, v48, v44, v69
	;; [unrolled: 1-line block ×7, first 2 shown]
	ds_read2_b64 v[42:45], v32 offset0:64 offset1:96
	v_pk_fma_f16 v47, v49, v47, v70
	s_waitcnt lgkmcnt(3)
	v_mul_u32_u24_sdwa v49, v50, s34 dst_sel:DWORD dst_unused:UNUSED_PAD src0_sel:WORD_0 src1_sel:DWORD
	v_mul_u32_u24_sdwa v50, v50, s34 dst_sel:DWORD dst_unused:UNUSED_PAD src0_sel:WORD_1 src1_sel:DWORD
	v_mul_u32_u24_sdwa v70, v51, s34 dst_sel:DWORD dst_unused:UNUSED_PAD src0_sel:WORD_0 src1_sel:DWORD
	v_mul_u32_u24_sdwa v51, v51, s34 dst_sel:DWORD dst_unused:UNUSED_PAD src0_sel:WORD_1 src1_sel:DWORD
	s_waitcnt lgkmcnt(0)
	v_pk_fma_f16 v68, v42, v49, v68
	v_pk_fma_f16 v69, v42, v50, v69
	;; [unrolled: 1-line block ×8, first 2 shown]
	v_mul_u32_u24_sdwa v43, v52, s34 dst_sel:DWORD dst_unused:UNUSED_PAD src0_sel:WORD_0 src1_sel:DWORD
	v_mul_u32_u24_sdwa v48, v52, s34 dst_sel:DWORD dst_unused:UNUSED_PAD src0_sel:WORD_1 src1_sel:DWORD
	v_mul_u32_u24_sdwa v49, v53, s34 dst_sel:DWORD dst_unused:UNUSED_PAD src0_sel:WORD_0 src1_sel:DWORD
	v_mul_u32_u24_sdwa v50, v53, s34 dst_sel:DWORD dst_unused:UNUSED_PAD src0_sel:WORD_1 src1_sel:DWORD
	v_pk_fma_f16 v51, v44, v43, v68
	v_pk_fma_f16 v52, v44, v48, v69
	;; [unrolled: 1-line block ×8, first 2 shown]
	ds_read2_b64 v[42:45], v32 offset0:128 offset1:160
	v_mul_u32_u24_sdwa v48, v60, s34 dst_sel:DWORD dst_unused:UNUSED_PAD src0_sel:WORD_0 src1_sel:DWORD
	v_mul_u32_u24_sdwa v49, v60, s34 dst_sel:DWORD dst_unused:UNUSED_PAD src0_sel:WORD_1 src1_sel:DWORD
	v_mul_u32_u24_sdwa v50, v61, s34 dst_sel:DWORD dst_unused:UNUSED_PAD src0_sel:WORD_0 src1_sel:DWORD
	v_mul_u32_u24_sdwa v60, v61, s34 dst_sel:DWORD dst_unused:UNUSED_PAD src0_sel:WORD_1 src1_sel:DWORD
	s_waitcnt lgkmcnt(0)
	v_pk_fma_f16 v51, v42, v48, v51
	v_pk_fma_f16 v52, v42, v49, v52
	;; [unrolled: 1-line block ×8, first 2 shown]
	v_mul_u32_u24_sdwa v43, v62, s34 dst_sel:DWORD dst_unused:UNUSED_PAD src0_sel:WORD_0 src1_sel:DWORD
	v_mul_u32_u24_sdwa v48, v62, s34 dst_sel:DWORD dst_unused:UNUSED_PAD src0_sel:WORD_1 src1_sel:DWORD
	v_mul_u32_u24_sdwa v49, v63, s34 dst_sel:DWORD dst_unused:UNUSED_PAD src0_sel:WORD_0 src1_sel:DWORD
	v_mul_u32_u24_sdwa v50, v63, s34 dst_sel:DWORD dst_unused:UNUSED_PAD src0_sel:WORD_1 src1_sel:DWORD
	v_pk_fma_f16 v51, v44, v43, v51
	v_pk_fma_f16 v52, v44, v48, v52
	;; [unrolled: 1-line block ×8, first 2 shown]
	ds_read2_b64 v[42:45], v32 offset0:192 offset1:224
	v_mul_u32_u24_sdwa v49, v64, s34 dst_sel:DWORD dst_unused:UNUSED_PAD src0_sel:WORD_1 src1_sel:DWORD
	v_mul_u32_u24_sdwa v50, v65, s34 dst_sel:DWORD dst_unused:UNUSED_PAD src0_sel:WORD_0 src1_sel:DWORD
	v_mul_u32_u24_sdwa v48, v64, s34 dst_sel:DWORD dst_unused:UNUSED_PAD src0_sel:WORD_0 src1_sel:DWORD
	v_mul_u32_u24_sdwa v60, v65, s34 dst_sel:DWORD dst_unused:UNUSED_PAD src0_sel:WORD_1 src1_sel:DWORD
	s_waitcnt lgkmcnt(0)
	v_pk_fma_f16 v52, v42, v49, v52
	v_pk_fma_f16 v28, v42, v50, v28
	;; [unrolled: 1-line block ×4, first 2 shown]
	v_mul_u32_u24_sdwa v47, v66, s34 dst_sel:DWORD dst_unused:UNUSED_PAD src0_sel:WORD_1 src1_sel:DWORD
	v_pk_fma_f16 v51, v42, v48, v51
	v_pk_fma_f16 v29, v42, v60, v29
	;; [unrolled: 1-line block ×5, first 2 shown]
	ds_read_b128 v[46:49], v37 offset:320
	v_pk_fma_f16 v27, v43, v60, v27
	v_mul_u32_u24_sdwa v43, v66, s34 dst_sel:DWORD dst_unused:UNUSED_PAD src0_sel:WORD_0 src1_sel:DWORD
	v_mul_u32_u24_sdwa v53, v67, s34 dst_sel:DWORD dst_unused:UNUSED_PAD src0_sel:WORD_0 src1_sel:DWORD
	v_mul_u32_u24_sdwa v60, v67, s34 dst_sel:DWORD dst_unused:UNUSED_PAD src0_sel:WORD_1 src1_sel:DWORD
	v_pk_fma_f16 v61, v44, v43, v51
	v_pk_fma_f16 v28, v44, v53, v28
	;; [unrolled: 1-line block ×6, first 2 shown]
	ds_read2_b64 v[42:45], v24 offset1:32
	ds_read_b128 v[50:53], v37 offset:336
	s_waitcnt lgkmcnt(2)
	v_mul_u32_u24_sdwa v60, v46, s34 dst_sel:DWORD dst_unused:UNUSED_PAD src0_sel:WORD_0 src1_sel:DWORD
	v_mul_u32_u24_sdwa v46, v46, s34 dst_sel:DWORD dst_unused:UNUSED_PAD src0_sel:WORD_1 src1_sel:DWORD
	v_mul_u32_u24_sdwa v66, v47, s34 dst_sel:DWORD dst_unused:UNUSED_PAD src0_sel:WORD_0 src1_sel:DWORD
	v_mul_u32_u24_sdwa v47, v47, s34 dst_sel:DWORD dst_unused:UNUSED_PAD src0_sel:WORD_1 src1_sel:DWORD
	s_waitcnt lgkmcnt(1)
	v_pk_fma_f16 v61, v42, v60, v61
	v_pk_fma_f16 v62, v42, v46, v62
	;; [unrolled: 1-line block ×8, first 2 shown]
	v_mul_u32_u24_sdwa v43, v48, s34 dst_sel:DWORD dst_unused:UNUSED_PAD src0_sel:WORD_0 src1_sel:DWORD
	v_mul_u32_u24_sdwa v47, v48, s34 dst_sel:DWORD dst_unused:UNUSED_PAD src0_sel:WORD_1 src1_sel:DWORD
	v_mul_u32_u24_sdwa v48, v49, s34 dst_sel:DWORD dst_unused:UNUSED_PAD src0_sel:WORD_0 src1_sel:DWORD
	v_mul_u32_u24_sdwa v49, v49, s34 dst_sel:DWORD dst_unused:UNUSED_PAD src0_sel:WORD_1 src1_sel:DWORD
	v_pk_fma_f16 v61, v44, v43, v61
	v_pk_fma_f16 v62, v44, v47, v62
	;; [unrolled: 1-line block ×8, first 2 shown]
	ds_read2_b64 v[42:45], v24 offset0:64 offset1:96
	s_waitcnt lgkmcnt(1)
	v_mul_u32_u24_sdwa v48, v50, s34 dst_sel:DWORD dst_unused:UNUSED_PAD src0_sel:WORD_0 src1_sel:DWORD
	v_mul_u32_u24_sdwa v49, v50, s34 dst_sel:DWORD dst_unused:UNUSED_PAD src0_sel:WORD_1 src1_sel:DWORD
	v_mul_u32_u24_sdwa v50, v51, s34 dst_sel:DWORD dst_unused:UNUSED_PAD src0_sel:WORD_0 src1_sel:DWORD
	v_mul_u32_u24_sdwa v51, v51, s34 dst_sel:DWORD dst_unused:UNUSED_PAD src0_sel:WORD_1 src1_sel:DWORD
	s_waitcnt lgkmcnt(0)
	v_pk_fma_f16 v60, v42, v48, v61
	v_pk_fma_f16 v61, v42, v49, v62
	;; [unrolled: 1-line block ×5, first 2 shown]
	v_mul_u32_u24_sdwa v47, v52, s34 dst_sel:DWORD dst_unused:UNUSED_PAD src0_sel:WORD_1 src1_sel:DWORD
	v_pk_fma_f16 v29, v42, v51, v29
	v_pk_fma_f16 v42, v43, v48, v63
	;; [unrolled: 1-line block ×4, first 2 shown]
	ds_read_b128 v[46:49], v37 offset:352
	v_pk_fma_f16 v27, v43, v51, v27
	v_mul_u32_u24_sdwa v43, v52, s34 dst_sel:DWORD dst_unused:UNUSED_PAD src0_sel:WORD_0 src1_sel:DWORD
	v_mul_u32_u24_sdwa v51, v53, s34 dst_sel:DWORD dst_unused:UNUSED_PAD src0_sel:WORD_0 src1_sel:DWORD
	v_mul_u32_u24_sdwa v52, v53, s34 dst_sel:DWORD dst_unused:UNUSED_PAD src0_sel:WORD_1 src1_sel:DWORD
	v_pk_fma_f16 v60, v44, v43, v60
	v_pk_fma_f16 v28, v44, v51, v28
	;; [unrolled: 1-line block ×6, first 2 shown]
	ds_read2_b64 v[42:45], v24 offset0:128 offset1:160
	ds_read_b128 v[50:53], v37 offset:368
	s_waitcnt lgkmcnt(2)
	v_mul_u32_u24_sdwa v65, v46, s34 dst_sel:DWORD dst_unused:UNUSED_PAD src0_sel:WORD_0 src1_sel:DWORD
	v_mul_u32_u24_sdwa v46, v46, s34 dst_sel:DWORD dst_unused:UNUSED_PAD src0_sel:WORD_1 src1_sel:DWORD
	v_mul_u32_u24_sdwa v66, v47, s34 dst_sel:DWORD dst_unused:UNUSED_PAD src0_sel:WORD_0 src1_sel:DWORD
	v_mul_u32_u24_sdwa v47, v47, s34 dst_sel:DWORD dst_unused:UNUSED_PAD src0_sel:WORD_1 src1_sel:DWORD
	s_waitcnt lgkmcnt(1)
	v_pk_fma_f16 v60, v42, v65, v60
	v_pk_fma_f16 v61, v42, v46, v61
	;; [unrolled: 1-line block ×8, first 2 shown]
	v_mul_u32_u24_sdwa v43, v48, s34 dst_sel:DWORD dst_unused:UNUSED_PAD src0_sel:WORD_0 src1_sel:DWORD
	v_mul_u32_u24_sdwa v47, v48, s34 dst_sel:DWORD dst_unused:UNUSED_PAD src0_sel:WORD_1 src1_sel:DWORD
	v_mul_u32_u24_sdwa v48, v49, s34 dst_sel:DWORD dst_unused:UNUSED_PAD src0_sel:WORD_0 src1_sel:DWORD
	v_mul_u32_u24_sdwa v49, v49, s34 dst_sel:DWORD dst_unused:UNUSED_PAD src0_sel:WORD_1 src1_sel:DWORD
	v_pk_fma_f16 v60, v44, v43, v60
	v_pk_fma_f16 v61, v44, v47, v61
	;; [unrolled: 1-line block ×8, first 2 shown]
	ds_read2_b64 v[42:45], v24 offset0:192 offset1:224
	s_waitcnt lgkmcnt(1)
	v_mul_u32_u24_sdwa v24, v50, s34 dst_sel:DWORD dst_unused:UNUSED_PAD src0_sel:WORD_0 src1_sel:DWORD
	v_mul_u32_u24_sdwa v48, v50, s34 dst_sel:DWORD dst_unused:UNUSED_PAD src0_sel:WORD_1 src1_sel:DWORD
	v_mul_u32_u24_sdwa v49, v51, s34 dst_sel:DWORD dst_unused:UNUSED_PAD src0_sel:WORD_0 src1_sel:DWORD
	v_mul_u32_u24_sdwa v50, v51, s34 dst_sel:DWORD dst_unused:UNUSED_PAD src0_sel:WORD_1 src1_sel:DWORD
	s_waitcnt lgkmcnt(0)
	v_pk_fma_f16 v51, v42, v24, v60
	v_pk_fma_f16 v60, v42, v48, v61
	;; [unrolled: 1-line block ×5, first 2 shown]
	v_mul_u32_u24_sdwa v46, v52, s34 dst_sel:DWORD dst_unused:UNUSED_PAD src0_sel:WORD_1 src1_sel:DWORD
	v_pk_fma_f16 v24, v43, v24, v63
	v_pk_fma_f16 v61, v43, v49, v47
	;; [unrolled: 1-line block ×4, first 2 shown]
	ds_read_b128 v[46:49], v37 offset:384
	v_pk_fma_f16 v27, v43, v50, v27
	v_mul_u32_u24_sdwa v43, v52, s34 dst_sel:DWORD dst_unused:UNUSED_PAD src0_sel:WORD_0 src1_sel:DWORD
	v_mul_u32_u24_sdwa v50, v53, s34 dst_sel:DWORD dst_unused:UNUSED_PAD src0_sel:WORD_0 src1_sel:DWORD
	v_mul_u32_u24_sdwa v52, v53, s34 dst_sel:DWORD dst_unused:UNUSED_PAD src0_sel:WORD_1 src1_sel:DWORD
	v_pk_fma_f16 v62, v44, v43, v51
	v_pk_fma_f16 v28, v44, v50, v28
	;; [unrolled: 1-line block ×6, first 2 shown]
	ds_read2_b64 v[42:45], v25 offset1:32
	ds_read_b128 v[50:53], v37 offset:400
	s_waitcnt lgkmcnt(2)
	v_mul_u32_u24_sdwa v64, v46, s34 dst_sel:DWORD dst_unused:UNUSED_PAD src0_sel:WORD_0 src1_sel:DWORD
	v_mul_u32_u24_sdwa v46, v46, s34 dst_sel:DWORD dst_unused:UNUSED_PAD src0_sel:WORD_1 src1_sel:DWORD
	v_mul_u32_u24_sdwa v65, v47, s34 dst_sel:DWORD dst_unused:UNUSED_PAD src0_sel:WORD_0 src1_sel:DWORD
	v_mul_u32_u24_sdwa v47, v47, s34 dst_sel:DWORD dst_unused:UNUSED_PAD src0_sel:WORD_1 src1_sel:DWORD
	s_waitcnt lgkmcnt(1)
	v_pk_fma_f16 v62, v42, v64, v62
	v_pk_fma_f16 v60, v42, v46, v60
	;; [unrolled: 1-line block ×8, first 2 shown]
	v_mul_u32_u24_sdwa v43, v48, s34 dst_sel:DWORD dst_unused:UNUSED_PAD src0_sel:WORD_0 src1_sel:DWORD
	v_mul_u32_u24_sdwa v47, v48, s34 dst_sel:DWORD dst_unused:UNUSED_PAD src0_sel:WORD_1 src1_sel:DWORD
	v_mul_u32_u24_sdwa v48, v49, s34 dst_sel:DWORD dst_unused:UNUSED_PAD src0_sel:WORD_0 src1_sel:DWORD
	v_mul_u32_u24_sdwa v49, v49, s34 dst_sel:DWORD dst_unused:UNUSED_PAD src0_sel:WORD_1 src1_sel:DWORD
	v_pk_fma_f16 v61, v44, v43, v62
	v_pk_fma_f16 v60, v44, v47, v60
	;; [unrolled: 1-line block ×8, first 2 shown]
	ds_read2_b64 v[42:45], v25 offset0:64 offset1:96
	s_waitcnt lgkmcnt(1)
	v_mul_u32_u24_sdwa v48, v50, s34 dst_sel:DWORD dst_unused:UNUSED_PAD src0_sel:WORD_0 src1_sel:DWORD
	v_mul_u32_u24_sdwa v49, v50, s34 dst_sel:DWORD dst_unused:UNUSED_PAD src0_sel:WORD_1 src1_sel:DWORD
	v_mul_u32_u24_sdwa v50, v51, s34 dst_sel:DWORD dst_unused:UNUSED_PAD src0_sel:WORD_0 src1_sel:DWORD
	v_mul_u32_u24_sdwa v51, v51, s34 dst_sel:DWORD dst_unused:UNUSED_PAD src0_sel:WORD_1 src1_sel:DWORD
	s_waitcnt lgkmcnt(0)
	v_pk_fma_f16 v61, v42, v48, v61
	v_pk_fma_f16 v60, v42, v49, v60
	;; [unrolled: 1-line block ×6, first 2 shown]
	v_mul_u32_u24_sdwa v46, v52, s34 dst_sel:DWORD dst_unused:UNUSED_PAD src0_sel:WORD_1 src1_sel:DWORD
	v_pk_fma_f16 v24, v43, v48, v24
	v_pk_fma_f16 v60, v44, v46, v60
	;; [unrolled: 1-line block ×3, first 2 shown]
	ds_read_b128 v[46:49], v37 offset:416
	v_pk_fma_f16 v27, v43, v51, v27
	v_mul_u32_u24_sdwa v43, v52, s34 dst_sel:DWORD dst_unused:UNUSED_PAD src0_sel:WORD_0 src1_sel:DWORD
	v_mul_u32_u24_sdwa v51, v53, s34 dst_sel:DWORD dst_unused:UNUSED_PAD src0_sel:WORD_0 src1_sel:DWORD
	v_mul_u32_u24_sdwa v52, v53, s34 dst_sel:DWORD dst_unused:UNUSED_PAD src0_sel:WORD_1 src1_sel:DWORD
	v_pk_fma_f16 v61, v44, v43, v61
	v_pk_fma_f16 v28, v44, v51, v28
	;; [unrolled: 1-line block ×6, first 2 shown]
	ds_read2_b64 v[42:45], v25 offset0:128 offset1:160
	ds_read_b128 v[50:53], v37 offset:432
	s_waitcnt lgkmcnt(2)
	v_mul_u32_u24_sdwa v64, v46, s34 dst_sel:DWORD dst_unused:UNUSED_PAD src0_sel:WORD_0 src1_sel:DWORD
	v_mul_u32_u24_sdwa v46, v46, s34 dst_sel:DWORD dst_unused:UNUSED_PAD src0_sel:WORD_1 src1_sel:DWORD
	v_mul_u32_u24_sdwa v65, v47, s34 dst_sel:DWORD dst_unused:UNUSED_PAD src0_sel:WORD_0 src1_sel:DWORD
	v_mul_u32_u24_sdwa v47, v47, s34 dst_sel:DWORD dst_unused:UNUSED_PAD src0_sel:WORD_1 src1_sel:DWORD
	s_waitcnt lgkmcnt(1)
	v_pk_fma_f16 v61, v42, v64, v61
	v_pk_fma_f16 v60, v42, v46, v60
	;; [unrolled: 1-line block ×8, first 2 shown]
	v_mul_u32_u24_sdwa v43, v48, s34 dst_sel:DWORD dst_unused:UNUSED_PAD src0_sel:WORD_0 src1_sel:DWORD
	v_mul_u32_u24_sdwa v47, v48, s34 dst_sel:DWORD dst_unused:UNUSED_PAD src0_sel:WORD_1 src1_sel:DWORD
	v_mul_u32_u24_sdwa v48, v49, s34 dst_sel:DWORD dst_unused:UNUSED_PAD src0_sel:WORD_0 src1_sel:DWORD
	v_mul_u32_u24_sdwa v49, v49, s34 dst_sel:DWORD dst_unused:UNUSED_PAD src0_sel:WORD_1 src1_sel:DWORD
	v_pk_fma_f16 v61, v44, v43, v61
	v_pk_fma_f16 v60, v44, v47, v60
	;; [unrolled: 1-line block ×8, first 2 shown]
	ds_read2_b64 v[42:45], v25 offset0:192 offset1:224
	s_waitcnt lgkmcnt(1)
	v_mul_u32_u24_sdwa v25, v50, s34 dst_sel:DWORD dst_unused:UNUSED_PAD src0_sel:WORD_0 src1_sel:DWORD
	v_mul_u32_u24_sdwa v48, v50, s34 dst_sel:DWORD dst_unused:UNUSED_PAD src0_sel:WORD_1 src1_sel:DWORD
	v_mul_u32_u24_sdwa v49, v51, s34 dst_sel:DWORD dst_unused:UNUSED_PAD src0_sel:WORD_0 src1_sel:DWORD
	v_mul_u32_u24_sdwa v50, v51, s34 dst_sel:DWORD dst_unused:UNUSED_PAD src0_sel:WORD_1 src1_sel:DWORD
	s_waitcnt lgkmcnt(0)
	v_pk_fma_f16 v51, v42, v25, v61
	v_pk_fma_f16 v60, v42, v48, v60
	;; [unrolled: 1-line block ×7, first 2 shown]
	v_mul_u32_u24_sdwa v46, v52, s34 dst_sel:DWORD dst_unused:UNUSED_PAD src0_sel:WORD_1 src1_sel:DWORD
	v_pk_fma_f16 v60, v44, v46, v60
	v_pk_fma_f16 v25, v45, v46, v25
	ds_read_b128 v[46:49], v37 offset:448
	v_pk_fma_f16 v27, v43, v50, v27
	v_mul_u32_u24_sdwa v43, v52, s34 dst_sel:DWORD dst_unused:UNUSED_PAD src0_sel:WORD_0 src1_sel:DWORD
	v_mul_u32_u24_sdwa v50, v53, s34 dst_sel:DWORD dst_unused:UNUSED_PAD src0_sel:WORD_0 src1_sel:DWORD
	v_mul_u32_u24_sdwa v52, v53, s34 dst_sel:DWORD dst_unused:UNUSED_PAD src0_sel:WORD_1 src1_sel:DWORD
	v_pk_fma_f16 v61, v44, v43, v51
	v_pk_fma_f16 v28, v44, v50, v28
	;; [unrolled: 1-line block ×6, first 2 shown]
	ds_read2_b64 v[42:45], v26 offset1:32
	ds_read_b128 v[50:53], v37 offset:464
	s_waitcnt lgkmcnt(2)
	v_mul_u32_u24_sdwa v63, v46, s34 dst_sel:DWORD dst_unused:UNUSED_PAD src0_sel:WORD_0 src1_sel:DWORD
	v_mul_u32_u24_sdwa v46, v46, s34 dst_sel:DWORD dst_unused:UNUSED_PAD src0_sel:WORD_1 src1_sel:DWORD
	v_mul_u32_u24_sdwa v64, v47, s34 dst_sel:DWORD dst_unused:UNUSED_PAD src0_sel:WORD_0 src1_sel:DWORD
	v_mul_u32_u24_sdwa v47, v47, s34 dst_sel:DWORD dst_unused:UNUSED_PAD src0_sel:WORD_1 src1_sel:DWORD
	s_waitcnt lgkmcnt(1)
	v_pk_fma_f16 v61, v42, v63, v61
	v_pk_fma_f16 v60, v42, v46, v60
	;; [unrolled: 1-line block ×8, first 2 shown]
	v_mul_u32_u24_sdwa v43, v48, s34 dst_sel:DWORD dst_unused:UNUSED_PAD src0_sel:WORD_0 src1_sel:DWORD
	v_mul_u32_u24_sdwa v46, v48, s34 dst_sel:DWORD dst_unused:UNUSED_PAD src0_sel:WORD_1 src1_sel:DWORD
	v_mul_u32_u24_sdwa v47, v49, s34 dst_sel:DWORD dst_unused:UNUSED_PAD src0_sel:WORD_0 src1_sel:DWORD
	v_mul_u32_u24_sdwa v48, v49, s34 dst_sel:DWORD dst_unused:UNUSED_PAD src0_sel:WORD_1 src1_sel:DWORD
	v_pk_fma_f16 v49, v44, v43, v61
	v_pk_fma_f16 v60, v44, v46, v60
	;; [unrolled: 1-line block ×8, first 2 shown]
	ds_read2_b64 v[42:45], v26 offset0:64 offset1:96
	s_waitcnt lgkmcnt(1)
	v_mul_u32_u24_sdwa v47, v50, s34 dst_sel:DWORD dst_unused:UNUSED_PAD src0_sel:WORD_0 src1_sel:DWORD
	v_mul_u32_u24_sdwa v48, v50, s34 dst_sel:DWORD dst_unused:UNUSED_PAD src0_sel:WORD_1 src1_sel:DWORD
	v_mul_u32_u24_sdwa v50, v51, s34 dst_sel:DWORD dst_unused:UNUSED_PAD src0_sel:WORD_0 src1_sel:DWORD
	v_mul_u32_u24_sdwa v51, v51, s34 dst_sel:DWORD dst_unused:UNUSED_PAD src0_sel:WORD_1 src1_sel:DWORD
	s_waitcnt lgkmcnt(0)
	v_pk_fma_f16 v49, v42, v47, v49
	v_pk_fma_f16 v60, v42, v48, v60
	;; [unrolled: 1-line block ×8, first 2 shown]
	v_mul_u32_u24_sdwa v43, v52, s34 dst_sel:DWORD dst_unused:UNUSED_PAD src0_sel:WORD_0 src1_sel:DWORD
	v_mul_u32_u24_sdwa v46, v52, s34 dst_sel:DWORD dst_unused:UNUSED_PAD src0_sel:WORD_1 src1_sel:DWORD
	v_pk_fma_f16 v61, v44, v43, v49
	v_pk_fma_f16 v60, v44, v46, v60
	;; [unrolled: 1-line block ×3, first 2 shown]
	ds_read_b128 v[46:49], v37 offset:480
	v_mul_u32_u24_sdwa v50, v53, s34 dst_sel:DWORD dst_unused:UNUSED_PAD src0_sel:WORD_0 src1_sel:DWORD
	v_mul_u32_u24_sdwa v51, v53, s34 dst_sel:DWORD dst_unused:UNUSED_PAD src0_sel:WORD_1 src1_sel:DWORD
	v_pk_fma_f16 v28, v44, v50, v28
	v_pk_fma_f16 v29, v44, v51, v29
	v_pk_fma_f16 v24, v45, v43, v24
	v_pk_fma_f16 v62, v45, v50, v42
	v_pk_fma_f16 v27, v45, v51, v27
	ds_read2_b64 v[42:45], v26 offset0:128 offset1:160
	ds_read_b128 v[50:53], v37 offset:496
	s_waitcnt lgkmcnt(2)
	v_mul_u32_u24_sdwa v63, v46, s34 dst_sel:DWORD dst_unused:UNUSED_PAD src0_sel:WORD_0 src1_sel:DWORD
	v_mul_u32_u24_sdwa v46, v46, s34 dst_sel:DWORD dst_unused:UNUSED_PAD src0_sel:WORD_1 src1_sel:DWORD
	v_mul_u32_u24_sdwa v64, v47, s34 dst_sel:DWORD dst_unused:UNUSED_PAD src0_sel:WORD_0 src1_sel:DWORD
	v_mul_u32_u24_sdwa v47, v47, s34 dst_sel:DWORD dst_unused:UNUSED_PAD src0_sel:WORD_1 src1_sel:DWORD
	s_waitcnt lgkmcnt(1)
	v_pk_fma_f16 v61, v42, v63, v61
	v_pk_fma_f16 v60, v42, v46, v60
	;; [unrolled: 1-line block ×8, first 2 shown]
	v_mul_u32_u24_sdwa v43, v48, s34 dst_sel:DWORD dst_unused:UNUSED_PAD src0_sel:WORD_0 src1_sel:DWORD
	v_mul_u32_u24_sdwa v46, v48, s34 dst_sel:DWORD dst_unused:UNUSED_PAD src0_sel:WORD_1 src1_sel:DWORD
	v_mul_u32_u24_sdwa v47, v49, s34 dst_sel:DWORD dst_unused:UNUSED_PAD src0_sel:WORD_0 src1_sel:DWORD
	v_mul_u32_u24_sdwa v48, v49, s34 dst_sel:DWORD dst_unused:UNUSED_PAD src0_sel:WORD_1 src1_sel:DWORD
	v_pk_fma_f16 v49, v44, v43, v61
	v_pk_fma_f16 v60, v44, v46, v60
	;; [unrolled: 1-line block ×8, first 2 shown]
	ds_read2_b64 v[24:27], v26 offset0:192 offset1:224
	s_waitcnt lgkmcnt(0)
	s_barrier
	s_load_dword s6, s[4:5], 0x4
	v_mul_u32_u24_sdwa v46, v50, s34 dst_sel:DWORD dst_unused:UNUSED_PAD src0_sel:WORD_0 src1_sel:DWORD
	v_mul_u32_u24_sdwa v47, v50, s34 dst_sel:DWORD dst_unused:UNUSED_PAD src0_sel:WORD_1 src1_sel:DWORD
	v_mul_u32_u24_sdwa v48, v51, s34 dst_sel:DWORD dst_unused:UNUSED_PAD src0_sel:WORD_0 src1_sel:DWORD
	v_mul_u32_u24_sdwa v50, v51, s34 dst_sel:DWORD dst_unused:UNUSED_PAD src0_sel:WORD_1 src1_sel:DWORD
	s_waitcnt lgkmcnt(0)
	s_lshl_b32 s6, s6, 6
	v_pk_fma_f16 v49, v24, v46, v49
	v_pk_fma_f16 v51, v24, v47, v60
	v_pk_fma_f16 v28, v24, v48, v28
	v_pk_fma_f16 v24, v24, v50, v29
	v_pk_fma_f16 v29, v25, v46, v43
	v_pk_fma_f16 v46, v25, v47, v44
	v_pk_fma_f16 v42, v25, v48, v42
	v_pk_fma_f16 v50, v25, v50, v45
	v_mul_u32_u24_sdwa v25, v52, s34 dst_sel:DWORD dst_unused:UNUSED_PAD src0_sel:WORD_0 src1_sel:DWORD
	v_mul_u32_u24_sdwa v48, v52, s34 dst_sel:DWORD dst_unused:UNUSED_PAD src0_sel:WORD_1 src1_sel:DWORD
	v_mul_u32_u24_sdwa v52, v53, s34 dst_sel:DWORD dst_unused:UNUSED_PAD src0_sel:WORD_0 src1_sel:DWORD
	v_mul_u32_u24_sdwa v53, v53, s34 dst_sel:DWORD dst_unused:UNUSED_PAD src0_sel:WORD_1 src1_sel:DWORD
	s_add_i32 s2, s6, s2
	v_pk_fma_f16 v47, v26, v25, v49
	v_pk_fma_f16 v45, v26, v48, v51
	;; [unrolled: 1-line block ×7, first 2 shown]
	s_cmp_ge_i32 s2, s24
	v_pk_fma_f16 v42, v27, v53, v50
	s_cbranch_scc1 .LBB72_7
; %bb.62:                               ;   in Loop: Header=BB72_29 Depth=1
	v_mov_b32_e32 v24, v0
	v_mov_b32_e32 v27, v1
	;; [unrolled: 1-line block ×4, first 2 shown]
	s_branch .LBB72_29
	.section	.rodata,"a",@progbits
	.p2align	6, 0x0
	.amdhsa_kernel _ZL15flash_attn_tileILi128ELi128ELi4ELi8ELb1EEvPKcS1_S1_S1_S1_PKiPfP15HIP_vector_typeIfLj2EEffffjfiS5_IjLj3EEiiiiiiiiiiiliiliiiiil
		.amdhsa_group_segment_fixed_size 21504
		.amdhsa_private_segment_fixed_size 0
		.amdhsa_kernarg_size 464
		.amdhsa_user_sgpr_count 2
		.amdhsa_user_sgpr_dispatch_ptr 0
		.amdhsa_user_sgpr_queue_ptr 0
		.amdhsa_user_sgpr_kernarg_segment_ptr 1
		.amdhsa_user_sgpr_dispatch_id 0
		.amdhsa_user_sgpr_kernarg_preload_length 0
		.amdhsa_user_sgpr_kernarg_preload_offset 0
		.amdhsa_user_sgpr_private_segment_size 0
		.amdhsa_uses_dynamic_stack 0
		.amdhsa_enable_private_segment 0
		.amdhsa_system_sgpr_workgroup_id_x 1
		.amdhsa_system_sgpr_workgroup_id_y 1
		.amdhsa_system_sgpr_workgroup_id_z 1
		.amdhsa_system_sgpr_workgroup_info 0
		.amdhsa_system_vgpr_workitem_id 1
		.amdhsa_next_free_vgpr 95
		.amdhsa_next_free_sgpr 75
		.amdhsa_accum_offset 96
		.amdhsa_reserve_vcc 1
		.amdhsa_float_round_mode_32 0
		.amdhsa_float_round_mode_16_64 0
		.amdhsa_float_denorm_mode_32 3
		.amdhsa_float_denorm_mode_16_64 3
		.amdhsa_dx10_clamp 1
		.amdhsa_ieee_mode 1
		.amdhsa_fp16_overflow 0
		.amdhsa_tg_split 0
		.amdhsa_exception_fp_ieee_invalid_op 0
		.amdhsa_exception_fp_denorm_src 0
		.amdhsa_exception_fp_ieee_div_zero 0
		.amdhsa_exception_fp_ieee_overflow 0
		.amdhsa_exception_fp_ieee_underflow 0
		.amdhsa_exception_fp_ieee_inexact 0
		.amdhsa_exception_int_div_zero 0
	.end_amdhsa_kernel
	.section	.text._ZL15flash_attn_tileILi128ELi128ELi4ELi8ELb1EEvPKcS1_S1_S1_S1_PKiPfP15HIP_vector_typeIfLj2EEffffjfiS5_IjLj3EEiiiiiiiiiiiliiliiiiil,"axG",@progbits,_ZL15flash_attn_tileILi128ELi128ELi4ELi8ELb1EEvPKcS1_S1_S1_S1_PKiPfP15HIP_vector_typeIfLj2EEffffjfiS5_IjLj3EEiiiiiiiiiiiliiliiiiil,comdat
.Lfunc_end72:
	.size	_ZL15flash_attn_tileILi128ELi128ELi4ELi8ELb1EEvPKcS1_S1_S1_S1_PKiPfP15HIP_vector_typeIfLj2EEffffjfiS5_IjLj3EEiiiiiiiiiiiliiliiiiil, .Lfunc_end72-_ZL15flash_attn_tileILi128ELi128ELi4ELi8ELb1EEvPKcS1_S1_S1_S1_PKiPfP15HIP_vector_typeIfLj2EEffffjfiS5_IjLj3EEiiiiiiiiiiiliiliiiiil
                                        ; -- End function
	.set _ZL15flash_attn_tileILi128ELi128ELi4ELi8ELb1EEvPKcS1_S1_S1_S1_PKiPfP15HIP_vector_typeIfLj2EEffffjfiS5_IjLj3EEiiiiiiiiiiiliiliiiiil.num_vgpr, 95
	.set _ZL15flash_attn_tileILi128ELi128ELi4ELi8ELb1EEvPKcS1_S1_S1_S1_PKiPfP15HIP_vector_typeIfLj2EEffffjfiS5_IjLj3EEiiiiiiiiiiiliiliiiiil.num_agpr, 0
	.set _ZL15flash_attn_tileILi128ELi128ELi4ELi8ELb1EEvPKcS1_S1_S1_S1_PKiPfP15HIP_vector_typeIfLj2EEffffjfiS5_IjLj3EEiiiiiiiiiiiliiliiiiil.numbered_sgpr, 40
	.set _ZL15flash_attn_tileILi128ELi128ELi4ELi8ELb1EEvPKcS1_S1_S1_S1_PKiPfP15HIP_vector_typeIfLj2EEffffjfiS5_IjLj3EEiiiiiiiiiiiliiliiiiil.num_named_barrier, 0
	.set _ZL15flash_attn_tileILi128ELi128ELi4ELi8ELb1EEvPKcS1_S1_S1_S1_PKiPfP15HIP_vector_typeIfLj2EEffffjfiS5_IjLj3EEiiiiiiiiiiiliiliiiiil.private_seg_size, 0
	.set _ZL15flash_attn_tileILi128ELi128ELi4ELi8ELb1EEvPKcS1_S1_S1_S1_PKiPfP15HIP_vector_typeIfLj2EEffffjfiS5_IjLj3EEiiiiiiiiiiiliiliiiiil.uses_vcc, 1
	.set _ZL15flash_attn_tileILi128ELi128ELi4ELi8ELb1EEvPKcS1_S1_S1_S1_PKiPfP15HIP_vector_typeIfLj2EEffffjfiS5_IjLj3EEiiiiiiiiiiiliiliiiiil.uses_flat_scratch, 0
	.set _ZL15flash_attn_tileILi128ELi128ELi4ELi8ELb1EEvPKcS1_S1_S1_S1_PKiPfP15HIP_vector_typeIfLj2EEffffjfiS5_IjLj3EEiiiiiiiiiiiliiliiiiil.has_dyn_sized_stack, 0
	.set _ZL15flash_attn_tileILi128ELi128ELi4ELi8ELb1EEvPKcS1_S1_S1_S1_PKiPfP15HIP_vector_typeIfLj2EEffffjfiS5_IjLj3EEiiiiiiiiiiiliiliiiiil.has_recursion, 0
	.set _ZL15flash_attn_tileILi128ELi128ELi4ELi8ELb1EEvPKcS1_S1_S1_S1_PKiPfP15HIP_vector_typeIfLj2EEffffjfiS5_IjLj3EEiiiiiiiiiiiliiliiiiil.has_indirect_call, 0
	.section	.AMDGPU.csdata,"",@progbits
; Kernel info:
; codeLenInByte = 25524
; TotalNumSgprs: 46
; NumVgprs: 95
; NumAgprs: 0
; TotalNumVgprs: 95
; ScratchSize: 0
; MemoryBound: 0
; FloatMode: 240
; IeeeMode: 1
; LDSByteSize: 21504 bytes/workgroup (compile time only)
; SGPRBlocks: 10
; VGPRBlocks: 11
; NumSGPRsForWavesPerEU: 81
; NumVGPRsForWavesPerEU: 95
; AccumOffset: 96
; Occupancy: 5
; WaveLimiterHint : 1
; COMPUTE_PGM_RSRC2:SCRATCH_EN: 0
; COMPUTE_PGM_RSRC2:USER_SGPR: 2
; COMPUTE_PGM_RSRC2:TRAP_HANDLER: 0
; COMPUTE_PGM_RSRC2:TGID_X_EN: 1
; COMPUTE_PGM_RSRC2:TGID_Y_EN: 1
; COMPUTE_PGM_RSRC2:TGID_Z_EN: 1
; COMPUTE_PGM_RSRC2:TIDIG_COMP_CNT: 1
; COMPUTE_PGM_RSRC3_GFX90A:ACCUM_OFFSET: 23
; COMPUTE_PGM_RSRC3_GFX90A:TG_SPLIT: 0
	.section	.text._ZL15flash_attn_tileILi128ELi128ELi2ELi8ELb1EEvPKcS1_S1_S1_S1_PKiPfP15HIP_vector_typeIfLj2EEffffjfiS5_IjLj3EEiiiiiiiiiiiliiliiiiil,"axG",@progbits,_ZL15flash_attn_tileILi128ELi128ELi2ELi8ELb1EEvPKcS1_S1_S1_S1_PKiPfP15HIP_vector_typeIfLj2EEffffjfiS5_IjLj3EEiiiiiiiiiiiliiliiiiil,comdat
	.globl	_ZL15flash_attn_tileILi128ELi128ELi2ELi8ELb1EEvPKcS1_S1_S1_S1_PKiPfP15HIP_vector_typeIfLj2EEffffjfiS5_IjLj3EEiiiiiiiiiiiliiliiiiil ; -- Begin function _ZL15flash_attn_tileILi128ELi128ELi2ELi8ELb1EEvPKcS1_S1_S1_S1_PKiPfP15HIP_vector_typeIfLj2EEffffjfiS5_IjLj3EEiiiiiiiiiiiliiliiiiil
	.p2align	8
	.type	_ZL15flash_attn_tileILi128ELi128ELi2ELi8ELb1EEvPKcS1_S1_S1_S1_PKiPfP15HIP_vector_typeIfLj2EEffffjfiS5_IjLj3EEiiiiiiiiiiiliiliiiiil,@function
_ZL15flash_attn_tileILi128ELi128ELi2ELi8ELb1EEvPKcS1_S1_S1_S1_PKiPfP15HIP_vector_typeIfLj2EEffffjfiS5_IjLj3EEiiiiiiiiiiiliiliiiiil: ; @_ZL15flash_attn_tileILi128ELi128ELi2ELi8ELb1EEvPKcS1_S1_S1_S1_PKiPfP15HIP_vector_typeIfLj2EEffffjfiS5_IjLj3EEiiiiiiiiiiiliiliiiiil
; %bb.0:
	s_load_dwordx4 s[20:23], s[0:1], 0x5c
	s_load_dwordx2 s[24:25], s[0:1], 0x80
	s_load_dwordx2 s[28:29], s[0:1], 0xb8
	s_mov_b64 s[26:27], 0
	s_waitcnt lgkmcnt(0)
	s_ashr_i32 s5, s23, 31
	s_lshr_b32 s5, s5, 29
	s_add_i32 s5, s23, s5
	s_ashr_i32 s5, s5, 3
	v_cvt_f32_u32_e32 v1, s5
	s_sub_i32 s6, 0, s5
	v_rcp_iflag_f32_e32 v1, v1
	s_nop 0
	v_mul_f32_e32 v1, 0x4f7ffffe, v1
	v_cvt_u32_f32_e32 v1, v1
	s_nop 0
	v_readfirstlane_b32 s7, v1
	s_mul_i32 s6, s6, s7
	s_mul_hi_u32 s6, s7, s6
	s_add_i32 s7, s7, s6
	s_mul_hi_u32 s6, s4, s7
	s_mul_i32 s7, s6, s5
	s_sub_i32 s7, s4, s7
	s_add_i32 s8, s6, 1
	s_sub_i32 s9, s7, s5
	s_cmp_ge_u32 s7, s5
	s_cselect_b32 s6, s8, s6
	s_cselect_b32 s7, s9, s7
	s_add_i32 s8, s6, 1
	s_cmp_ge_u32 s7, s5
	s_cselect_b32 s30, s8, s6
	s_abs_i32 s5, s25
	v_cvt_f32_u32_e32 v1, s5
	s_lshl_b32 s4, s4, 3
	s_mul_i32 s8, s30, s23
	s_xor_b32 s6, s23, s25
	v_rcp_iflag_f32_e32 v1, v1
	s_sub_i32 s9, 0, s5
	s_sub_i32 s25, s4, s8
	s_abs_i32 s7, s23
	v_mul_f32_e32 v1, 0x4f7ffffe, v1
	v_cvt_u32_f32_e32 v1, v1
	s_ashr_i32 s6, s6, 31
	v_readfirstlane_b32 s4, v1
	s_mul_i32 s9, s9, s4
	s_mul_hi_u32 s8, s4, s9
	s_add_i32 s4, s4, s8
	s_mul_hi_u32 s4, s7, s4
	s_mul_i32 s8, s4, s5
	s_sub_i32 s7, s7, s8
	s_add_i32 s9, s4, 1
	s_sub_i32 s8, s7, s5
	s_cmp_ge_u32 s7, s5
	s_cselect_b32 s4, s9, s4
	s_cselect_b32 s7, s8, s7
	s_add_i32 s8, s4, 1
	s_cmp_ge_u32 s7, s5
	s_cselect_b32 s4, s8, s4
	s_xor_b32 s4, s4, s6
	s_sub_i32 s33, s4, s6
	s_abs_i32 s31, s33
	v_cvt_f32_u32_e32 v1, s31
	s_load_dwordx16 s[4:19], s[0:1], 0x0
	v_rcp_iflag_f32_e32 v1, v1
	s_waitcnt lgkmcnt(0)
	s_cmp_eq_u64 s[10:11], 0
	v_mul_f32_e32 v1, 0x4f7ffffe, v1
	v_cvt_u32_f32_e32 v1, v1
	s_nop 0
	v_readfirstlane_b32 s34, v1
	s_cbranch_scc1 .LBB73_2
; %bb.1:
	s_abs_i32 s28, s28
	v_cvt_f32_u32_e32 v1, s28
	s_sub_i32 s37, 0, s28
	s_abs_i32 s36, s30
	s_ashr_i32 s35, s30, 31
	v_rcp_iflag_f32_e32 v1, v1
	s_load_dwordx2 s[26:27], s[0:1], 0xc8
	v_mul_f32_e32 v1, 0x4f7ffffe, v1
	v_cvt_u32_f32_e32 v1, v1
	s_nop 0
	v_readfirstlane_b32 s38, v1
	s_mul_i32 s37, s37, s38
	s_mul_hi_u32 s37, s38, s37
	s_add_i32 s38, s38, s37
	s_mul_hi_u32 s37, s36, s38
	s_mul_i32 s37, s37, s28
	s_sub_i32 s36, s36, s37
	s_sub_i32 s37, s36, s28
	s_cmp_ge_u32 s36, s28
	s_cselect_b32 s36, s37, s36
	s_sub_i32 s37, s36, s28
	s_cmp_ge_u32 s36, s28
	s_cselect_b32 s28, s37, s36
	s_xor_b32 s28, s28, s35
	s_sub_i32 s28, s28, s35
	s_ashr_i32 s35, s28, 31
	s_waitcnt lgkmcnt(0)
	s_mul_hi_u32 s36, s26, s28
	s_mul_i32 s35, s26, s35
	s_mul_i32 s27, s27, s28
	s_add_i32 s35, s36, s35
	s_add_i32 s35, s35, s27
	s_mul_i32 s26, s26, s28
	s_add_u32 s26, s10, s26
	s_addc_u32 s27, s11, s35
.LBB73_2:
	s_load_dwordx4 s[36:39], s[0:1], 0x70
	v_lshrrev_b32_e32 v1, 10, v0
	v_bfe_u32 v1, v1, 2, 8
	v_lshl_add_u32 v1, s2, 1, v1
	v_mul_hi_u32 v3, s20, v1
	s_waitcnt lgkmcnt(0)
	s_mul_i32 s10, s30, s38
	s_ashr_i32 s28, s10, 31
	s_mul_i32 s11, s25, s37
	s_add_u32 s4, s4, s10
	s_addc_u32 s5, s5, s28
	s_ashr_i32 s10, s11, 31
	v_add_u32_e32 v3, v1, v3
	s_add_u32 s4, s4, s11
	v_lshrrev_b32_e32 v3, s21, v3
	s_addc_u32 s5, s5, s10
	s_ashr_i32 s11, s37, 31
	s_mov_b32 s10, s37
	v_mul_lo_u32 v3, v3, s22
	s_ashr_i32 s37, s36, 31
	v_sub_u32_e32 v3, v1, v3
	s_lshr_b64 s[20:21], s[36:37], 2
	v_mad_u64_u32 v[6:7], s[20:21], s20, v3, 0
	s_lshr_b64 s[38:39], s[10:11], 2
	v_mov_b32_e32 v8, v7
	s_lshr_b32 s10, s37, 2
	v_bfe_u32 v2, v0, 10, 10
	v_mad_u64_u32 v[8:9], s[20:21], s10, v3, v[8:9]
	v_lshlrev_b32_e32 v4, 1, v2
	v_mov_b32_e32 v7, v8
	v_and_b32_e32 v0, 0x3ff, v0
	v_lshl_add_u64 v[6:7], v[6:7], 2, s[4:5]
	v_lshlrev_b32_e32 v8, 4, v0
	v_mov_b32_e32 v9, 0
	v_and_b32_e32 v26, 6, v4
	v_lshl_add_u64 v[10:11], v[6:7], 0, v[8:9]
	v_mad_u64_u32 v[6:7], s[4:5], s38, v26, 0
	v_bitop3_b32 v5, v4, 7, 1 bitop3:0xc8
	v_mov_b32_e32 v8, v7
	s_lshr_b32 s10, s11, 2
	v_mad_u64_u32 v[12:13], s[4:5], s38, v5, 0
	v_mad_u64_u32 v[8:9], s[4:5], s10, v26, v[8:9]
	v_mov_b32_e32 v14, v13
	v_mov_b32_e32 v7, v8
	v_mad_u64_u32 v[14:15], s[4:5], s10, v5, v[14:15]
	v_lshl_add_u64 v[6:7], v[6:7], 2, v[10:11]
	v_mov_b32_e32 v13, v14
	global_load_dwordx4 v[6:9], v[6:7], off
	v_lshl_add_u64 v[10:11], v[12:13], 2, v[10:11]
	global_load_dwordx4 v[10:13], v[10:11], off
	s_load_dword s4, s[0:1], 0x40
	v_lshlrev_b32_e32 v28, 3, v0
	v_lshlrev_b32_e32 v14, 9, v2
	v_add_u32_e32 v5, 0x4400, v28
	v_or_b32_e32 v15, 1, v4
	v_add_u32_e32 v16, v5, v14
	s_cmp_eq_u64 s[14:15], 0
	v_lshl_add_u32 v5, v15, 8, v5
	s_waitcnt vmcnt(1) lgkmcnt(0)
	v_fma_mixlo_f16 v6, s4, v6, 0
	v_fma_mixlo_f16 v7, s4, v7, 0
	;; [unrolled: 1-line block ×4, first 2 shown]
	s_waitcnt vmcnt(0)
	v_fma_mixlo_f16 v10, s4, v10, 0
	v_fma_mixlo_f16 v11, s4, v11, 0
	v_lshlrev_b32_e32 v7, 16, v7
	v_and_b32_e32 v6, 0xffff, v6
	v_fma_mixlo_f16 v12, s4, v12, 0
	v_fma_mixlo_f16 v13, s4, v13, 0
	v_lshlrev_b32_e32 v9, 16, v9
	v_and_b32_e32 v8, 0xffff, v8
	v_lshlrev_b32_e32 v11, 16, v11
	v_and_b32_e32 v10, 0xffff, v10
	v_or_b32_e32 v6, v7, v6
	v_lshlrev_b32_e32 v13, 16, v13
	v_and_b32_e32 v12, 0xffff, v12
	v_or3_b32 v7, v9, v8, 0
	v_or_b32_e32 v8, v11, v10
	v_or3_b32 v6, 0, 0, v6
	v_or3_b32 v9, v13, v12, 0
	;; [unrolled: 1-line block ×3, first 2 shown]
	ds_write_b64 v16, v[6:7]
	ds_write_b64 v5, v[8:9]
	s_waitcnt lgkmcnt(0)
	s_barrier
	s_cbranch_scc1 .LBB73_4
; %bb.3:
	s_load_dword s4, s[0:1], 0xd0
	s_mov_b32 s5, 0
	s_waitcnt lgkmcnt(0)
	s_mul_i32 s4, s4, s30
	s_add_i32 s4, s4, s2
	s_lshl_b64 s[4:5], s[4:5], 2
	s_add_u32 s4, s14, s4
	s_addc_u32 s5, s15, s5
	s_load_dword s24, s[4:5], 0x0
.LBB73_4:
	s_lshl_b32 s2, s3, 6
	s_waitcnt lgkmcnt(0)
	s_cmp_lt_i32 s2, s24
	v_mbcnt_lo_u32_b32 v24, -1, 0
	s_cbranch_scc1 .LBB73_19
; %bb.5:
	v_mbcnt_hi_u32_b32 v15, -1, v24
	v_and_b32_e32 v5, 0x60, v15
	v_add_u32_e32 v49, 32, v5
	v_xor_b32_e32 v54, 16, v15
	v_xor_b32_e32 v50, 8, v15
	;; [unrolled: 1-line block ×5, first 2 shown]
	v_lshlrev_b32_e32 v27, 2, v0
	s_cbranch_execz .LBB73_20
; %bb.6:
	v_mov_b32_e32 v3, 0
	v_mov_b32_e32 v25, 0xfeffffff
	;; [unrolled: 1-line block ×8, first 2 shown]
.LBB73_7:
	v_cmp_lt_i32_e32 vcc, v54, v49
	s_cmp_lg_u64 s[12:13], 0
	s_cselect_b64 s[4:5], -1, 0
	v_cndmask_b32_e32 v4, v15, v54, vcc
	v_lshlrev_b32_e32 v5, 2, v4
	ds_bpermute_b32 v4, v5, v2
	ds_bpermute_b32 v5, v5, v3
	v_cmp_lt_i32_e32 vcc, v50, v49
	s_cmp_eq_u32 s3, 0
	s_cselect_b64 s[6:7], -1, 0
	v_cndmask_b32_e32 v6, v15, v50, vcc
	v_lshlrev_b32_e32 v6, 2, v6
	s_waitcnt lgkmcnt(0)
	v_pk_add_f32 v[2:3], v[2:3], v[4:5]
	ds_bpermute_b32 v4, v6, v2
	ds_bpermute_b32 v5, v6, v3
	v_cmp_lt_i32_e32 vcc, v51, v49
	s_and_b64 s[4:5], s[6:7], s[4:5]
	s_waitcnt lgkmcnt(0)
	v_pk_add_f32 v[2:3], v[2:3], v[4:5]
	v_cndmask_b32_e32 v6, v15, v51, vcc
	v_lshlrev_b32_e32 v6, 2, v6
	ds_bpermute_b32 v4, v6, v2
	ds_bpermute_b32 v5, v6, v3
	v_cmp_lt_i32_e32 vcc, v52, v49
	s_waitcnt lgkmcnt(0)
	v_pk_add_f32 v[2:3], v[2:3], v[4:5]
	v_cndmask_b32_e32 v6, v15, v52, vcc
	v_lshlrev_b32_e32 v6, 2, v6
	ds_bpermute_b32 v4, v6, v2
	ds_bpermute_b32 v5, v6, v3
	v_cmp_lt_i32_e32 vcc, v53, v49
	s_waitcnt lgkmcnt(0)
	v_pk_add_f32 v[2:3], v[2:3], v[4:5]
	v_cndmask_b32_e32 v6, v15, v53, vcc
	v_lshlrev_b32_e32 v6, 2, v6
	ds_bpermute_b32 v4, v6, v2
	ds_bpermute_b32 v5, v6, v3
	s_and_b64 vcc, exec, s[4:5]
	s_waitcnt lgkmcnt(0)
	v_pk_add_f32 v[2:3], v[2:3], v[4:5]
	s_cbranch_vccz .LBB73_9
; %bb.8:
	v_add_u32_e32 v4, s25, v26
	v_ashrrev_i32_e32 v5, 31, v4
	v_lshl_add_u64 v[4:5], v[4:5], 2, s[12:13]
	global_load_dwordx2 v[4:5], v[4:5], off
	v_max_f32_e32 v6, v24, v24
	v_max_f32_e32 v7, v25, v25
	s_mov_b32 s2, 0x3fb8aa3b
	s_mov_b32 s4, 0xc2ce8ed0
	;; [unrolled: 1-line block ×3, first 2 shown]
	v_mov_b32_e32 v9, 0x7f800000
	s_waitcnt vmcnt(0)
	v_max_f32_e32 v8, v4, v4
	v_max_f32_e32 v6, v6, v8
	;; [unrolled: 1-line block ×3, first 2 shown]
	v_sub_f32_e32 v8, v24, v6
	v_max_f32_e32 v7, v7, v10
	v_sub_f32_e32 v10, v4, v6
	v_mul_f32_e32 v4, 0x3fb8aa3b, v8
	v_sub_f32_e32 v11, v25, v7
	v_sub_f32_e32 v12, v5, v7
	v_mul_f32_e32 v5, 0x3fb8aa3b, v10
	v_fma_f32 v15, v8, s2, -v4
	v_rndne_f32_e32 v16, v4
	v_mul_f32_e32 v13, 0x3fb8aa3b, v11
	v_fma_f32 v17, v10, s2, -v5
	v_rndne_f32_e32 v18, v5
	v_fmac_f32_e32 v15, 0x32a5705f, v8
	v_sub_f32_e32 v4, v4, v16
	v_mul_f32_e32 v14, 0x3fb8aa3b, v12
	v_fma_f32 v19, v11, s2, -v13
	v_rndne_f32_e32 v20, v13
	v_fmac_f32_e32 v17, 0x32a5705f, v10
	v_sub_f32_e32 v5, v5, v18
	v_add_f32_e32 v4, v4, v15
	v_fma_f32 v21, v12, s2, -v14
	v_rndne_f32_e32 v22, v14
	v_cvt_i32_f32_e32 v16, v16
	v_fmac_f32_e32 v19, 0x32a5705f, v11
	v_sub_f32_e32 v13, v13, v20
	v_add_f32_e32 v5, v5, v17
	v_exp_f32_e32 v4, v4
	v_cvt_i32_f32_e32 v18, v18
	v_fmac_f32_e32 v21, 0x32a5705f, v12
	v_sub_f32_e32 v14, v14, v22
	v_add_f32_e32 v13, v13, v19
	v_exp_f32_e32 v5, v5
	v_cvt_i32_f32_e32 v20, v20
	v_add_f32_e32 v14, v14, v21
	v_exp_f32_e32 v13, v13
	v_cvt_i32_f32_e32 v22, v22
	v_exp_f32_e32 v14, v14
	v_ldexp_f32 v4, v4, v16
	v_cmp_ngt_f32_e32 vcc, s4, v8
	v_ldexp_f32 v5, v5, v18
	v_ldexp_f32 v13, v13, v20
	v_cndmask_b32_e32 v4, 0, v4, vcc
	v_cmp_ngt_f32_e32 vcc, s4, v10
	v_ldexp_f32 v14, v14, v22
	v_mov_b64_e32 v[24:25], v[6:7]
	v_cndmask_b32_e32 v5, 0, v5, vcc
	v_cmp_ngt_f32_e32 vcc, s4, v11
	s_nop 1
	v_cndmask_b32_e32 v13, 0, v13, vcc
	v_cmp_ngt_f32_e32 vcc, s4, v12
	s_nop 1
	v_cndmask_b32_e32 v14, 0, v14, vcc
	v_cmp_nlt_f32_e32 vcc, s5, v8
	s_nop 1
	v_cndmask_b32_e32 v4, v9, v4, vcc
	v_cmp_nlt_f32_e32 vcc, s5, v10
	v_cvt_f16_f32_e32 v10, v4
	s_nop 0
	v_cndmask_b32_e32 v8, v9, v5, vcc
	v_cmp_nlt_f32_e32 vcc, s5, v11
	s_nop 1
	v_cndmask_b32_e32 v5, v9, v13, vcc
	v_cvt_f16_f32_e32 v11, v5
	v_cmp_nlt_f32_e32 vcc, s5, v12
	s_nop 1
	v_cndmask_b32_e32 v9, v9, v14, vcc
	v_pk_fma_f32 v[2:3], v[2:3], v[4:5], v[8:9]
	v_mul_u32_u24_e32 v4, 0x10001, v10
	v_mul_u32_u24_e32 v5, 0x10001, v11
	v_pk_mul_f16 v43, v43, v4
	v_pk_mul_f16 v44, v44, v4
	;; [unrolled: 1-line block ×4, first 2 shown]
.LBB73_9:
	v_cmp_gt_i32_e32 vcc, s22, v1
	s_and_saveexec_b64 s[4:5], vcc
	s_cbranch_execz .LBB73_18
; %bb.10:
	s_load_dword s6, s[0:1], 0xd4
	v_mov_b32_e32 v4, 1.0
	s_waitcnt lgkmcnt(0)
	s_cmp_lg_u32 s6, 1
	s_cselect_b64 s[0:1], -1, 0
	s_cmp_eq_u32 s6, 1
	s_cselect_b64 s[4:5], -1, 0
	s_and_b64 vcc, exec, s[0:1]
	s_cbranch_vccnz .LBB73_12
; %bb.11:
	v_div_scale_f32 v4, s[8:9], v2, v2, 1.0
	v_rcp_f32_e32 v5, v4
	v_div_scale_f32 v6, vcc, 1.0, v2, 1.0
	v_fma_f32 v7, -v4, v5, 1.0
	v_fmac_f32_e32 v5, v7, v5
	v_mul_f32_e32 v7, v6, v5
	v_fma_f32 v8, -v4, v7, v6
	v_fmac_f32_e32 v7, v8, v5
	v_fma_f32 v4, -v4, v7, v6
	v_div_fmas_f32 v4, v4, v5, v7
	v_div_fixup_f32 v4, v4, v2, 1.0
.LBB73_12:
	s_mul_i32 s30, s30, s22
	v_add_u32_e32 v1, s30, v1
	v_mul_lo_u32 v1, v1, s23
	v_add3_u32 v1, s25, v26, v1
	v_cvt_f32_f16_sdwa v9, v43 dst_sel:DWORD dst_unused:UNUSED_PAD src0_sel:WORD_1
	v_cvt_f32_f16_e32 v8, v43
	v_cvt_f32_f16_sdwa v11, v44 dst_sel:DWORD dst_unused:UNUSED_PAD src0_sel:WORD_1
	v_cvt_f32_f16_e32 v10, v44
	v_cmp_eq_u32_e32 vcc, 0, v0
	v_mul_lo_u32 v0, s6, v1
	v_add_u32_e32 v0, s3, v0
	v_lshl_add_u32 v6, v0, 7, v27
	v_mov_b32_e32 v7, 0
	s_and_b64 s[0:1], vcc, s[0:1]
	v_lshl_add_u64 v[12:13], v[6:7], 2, s[16:17]
	v_pk_mul_f32 v[6:7], v[4:5], v[8:9] op_sel_hi:[0,1]
	v_pk_mul_f32 v[8:9], v[4:5], v[10:11] op_sel_hi:[0,1]
	global_store_dwordx4 v[12:13], v[6:9], off
	s_and_saveexec_b64 s[2:3], s[0:1]
	s_cbranch_execz .LBB73_14
; %bb.13:
	v_ashrrev_i32_e32 v1, 31, v0
	v_lshl_add_u64 v[4:5], v[0:1], 3, s[18:19]
	v_mov_b32_e32 v6, v24
	v_mov_b32_e32 v7, v2
	global_store_dwordx2 v[4:5], v[6:7], off
.LBB73_14:
	s_or_b64 exec, exec, s[2:3]
	s_andn2_b64 vcc, exec, s[4:5]
	v_mov_b32_e32 v2, 1.0
	s_cbranch_vccnz .LBB73_16
; %bb.15:
	v_div_scale_f32 v1, s[2:3], v3, v3, 1.0
	v_rcp_f32_e32 v2, v1
	v_div_scale_f32 v4, vcc, 1.0, v3, 1.0
	v_fma_f32 v5, -v1, v2, 1.0
	v_fmac_f32_e32 v2, v5, v2
	v_mul_f32_e32 v5, v4, v2
	v_fma_f32 v6, -v1, v5, v4
	v_fmac_f32_e32 v5, v6, v2
	v_fma_f32 v1, -v1, v5, v4
	v_div_fmas_f32 v1, v1, v2, v5
	v_div_fixup_f32 v2, v1, v3, 1.0
.LBB73_16:
	v_cvt_f32_f16_sdwa v7, v41 dst_sel:DWORD dst_unused:UNUSED_PAD src0_sel:WORD_1
	v_cvt_f32_f16_e32 v6, v41
	v_cvt_f32_f16_sdwa v9, v42 dst_sel:DWORD dst_unused:UNUSED_PAD src0_sel:WORD_1
	v_cvt_f32_f16_e32 v8, v42
	v_add_u32_e32 v0, s6, v0
	v_lshl_add_u32 v4, v0, 7, v27
	v_mov_b32_e32 v5, 0
	v_lshl_add_u64 v[10:11], v[4:5], 2, s[16:17]
	v_pk_mul_f32 v[4:5], v[2:3], v[6:7] op_sel_hi:[0,1]
	v_pk_mul_f32 v[6:7], v[2:3], v[8:9] op_sel_hi:[0,1]
	global_store_dwordx4 v[10:11], v[4:7], off
	s_and_b64 exec, exec, s[0:1]
	s_cbranch_execz .LBB73_18
; %bb.17:
	v_ashrrev_i32_e32 v1, 31, v0
	v_lshl_add_u64 v[0:1], v[0:1], 3, s[18:19]
	v_mov_b32_e32 v2, v25
	global_store_dwordx2 v[0:1], v[2:3], off
.LBB73_18:
	s_endpgm
.LBB73_19:
                                        ; implicit-def: $vgpr15
                                        ; implicit-def: $vgpr49
                                        ; implicit-def: $vgpr54
                                        ; implicit-def: $vgpr50
                                        ; implicit-def: $vgpr51
                                        ; implicit-def: $vgpr52
                                        ; implicit-def: $vgpr53
	v_lshlrev_b32_e32 v27, 2, v0
.LBB73_20:
	s_sub_i32 s4, 0, s31
	s_mul_i32 s4, s4, s34
	s_mul_hi_u32 s4, s34, s4
	s_add_i32 s34, s34, s4
	s_load_dwordx4 s[36:39], s[0:1], 0x98
	s_load_dword s10, s[0:1], 0x54
	s_load_dwordx2 s[4:5], s[0:1], 0x8c
	s_ashr_i32 s28, s33, 31
	s_abs_i32 s15, s25
	s_waitcnt lgkmcnt(0)
	s_ashr_i32 s11, s38, 2
	s_mul_hi_u32 s33, s36, s30
	s_ashr_i32 s14, s4, 2
	s_ashr_i32 s4, s30, 31
	s_mul_i32 s38, s36, s4
	s_add_i32 s33, s33, s38
	s_mul_i32 s37, s37, s30
	s_ashr_i32 s21, s25, 31
	s_ashr_i32 s29, s29, 1
	s_add_i32 s33, s33, s37
	s_mul_i32 s36, s36, s30
	s_mul_hi_u32 s20, s15, s34
	s_add_u32 s6, s6, s36
	s_addc_u32 s7, s7, s33
	s_xor_b32 s21, s21, s28
	s_mul_i32 s28, s20, s31
	s_sub_i32 s15, s15, s28
	s_add_i32 s28, s20, 1
	s_sub_i32 s33, s15, s31
	s_cmp_ge_u32 s15, s31
	s_cselect_b32 s20, s28, s20
	s_cselect_b32 s15, s33, s15
	s_add_i32 s28, s20, 1
	s_cmp_ge_u32 s15, s31
	s_load_dwordx2 s[34:35], s[0:1], 0xa8
	s_cselect_b32 s15, s28, s20
	s_xor_b32 s15, s15, s21
	s_sub_i32 s21, s15, s21
	s_mul_i32 s5, s21, s5
	s_ashr_i32 s20, s5, 31
	s_add_u32 s15, s6, s5
	s_waitcnt lgkmcnt(0)
	s_mul_hi_u32 s5, s34, s30
	s_mul_i32 s4, s34, s4
	s_addc_u32 s20, s7, s20
	s_add_i32 s4, s5, s4
	s_mul_i32 s5, s35, s30
	s_add_i32 s4, s4, s5
	s_mul_i32 s5, s34, s30
	s_add_u32 s5, s8, s5
	s_mul_i32 s21, s21, s39
	s_addc_u32 s4, s9, s4
	s_ashr_i32 s6, s21, 31
	v_lshrrev_b32_e32 v5, 4, v0
	s_add_u32 s8, s5, s21
	v_add_u32_e32 v16, v5, v4
	v_and_b32_e32 v4, 60, v27
	s_addc_u32 s9, s4, s6
	v_lshlrev_b32_e32 v17, 2, v4
	s_movk_i32 s4, 0x110
	v_mad_u32_u24 v29, v16, s4, v17
	v_mul_lo_u32 v6, s14, v16
	s_lshl_b32 s4, s14, 4
	v_add_u32_e32 v8, s4, v6
	v_add_u32_e32 v10, s4, v8
	;; [unrolled: 1-line block ×4, first 2 shown]
	v_mad_u64_u32 v[14:15], s[4:5], v3, s29, v[0:1]
	v_lshl_or_b32 v35, v16, 8, v17
	v_mul_lo_u32 v16, s11, v16
	s_lshl_b32 s4, s11, 4
	v_add_u32_e32 v18, s4, v16
	v_mov_b32_e32 v3, 0x5400
	v_add_u32_e32 v20, s4, v18
	v_mov_b32_e32 v5, 0
	v_lshl_add_u32 v34, v2, 8, v3
	v_add_u32_e32 v22, s4, v20
	s_add_u32 s4, s0, 0xd0
                                        ; implicit-def: $vgpr2
                                        ; implicit-def: $vgpr2
	;; [unrolled: 1-line block ×3, first 2 shown]
	v_ashrrev_i32_e32 v7, 31, v6
	v_ashrrev_i32_e32 v9, 31, v8
	v_add_u32_e32 v30, 0x2200, v29
	v_ashrrev_i32_e32 v11, 31, v10
	v_add_u32_e32 v31, 0x3300, v29
	v_ashrrev_i32_e32 v13, 31, v12
	v_mul_u32_u24_e32 v33, 0x110, v0
	v_ashrrev_i32_e32 v17, 31, v16
	v_add_u32_e32 v36, 0x1000, v35
	v_ashrrev_i32_e32 v19, 31, v18
	v_add_u32_e32 v37, 0x2000, v35
	;; [unrolled: 2-line block ×3, first 2 shown]
	v_ashrrev_i32_e32 v23, 31, v22
	s_addc_u32 s5, s1, 0
	v_mov_b32_e32 v46, 0xfeffffff
	v_lshlrev_b32_e32 v4, 2, v4
	s_mov_b32 s21, 0x3f200000
	s_mov_b32 s28, 0x3fb8aa3b
	;; [unrolled: 1-line block ×4, first 2 shown]
	v_mov_b32_e32 v39, 0x3ca908c9
	s_brev_b32 s33, -2
	s_mov_b32 s34, 0x10001
	v_mov_b32_e32 v40, 0x7f800000
	v_mbcnt_hi_u32_b32 v15, -1, v24
	v_mov_b32_e32 v42, v5
	v_mov_b32_e32 v41, v5
	;; [unrolled: 1-line block ×7, first 2 shown]
.LBB73_21:                              ; =>This Inner Loop Header: Depth=1
	s_mul_hi_i32 s7, s2, s14
	s_mul_i32 s6, s2, s14
	s_lshl_b64 s[6:7], s[6:7], 2
	s_add_u32 s6, s15, s6
	s_addc_u32 s7, s20, s7
	v_lshl_add_u64 v[24:25], v[6:7], 2, s[6:7]
	v_lshl_add_u64 v[24:25], v[24:25], 0, v[4:5]
	;; [unrolled: 1-line block ×4, first 2 shown]
	global_load_dwordx4 v[50:53], v[24:25], off
	global_load_dwordx4 v[54:57], v[48:49], off
	v_lshl_add_u64 v[24:25], v[10:11], 2, s[6:7]
	v_lshl_add_u64 v[24:25], v[24:25], 0, v[4:5]
	;; [unrolled: 1-line block ×4, first 2 shown]
	global_load_dwordx4 v[58:61], v[24:25], off
	global_load_dwordx4 v[62:65], v[48:49], off
	v_add_u32_e32 v24, 0x1100, v29
	v_mov_b32_e32 v49, 0
	v_mov_b32_e32 v47, 0
	;; [unrolled: 1-line block ×3, first 2 shown]
	s_waitcnt vmcnt(3)
	ds_write_b128 v29, v[50:53]
	s_waitcnt vmcnt(2)
	ds_write_b128 v24, v[54:57]
	;; [unrolled: 2-line block ×4, first 2 shown]
	s_waitcnt lgkmcnt(0)
	s_barrier
	ds_read_b128 v[52:55], v33
	ds_read_b128 v[56:59], v32
	ds_read_b128 v[60:63], v33 offset:8704
	ds_read_b128 v[64:67], v32 offset:256
	s_waitcnt lgkmcnt(2)
	;;#ASMSTART
	v_dot2_f32_f16 v49, v52, v56, v49
	;;#ASMEND
	s_nop 0
	;;#ASMSTART
	v_dot2_f32_f16 v49, v53, v57, v49
	;;#ASMEND
	v_mov_b32_e32 v50, 0
	;;#ASMSTART
	v_dot2_f32_f16 v49, v54, v58, v49
	;;#ASMEND
                                        ; implicit-def: $vgpr51
	s_nop 0
	;;#ASMSTART
	v_dot2_f32_f16 v49, v55, v59, v49
	;;#ASMEND
	s_waitcnt lgkmcnt(0)
	;;#ASMSTART
	v_dot2_f32_f16 v47, v52, v64, v47
	;;#ASMEND
	s_nop 0
	;;#ASMSTART
	v_dot2_f32_f16 v47, v53, v65, v47
	;;#ASMEND
	s_nop 0
	;;#ASMSTART
	v_dot2_f32_f16 v47, v54, v66, v47
	;;#ASMEND
	s_nop 0
	;;#ASMSTART
	v_dot2_f32_f16 v47, v55, v67, v47
	;;#ASMEND
	;;#ASMSTART
	v_dot2_f32_f16 v50, v60, v56, v50
	;;#ASMEND
	s_nop 0
	;;#ASMSTART
	v_dot2_f32_f16 v50, v61, v57, v50
	;;#ASMEND
	s_nop 0
	;;#ASMSTART
	v_dot2_f32_f16 v50, v62, v58, v50
	;;#ASMEND
	s_nop 0
	;;#ASMSTART
	v_dot2_f32_f16 v50, v63, v59, v50
	;;#ASMEND
	;; [unrolled: 15-line block ×3, first 2 shown]
	ds_read_b128 v[52:55], v32 offset:16
	ds_read_b128 v[56:59], v33 offset:16
	;; [unrolled: 1-line block ×4, first 2 shown]
	s_waitcnt lgkmcnt(2)
	;;#ASMSTART
	v_dot2_f32_f16 v49, v56, v52, v49
	;;#ASMEND
	s_nop 0
	;;#ASMSTART
	v_dot2_f32_f16 v49, v57, v53, v49
	;;#ASMEND
	s_nop 0
	;; [unrolled: 4-line block ×3, first 2 shown]
	;;#ASMSTART
	v_dot2_f32_f16 v49, v59, v55, v49
	;;#ASMEND
	s_waitcnt lgkmcnt(0)
	;;#ASMSTART
	v_dot2_f32_f16 v47, v56, v64, v47
	;;#ASMEND
	s_nop 0
	;;#ASMSTART
	v_dot2_f32_f16 v47, v57, v65, v47
	;;#ASMEND
	s_nop 0
	;;#ASMSTART
	v_dot2_f32_f16 v47, v58, v66, v47
	;;#ASMEND
	s_nop 0
	;;#ASMSTART
	v_dot2_f32_f16 v47, v59, v67, v47
	;;#ASMEND
	;;#ASMSTART
	v_dot2_f32_f16 v50, v60, v52, v50
	;;#ASMEND
	s_nop 0
	;;#ASMSTART
	v_dot2_f32_f16 v50, v61, v53, v50
	;;#ASMEND
	s_nop 0
	;;#ASMSTART
	v_dot2_f32_f16 v50, v62, v54, v50
	;;#ASMEND
	s_nop 0
	;;#ASMSTART
	v_dot2_f32_f16 v50, v63, v55, v50
	;;#ASMEND
	;; [unrolled: 15-line block ×3, first 2 shown]
	ds_read_b128 v[52:55], v32 offset:32
	ds_read_b128 v[56:59], v33 offset:32
	;; [unrolled: 1-line block ×4, first 2 shown]
	s_waitcnt lgkmcnt(2)
	;;#ASMSTART
	v_dot2_f32_f16 v49, v56, v52, v49
	;;#ASMEND
	s_nop 0
	;;#ASMSTART
	v_dot2_f32_f16 v49, v57, v53, v49
	;;#ASMEND
	s_nop 0
	;; [unrolled: 4-line block ×3, first 2 shown]
	;;#ASMSTART
	v_dot2_f32_f16 v49, v59, v55, v49
	;;#ASMEND
	s_waitcnt lgkmcnt(0)
	;;#ASMSTART
	v_dot2_f32_f16 v47, v56, v64, v47
	;;#ASMEND
	s_nop 0
	;;#ASMSTART
	v_dot2_f32_f16 v47, v57, v65, v47
	;;#ASMEND
	s_nop 0
	;;#ASMSTART
	v_dot2_f32_f16 v47, v58, v66, v47
	;;#ASMEND
	s_nop 0
	;;#ASMSTART
	v_dot2_f32_f16 v47, v59, v67, v47
	;;#ASMEND
	;;#ASMSTART
	v_dot2_f32_f16 v50, v60, v52, v50
	;;#ASMEND
	s_nop 0
	;;#ASMSTART
	v_dot2_f32_f16 v50, v61, v53, v50
	;;#ASMEND
	s_nop 0
	;;#ASMSTART
	v_dot2_f32_f16 v50, v62, v54, v50
	;;#ASMEND
	s_nop 0
	;;#ASMSTART
	v_dot2_f32_f16 v50, v63, v55, v50
	;;#ASMEND
	;; [unrolled: 15-line block ×3, first 2 shown]
	ds_read_b128 v[52:55], v32 offset:48
	ds_read_b128 v[56:59], v33 offset:48
	;; [unrolled: 1-line block ×4, first 2 shown]
	s_waitcnt lgkmcnt(2)
	;;#ASMSTART
	v_dot2_f32_f16 v49, v56, v52, v49
	;;#ASMEND
	s_nop 0
	;;#ASMSTART
	v_dot2_f32_f16 v49, v57, v53, v49
	;;#ASMEND
	s_nop 0
	;; [unrolled: 4-line block ×3, first 2 shown]
	;;#ASMSTART
	v_dot2_f32_f16 v49, v59, v55, v49
	;;#ASMEND
	s_waitcnt lgkmcnt(0)
	;;#ASMSTART
	v_dot2_f32_f16 v47, v56, v64, v47
	;;#ASMEND
	s_nop 0
	;;#ASMSTART
	v_dot2_f32_f16 v47, v57, v65, v47
	;;#ASMEND
	s_nop 0
	;;#ASMSTART
	v_dot2_f32_f16 v47, v58, v66, v47
	;;#ASMEND
	s_nop 0
	;;#ASMSTART
	v_dot2_f32_f16 v47, v59, v67, v47
	;;#ASMEND
	;;#ASMSTART
	v_dot2_f32_f16 v50, v60, v52, v50
	;;#ASMEND
	s_nop 0
	;;#ASMSTART
	v_dot2_f32_f16 v50, v61, v53, v50
	;;#ASMEND
	s_nop 0
	;;#ASMSTART
	v_dot2_f32_f16 v50, v62, v54, v50
	;;#ASMEND
	s_nop 0
	;;#ASMSTART
	v_dot2_f32_f16 v50, v63, v55, v50
	;;#ASMEND
	;; [unrolled: 15-line block ×3, first 2 shown]
	ds_read_b128 v[52:55], v32 offset:64
	ds_read_b128 v[56:59], v33 offset:64
	;; [unrolled: 1-line block ×4, first 2 shown]
	s_waitcnt lgkmcnt(2)
	;;#ASMSTART
	v_dot2_f32_f16 v49, v56, v52, v49
	;;#ASMEND
	s_nop 0
	;;#ASMSTART
	v_dot2_f32_f16 v49, v57, v53, v49
	;;#ASMEND
	s_nop 0
	;; [unrolled: 4-line block ×3, first 2 shown]
	;;#ASMSTART
	v_dot2_f32_f16 v49, v59, v55, v49
	;;#ASMEND
	s_waitcnt lgkmcnt(0)
	;;#ASMSTART
	v_dot2_f32_f16 v47, v56, v64, v47
	;;#ASMEND
	s_nop 0
	;;#ASMSTART
	v_dot2_f32_f16 v47, v57, v65, v47
	;;#ASMEND
	s_nop 0
	;;#ASMSTART
	v_dot2_f32_f16 v47, v58, v66, v47
	;;#ASMEND
	s_nop 0
	;;#ASMSTART
	v_dot2_f32_f16 v47, v59, v67, v47
	;;#ASMEND
	;;#ASMSTART
	v_dot2_f32_f16 v50, v60, v52, v50
	;;#ASMEND
	s_nop 0
	;;#ASMSTART
	v_dot2_f32_f16 v50, v61, v53, v50
	;;#ASMEND
	s_nop 0
	;;#ASMSTART
	v_dot2_f32_f16 v50, v62, v54, v50
	;;#ASMEND
	s_nop 0
	;;#ASMSTART
	v_dot2_f32_f16 v50, v63, v55, v50
	;;#ASMEND
	;; [unrolled: 15-line block ×3, first 2 shown]
	ds_read_b128 v[52:55], v32 offset:80
	ds_read_b128 v[56:59], v33 offset:80
	ds_read_b128 v[60:63], v33 offset:8784
	ds_read_b128 v[64:67], v32 offset:336
	s_waitcnt lgkmcnt(2)
	;;#ASMSTART
	v_dot2_f32_f16 v49, v56, v52, v49
	;;#ASMEND
	s_nop 0
	;;#ASMSTART
	v_dot2_f32_f16 v49, v57, v53, v49
	;;#ASMEND
	s_nop 0
	;; [unrolled: 4-line block ×3, first 2 shown]
	;;#ASMSTART
	v_dot2_f32_f16 v49, v59, v55, v49
	;;#ASMEND
	s_waitcnt lgkmcnt(0)
	;;#ASMSTART
	v_dot2_f32_f16 v47, v56, v64, v47
	;;#ASMEND
	s_nop 0
	;;#ASMSTART
	v_dot2_f32_f16 v47, v57, v65, v47
	;;#ASMEND
	s_nop 0
	;;#ASMSTART
	v_dot2_f32_f16 v47, v58, v66, v47
	;;#ASMEND
	s_nop 0
	;;#ASMSTART
	v_dot2_f32_f16 v47, v59, v67, v47
	;;#ASMEND
	;;#ASMSTART
	v_dot2_f32_f16 v50, v60, v52, v50
	;;#ASMEND
	s_nop 0
	;;#ASMSTART
	v_dot2_f32_f16 v50, v61, v53, v50
	;;#ASMEND
	s_nop 0
	;;#ASMSTART
	v_dot2_f32_f16 v50, v62, v54, v50
	;;#ASMEND
	s_nop 0
	;;#ASMSTART
	v_dot2_f32_f16 v50, v63, v55, v50
	;;#ASMEND
	;; [unrolled: 15-line block ×3, first 2 shown]
	ds_read_b128 v[52:55], v32 offset:96
	ds_read_b128 v[56:59], v33 offset:96
	;; [unrolled: 1-line block ×4, first 2 shown]
	s_waitcnt lgkmcnt(2)
	;;#ASMSTART
	v_dot2_f32_f16 v49, v56, v52, v49
	;;#ASMEND
	s_nop 0
	;;#ASMSTART
	v_dot2_f32_f16 v49, v57, v53, v49
	;;#ASMEND
	s_nop 0
	;; [unrolled: 4-line block ×3, first 2 shown]
	;;#ASMSTART
	v_dot2_f32_f16 v49, v59, v55, v49
	;;#ASMEND
	s_waitcnt lgkmcnt(0)
	;;#ASMSTART
	v_dot2_f32_f16 v47, v56, v64, v47
	;;#ASMEND
	s_nop 0
	;;#ASMSTART
	v_dot2_f32_f16 v47, v57, v65, v47
	;;#ASMEND
	s_nop 0
	;;#ASMSTART
	v_dot2_f32_f16 v47, v58, v66, v47
	;;#ASMEND
	s_nop 0
	;;#ASMSTART
	v_dot2_f32_f16 v47, v59, v67, v47
	;;#ASMEND
	;;#ASMSTART
	v_dot2_f32_f16 v50, v60, v52, v50
	;;#ASMEND
	s_nop 0
	;;#ASMSTART
	v_dot2_f32_f16 v50, v61, v53, v50
	;;#ASMEND
	s_nop 0
	;;#ASMSTART
	v_dot2_f32_f16 v50, v62, v54, v50
	;;#ASMEND
	s_nop 0
	;;#ASMSTART
	v_dot2_f32_f16 v50, v63, v55, v50
	;;#ASMEND
	;; [unrolled: 15-line block ×3, first 2 shown]
	ds_read_b128 v[52:55], v32 offset:112
	ds_read_b128 v[56:59], v33 offset:112
	;; [unrolled: 1-line block ×4, first 2 shown]
	s_waitcnt lgkmcnt(2)
	;;#ASMSTART
	v_dot2_f32_f16 v49, v56, v52, v49
	;;#ASMEND
	s_nop 0
	;;#ASMSTART
	v_dot2_f32_f16 v49, v57, v53, v49
	;;#ASMEND
	s_nop 0
	;; [unrolled: 4-line block ×3, first 2 shown]
	;;#ASMSTART
	v_dot2_f32_f16 v49, v59, v55, v49
	;;#ASMEND
	s_waitcnt lgkmcnt(0)
	;;#ASMSTART
	v_dot2_f32_f16 v47, v56, v64, v47
	;;#ASMEND
	s_nop 0
	;;#ASMSTART
	v_dot2_f32_f16 v47, v57, v65, v47
	;;#ASMEND
	s_nop 0
	;;#ASMSTART
	v_dot2_f32_f16 v47, v58, v66, v47
	;;#ASMEND
	s_nop 0
	;;#ASMSTART
	v_dot2_f32_f16 v47, v59, v67, v47
	;;#ASMEND
	;;#ASMSTART
	v_dot2_f32_f16 v50, v60, v52, v50
	;;#ASMEND
	s_nop 0
	;;#ASMSTART
	v_dot2_f32_f16 v50, v61, v53, v50
	;;#ASMEND
	s_nop 0
	;;#ASMSTART
	v_dot2_f32_f16 v50, v62, v54, v50
	;;#ASMEND
	s_nop 0
	;;#ASMSTART
	v_dot2_f32_f16 v50, v63, v55, v50
	;;#ASMEND
	;; [unrolled: 15-line block ×3, first 2 shown]
	ds_read_b128 v[52:55], v32 offset:128
	ds_read_b128 v[56:59], v33 offset:128
	ds_read_b128 v[60:63], v33 offset:8832
	ds_read_b128 v[64:67], v32 offset:384
	s_waitcnt lgkmcnt(2)
	;;#ASMSTART
	v_dot2_f32_f16 v49, v56, v52, v49
	;;#ASMEND
	s_nop 0
	;;#ASMSTART
	v_dot2_f32_f16 v49, v57, v53, v49
	;;#ASMEND
	s_nop 0
	;; [unrolled: 4-line block ×3, first 2 shown]
	;;#ASMSTART
	v_dot2_f32_f16 v49, v59, v55, v49
	;;#ASMEND
	s_waitcnt lgkmcnt(0)
	;;#ASMSTART
	v_dot2_f32_f16 v47, v56, v64, v47
	;;#ASMEND
	s_nop 0
	;;#ASMSTART
	v_dot2_f32_f16 v47, v57, v65, v47
	;;#ASMEND
	s_nop 0
	;;#ASMSTART
	v_dot2_f32_f16 v47, v58, v66, v47
	;;#ASMEND
	s_nop 0
	;;#ASMSTART
	v_dot2_f32_f16 v47, v59, v67, v47
	;;#ASMEND
	;;#ASMSTART
	v_dot2_f32_f16 v50, v60, v52, v50
	;;#ASMEND
	s_nop 0
	;;#ASMSTART
	v_dot2_f32_f16 v50, v61, v53, v50
	;;#ASMEND
	s_nop 0
	;;#ASMSTART
	v_dot2_f32_f16 v50, v62, v54, v50
	;;#ASMEND
	s_nop 0
	;;#ASMSTART
	v_dot2_f32_f16 v50, v63, v55, v50
	;;#ASMEND
	;; [unrolled: 15-line block ×3, first 2 shown]
	ds_read_b128 v[52:55], v32 offset:144
	ds_read_b128 v[56:59], v33 offset:144
	;; [unrolled: 1-line block ×4, first 2 shown]
	s_waitcnt lgkmcnt(2)
	;;#ASMSTART
	v_dot2_f32_f16 v49, v56, v52, v49
	;;#ASMEND
	s_nop 0
	;;#ASMSTART
	v_dot2_f32_f16 v49, v57, v53, v49
	;;#ASMEND
	s_nop 0
	;;#ASMSTART
	v_dot2_f32_f16 v49, v58, v54, v49
	;;#ASMEND
	s_nop 0
	;;#ASMSTART
	v_dot2_f32_f16 v49, v59, v55, v49
	;;#ASMEND
	s_waitcnt lgkmcnt(0)
	;;#ASMSTART
	v_dot2_f32_f16 v47, v56, v64, v47
	;;#ASMEND
	s_nop 0
	;;#ASMSTART
	v_dot2_f32_f16 v47, v57, v65, v47
	;;#ASMEND
	s_nop 0
	;;#ASMSTART
	v_dot2_f32_f16 v47, v58, v66, v47
	;;#ASMEND
	s_nop 0
	;;#ASMSTART
	v_dot2_f32_f16 v47, v59, v67, v47
	;;#ASMEND
	;;#ASMSTART
	v_dot2_f32_f16 v50, v60, v52, v50
	;;#ASMEND
	s_nop 0
	;;#ASMSTART
	v_dot2_f32_f16 v50, v61, v53, v50
	;;#ASMEND
	s_nop 0
	;;#ASMSTART
	v_dot2_f32_f16 v50, v62, v54, v50
	;;#ASMEND
	s_nop 0
	;;#ASMSTART
	v_dot2_f32_f16 v50, v63, v55, v50
	;;#ASMEND
	;; [unrolled: 15-line block ×3, first 2 shown]
	ds_read_b128 v[52:55], v32 offset:160
	ds_read_b128 v[56:59], v33 offset:160
	;; [unrolled: 1-line block ×4, first 2 shown]
	s_waitcnt lgkmcnt(2)
	;;#ASMSTART
	v_dot2_f32_f16 v49, v56, v52, v49
	;;#ASMEND
	s_nop 0
	;;#ASMSTART
	v_dot2_f32_f16 v49, v57, v53, v49
	;;#ASMEND
	s_nop 0
	;; [unrolled: 4-line block ×3, first 2 shown]
	;;#ASMSTART
	v_dot2_f32_f16 v49, v59, v55, v49
	;;#ASMEND
	s_waitcnt lgkmcnt(0)
	;;#ASMSTART
	v_dot2_f32_f16 v47, v56, v64, v47
	;;#ASMEND
	s_nop 0
	;;#ASMSTART
	v_dot2_f32_f16 v47, v57, v65, v47
	;;#ASMEND
	s_nop 0
	;;#ASMSTART
	v_dot2_f32_f16 v47, v58, v66, v47
	;;#ASMEND
	s_nop 0
	;;#ASMSTART
	v_dot2_f32_f16 v47, v59, v67, v47
	;;#ASMEND
	;;#ASMSTART
	v_dot2_f32_f16 v50, v60, v52, v50
	;;#ASMEND
	s_nop 0
	;;#ASMSTART
	v_dot2_f32_f16 v50, v61, v53, v50
	;;#ASMEND
	s_nop 0
	;;#ASMSTART
	v_dot2_f32_f16 v50, v62, v54, v50
	;;#ASMEND
	s_nop 0
	;;#ASMSTART
	v_dot2_f32_f16 v50, v63, v55, v50
	;;#ASMEND
	;; [unrolled: 15-line block ×3, first 2 shown]
	ds_read_b128 v[52:55], v32 offset:176
	ds_read_b128 v[56:59], v33 offset:176
	;; [unrolled: 1-line block ×4, first 2 shown]
	s_waitcnt lgkmcnt(2)
	;;#ASMSTART
	v_dot2_f32_f16 v49, v56, v52, v49
	;;#ASMEND
	s_nop 0
	;;#ASMSTART
	v_dot2_f32_f16 v49, v57, v53, v49
	;;#ASMEND
	s_nop 0
	;; [unrolled: 4-line block ×3, first 2 shown]
	;;#ASMSTART
	v_dot2_f32_f16 v49, v59, v55, v49
	;;#ASMEND
	s_waitcnt lgkmcnt(0)
	;;#ASMSTART
	v_dot2_f32_f16 v47, v56, v64, v47
	;;#ASMEND
	s_nop 0
	;;#ASMSTART
	v_dot2_f32_f16 v47, v57, v65, v47
	;;#ASMEND
	s_nop 0
	;;#ASMSTART
	v_dot2_f32_f16 v47, v58, v66, v47
	;;#ASMEND
	s_nop 0
	;;#ASMSTART
	v_dot2_f32_f16 v47, v59, v67, v47
	;;#ASMEND
	;;#ASMSTART
	v_dot2_f32_f16 v50, v60, v52, v50
	;;#ASMEND
	s_nop 0
	;;#ASMSTART
	v_dot2_f32_f16 v50, v61, v53, v50
	;;#ASMEND
	s_nop 0
	;;#ASMSTART
	v_dot2_f32_f16 v50, v62, v54, v50
	;;#ASMEND
	s_nop 0
	;;#ASMSTART
	v_dot2_f32_f16 v50, v63, v55, v50
	;;#ASMEND
	;; [unrolled: 15-line block ×3, first 2 shown]
	ds_read_b128 v[52:55], v32 offset:192
	ds_read_b128 v[56:59], v33 offset:192
	;; [unrolled: 1-line block ×4, first 2 shown]
	s_waitcnt lgkmcnt(2)
	;;#ASMSTART
	v_dot2_f32_f16 v49, v56, v52, v49
	;;#ASMEND
	s_nop 0
	;;#ASMSTART
	v_dot2_f32_f16 v49, v57, v53, v49
	;;#ASMEND
	s_nop 0
	;; [unrolled: 4-line block ×3, first 2 shown]
	;;#ASMSTART
	v_dot2_f32_f16 v49, v59, v55, v49
	;;#ASMEND
	s_waitcnt lgkmcnt(0)
	;;#ASMSTART
	v_dot2_f32_f16 v47, v56, v64, v47
	;;#ASMEND
	s_nop 0
	;;#ASMSTART
	v_dot2_f32_f16 v47, v57, v65, v47
	;;#ASMEND
	s_nop 0
	;;#ASMSTART
	v_dot2_f32_f16 v47, v58, v66, v47
	;;#ASMEND
	s_nop 0
	;;#ASMSTART
	v_dot2_f32_f16 v47, v59, v67, v47
	;;#ASMEND
	;;#ASMSTART
	v_dot2_f32_f16 v50, v60, v52, v50
	;;#ASMEND
	s_nop 0
	;;#ASMSTART
	v_dot2_f32_f16 v50, v61, v53, v50
	;;#ASMEND
	s_nop 0
	;;#ASMSTART
	v_dot2_f32_f16 v50, v62, v54, v50
	;;#ASMEND
	s_nop 0
	;;#ASMSTART
	v_dot2_f32_f16 v50, v63, v55, v50
	;;#ASMEND
	;; [unrolled: 15-line block ×3, first 2 shown]
	ds_read_b128 v[52:55], v32 offset:208
	ds_read_b128 v[56:59], v33 offset:208
	;; [unrolled: 1-line block ×4, first 2 shown]
	s_waitcnt lgkmcnt(2)
	;;#ASMSTART
	v_dot2_f32_f16 v49, v56, v52, v49
	;;#ASMEND
	s_nop 0
	;;#ASMSTART
	v_dot2_f32_f16 v49, v57, v53, v49
	;;#ASMEND
	s_nop 0
	;; [unrolled: 4-line block ×3, first 2 shown]
	;;#ASMSTART
	v_dot2_f32_f16 v49, v59, v55, v49
	;;#ASMEND
	s_waitcnt lgkmcnt(0)
	;;#ASMSTART
	v_dot2_f32_f16 v47, v56, v64, v47
	;;#ASMEND
	s_nop 0
	;;#ASMSTART
	v_dot2_f32_f16 v47, v57, v65, v47
	;;#ASMEND
	s_nop 0
	;;#ASMSTART
	v_dot2_f32_f16 v47, v58, v66, v47
	;;#ASMEND
	s_nop 0
	;;#ASMSTART
	v_dot2_f32_f16 v47, v59, v67, v47
	;;#ASMEND
	;;#ASMSTART
	v_dot2_f32_f16 v50, v60, v52, v50
	;;#ASMEND
	s_nop 0
	;;#ASMSTART
	v_dot2_f32_f16 v50, v61, v53, v50
	;;#ASMEND
	s_nop 0
	;;#ASMSTART
	v_dot2_f32_f16 v50, v62, v54, v50
	;;#ASMEND
	s_nop 0
	;;#ASMSTART
	v_dot2_f32_f16 v50, v63, v55, v50
	;;#ASMEND
	;; [unrolled: 15-line block ×3, first 2 shown]
	ds_read_b128 v[52:55], v32 offset:224
	ds_read_b128 v[56:59], v33 offset:224
	;; [unrolled: 1-line block ×4, first 2 shown]
	s_waitcnt lgkmcnt(2)
	;;#ASMSTART
	v_dot2_f32_f16 v49, v56, v52, v49
	;;#ASMEND
	s_nop 0
	;;#ASMSTART
	v_dot2_f32_f16 v49, v57, v53, v49
	;;#ASMEND
	s_nop 0
	;; [unrolled: 4-line block ×3, first 2 shown]
	;;#ASMSTART
	v_dot2_f32_f16 v49, v59, v55, v49
	;;#ASMEND
	s_waitcnt lgkmcnt(0)
	;;#ASMSTART
	v_dot2_f32_f16 v47, v56, v64, v47
	;;#ASMEND
	s_nop 0
	;;#ASMSTART
	v_dot2_f32_f16 v47, v57, v65, v47
	;;#ASMEND
	s_nop 0
	;;#ASMSTART
	v_dot2_f32_f16 v47, v58, v66, v47
	;;#ASMEND
	s_nop 0
	;;#ASMSTART
	v_dot2_f32_f16 v47, v59, v67, v47
	;;#ASMEND
	;;#ASMSTART
	v_dot2_f32_f16 v50, v60, v52, v50
	;;#ASMEND
	s_nop 0
	;;#ASMSTART
	v_dot2_f32_f16 v50, v61, v53, v50
	;;#ASMEND
	s_nop 0
	;;#ASMSTART
	v_dot2_f32_f16 v50, v62, v54, v50
	;;#ASMEND
	s_nop 0
	;;#ASMSTART
	v_dot2_f32_f16 v50, v63, v55, v50
	;;#ASMEND
	;; [unrolled: 15-line block ×3, first 2 shown]
	ds_read_b128 v[52:55], v32 offset:240
	ds_read_b128 v[56:59], v33 offset:240
	;; [unrolled: 1-line block ×4, first 2 shown]
	s_waitcnt lgkmcnt(2)
	;;#ASMSTART
	v_dot2_f32_f16 v49, v56, v52, v49
	;;#ASMEND
	s_nop 0
	;;#ASMSTART
	v_dot2_f32_f16 v49, v57, v53, v49
	;;#ASMEND
	s_nop 0
	;; [unrolled: 4-line block ×3, first 2 shown]
	;;#ASMSTART
	v_dot2_f32_f16 v49, v59, v55, v49
	;;#ASMEND
	s_waitcnt lgkmcnt(0)
	;;#ASMSTART
	v_dot2_f32_f16 v47, v56, v64, v47
	;;#ASMEND
	s_nop 0
	;;#ASMSTART
	v_dot2_f32_f16 v47, v57, v65, v47
	;;#ASMEND
	v_cmp_nlt_f32_e64 s[6:7], |v49|, s21
	;;#ASMSTART
	v_dot2_f32_f16 v47, v58, v66, v47
	;;#ASMEND
	s_nop 0
	;;#ASMSTART
	v_dot2_f32_f16 v47, v59, v67, v47
	;;#ASMEND
	;;#ASMSTART
	v_dot2_f32_f16 v50, v60, v52, v50
	;;#ASMEND
	s_nop 0
	;;#ASMSTART
	v_dot2_f32_f16 v50, v61, v53, v50
	;;#ASMEND
	s_nop 0
	;;#ASMSTART
	v_dot2_f32_f16 v50, v62, v54, v50
	;;#ASMEND
	s_nop 0
	;;#ASMSTART
	v_dot2_f32_f16 v50, v63, v55, v50
	;;#ASMEND
	;;#ASMSTART
	v_dot2_f32_f16 v48, v60, v64, v48
	;;#ASMEND
	s_nop 0
	;;#ASMSTART
	v_dot2_f32_f16 v48, v61, v65, v48
	;;#ASMEND
	s_nop 0
	;; [unrolled: 4-line block ×3, first 2 shown]
	;;#ASMSTART
	v_dot2_f32_f16 v48, v63, v67, v48
	;;#ASMEND
	s_and_saveexec_b64 s[36:37], s[6:7]
	s_xor_b64 s[6:7], exec, s[36:37]
	s_cbranch_execz .LBB73_23
; %bb.22:                               ;   in Loop: Header=BB73_21 Depth=1
	v_add_f32_e64 v24, |v49|, |v49|
	v_mul_f32_e32 v25, 0x3fb8aa3b, v24
	v_rndne_f32_e32 v51, v25
	v_sub_f32_e32 v52, v25, v51
	v_fma_f32 v25, v24, s28, -v25
	v_fmac_f32_e32 v25, 0x32a5705f, v24
	v_add_f32_e32 v25, v52, v25
	v_cvt_i32_f32_e32 v51, v51
	v_exp_f32_e32 v25, v25
	v_cmp_ngt_f32_e32 vcc, s29, v24
	v_ldexp_f32 v25, v25, v51
	s_nop 0
	v_cndmask_b32_e32 v25, 0, v25, vcc
	v_cmp_nlt_f32_e32 vcc, s31, v24
	s_nop 1
	v_cndmask_b32_e32 v24, v40, v25, vcc
	v_add_f32_e32 v24, 1.0, v24
	v_rcp_f32_e32 v24, v24
	s_nop 0
	v_fma_f32 v51, v24, -2.0, 1.0
.LBB73_23:                              ;   in Loop: Header=BB73_21 Depth=1
	s_andn2_saveexec_b64 s[6:7], s[6:7]
; %bb.24:                               ;   in Loop: Header=BB73_21 Depth=1
	v_mul_f32_e32 v24, v49, v49
	v_fmamk_f32 v25, v24, 0xbbbac73d, v39
	v_fmaak_f32 v25, v24, v25, 0xbd5c1c4e
	v_fmaak_f32 v25, v24, v25, 0x3e088382
	;; [unrolled: 1-line block ×3, first 2 shown]
	v_mul_f32_e64 v25, |v49|, v25
	v_fma_f32 v51, v24, v25, |v49|
; %bb.25:                               ;   in Loop: Header=BB73_21 Depth=1
	s_or_b64 exec, exec, s[6:7]
	v_add_u32_e32 v24, s2, v14
	v_ashrrev_i32_e32 v25, 31, v24
	v_lshl_add_u64 v[24:25], v[24:25], 1, s[26:27]
	global_load_ushort v55, v[24:25], off
	v_cmp_nlt_f32_e64 s[6:7], |v50|, s21
                                        ; implicit-def: $vgpr52
	s_and_saveexec_b64 s[36:37], s[6:7]
	s_xor_b64 s[6:7], exec, s[36:37]
	s_cbranch_execz .LBB73_27
; %bb.26:                               ;   in Loop: Header=BB73_21 Depth=1
	v_add_f32_e64 v52, |v50|, |v50|
	v_mul_f32_e32 v53, 0x3fb8aa3b, v52
	v_rndne_f32_e32 v54, v53
	v_sub_f32_e32 v56, v53, v54
	v_fma_f32 v53, v52, s28, -v53
	v_fmac_f32_e32 v53, 0x32a5705f, v52
	v_add_f32_e32 v53, v56, v53
	v_cvt_i32_f32_e32 v54, v54
	v_exp_f32_e32 v53, v53
	v_cmp_ngt_f32_e32 vcc, s29, v52
	v_ldexp_f32 v53, v53, v54
	s_nop 0
	v_cndmask_b32_e32 v53, 0, v53, vcc
	v_cmp_nlt_f32_e32 vcc, s31, v52
	s_nop 1
	v_cndmask_b32_e32 v52, v40, v53, vcc
	v_add_f32_e32 v52, 1.0, v52
	v_rcp_f32_e32 v52, v52
	s_nop 0
	v_fma_f32 v52, v52, -2.0, 1.0
.LBB73_27:                              ;   in Loop: Header=BB73_21 Depth=1
	s_andn2_saveexec_b64 s[6:7], s[6:7]
; %bb.28:                               ;   in Loop: Header=BB73_21 Depth=1
	v_mul_f32_e32 v52, v50, v50
	v_fmamk_f32 v53, v52, 0xbbbac73d, v39
	v_fmaak_f32 v53, v52, v53, 0xbd5c1c4e
	v_fmaak_f32 v53, v52, v53, 0x3e088382
	;; [unrolled: 1-line block ×3, first 2 shown]
	v_mul_f32_e64 v53, |v50|, v53
	v_fma_f32 v52, v52, v53, |v50|
; %bb.29:                               ;   in Loop: Header=BB73_21 Depth=1
	s_or_b64 exec, exec, s[6:7]
	global_load_ushort v61, v[24:25], off offset:64
	v_bfi_b32 v24, s33, v51, v49
	s_waitcnt vmcnt(1)
	v_fma_mix_f32 v56, s10, v24, v55 op_sel_hi:[0,0,1]
	v_and_b32_e32 v24, 0x60, v15
	v_add_u32_e32 v49, 32, v24
	v_xor_b32_e32 v54, 16, v15
	v_bfi_b32 v25, s33, v52, v50
	v_cmp_lt_i32_e32 vcc, v54, v49
	v_add_f32_e32 v51, 0x40051340, v56
	v_cmp_nlt_f32_e64 s[6:7], |v47|, s21
	v_cndmask_b32_e32 v24, v15, v54, vcc
	v_lshlrev_b32_e32 v24, 2, v24
                                        ; implicit-def: $vgpr64
	s_waitcnt vmcnt(0)
	v_fma_mix_f32 v25, s10, v25, v61 op_sel_hi:[0,0,1]
	v_add_f32_e32 v50, 0x40051340, v25
	v_max3_f32 v51, v46, v51, v50
	ds_bpermute_b32 v52, v24, v51
	v_xor_b32_e32 v50, 8, v15
	v_cmp_lt_i32_e32 vcc, v50, v49
	s_waitcnt lgkmcnt(0)
	v_max_f32_e32 v52, v52, v52
	v_cndmask_b32_e32 v53, v15, v50, vcc
	v_lshlrev_b32_e32 v60, 2, v53
	v_max_f32_e32 v52, v51, v52
	ds_bpermute_b32 v53, v60, v52
	v_xor_b32_e32 v51, 4, v15
	v_cmp_lt_i32_e32 vcc, v51, v49
	s_waitcnt lgkmcnt(0)
	v_max_f32_e32 v53, v53, v53
	v_cndmask_b32_e32 v57, v15, v51, vcc
	v_lshlrev_b32_e32 v59, 2, v57
	v_max_f32_e32 v53, v52, v53
	;; [unrolled: 8-line block ×4, first 2 shown]
	ds_bpermute_b32 v63, v57, v62
	s_and_saveexec_b64 s[36:37], s[6:7]
	s_xor_b64 s[6:7], exec, s[36:37]
	s_cbranch_execz .LBB73_31
; %bb.30:                               ;   in Loop: Header=BB73_21 Depth=1
	v_add_f32_e64 v64, |v47|, |v47|
	v_mul_f32_e32 v65, 0x3fb8aa3b, v64
	v_rndne_f32_e32 v66, v65
	v_sub_f32_e32 v67, v65, v66
	v_fma_f32 v65, v64, s28, -v65
	v_fmac_f32_e32 v65, 0x32a5705f, v64
	v_add_f32_e32 v65, v67, v65
	v_cvt_i32_f32_e32 v66, v66
	v_exp_f32_e32 v65, v65
	v_cmp_ngt_f32_e32 vcc, s29, v64
	v_ldexp_f32 v65, v65, v66
	s_nop 0
	v_cndmask_b32_e32 v65, 0, v65, vcc
	v_cmp_nlt_f32_e32 vcc, s31, v64
	s_nop 1
	v_cndmask_b32_e32 v64, v40, v65, vcc
	v_add_f32_e32 v64, 1.0, v64
	v_rcp_f32_e32 v64, v64
	s_nop 0
	v_fma_f32 v64, v64, -2.0, 1.0
.LBB73_31:                              ;   in Loop: Header=BB73_21 Depth=1
	s_andn2_saveexec_b64 s[6:7], s[6:7]
; %bb.32:                               ;   in Loop: Header=BB73_21 Depth=1
	v_mul_f32_e32 v64, v47, v47
	v_fmamk_f32 v65, v64, 0xbbbac73d, v39
	v_fmaak_f32 v65, v64, v65, 0xbd5c1c4e
	v_fmaak_f32 v65, v64, v65, 0x3e088382
	;; [unrolled: 1-line block ×3, first 2 shown]
	v_mul_f32_e64 v65, |v47|, v65
	v_fma_f32 v64, v64, v65, |v47|
; %bb.33:                               ;   in Loop: Header=BB73_21 Depth=1
	s_or_b64 exec, exec, s[6:7]
	v_cmp_nlt_f32_e64 s[6:7], |v48|, s21
                                        ; implicit-def: $vgpr65
	s_and_saveexec_b64 s[36:37], s[6:7]
	s_xor_b64 s[6:7], exec, s[36:37]
	s_cbranch_execz .LBB73_35
; %bb.34:                               ;   in Loop: Header=BB73_21 Depth=1
	v_add_f32_e64 v65, |v48|, |v48|
	v_mul_f32_e32 v66, 0x3fb8aa3b, v65
	v_rndne_f32_e32 v67, v66
	v_sub_f32_e32 v68, v66, v67
	v_fma_f32 v66, v65, s28, -v66
	v_fmac_f32_e32 v66, 0x32a5705f, v65
	v_add_f32_e32 v66, v68, v66
	v_cvt_i32_f32_e32 v67, v67
	v_exp_f32_e32 v66, v66
	v_cmp_ngt_f32_e32 vcc, s29, v65
	v_ldexp_f32 v66, v66, v67
	s_nop 0
	v_cndmask_b32_e32 v66, 0, v66, vcc
	v_cmp_nlt_f32_e32 vcc, s31, v65
	s_nop 1
	v_cndmask_b32_e32 v65, v40, v66, vcc
	v_add_f32_e32 v65, 1.0, v65
	v_rcp_f32_e32 v65, v65
	s_nop 0
	v_fma_f32 v65, v65, -2.0, 1.0
.LBB73_35:                              ;   in Loop: Header=BB73_21 Depth=1
	s_andn2_saveexec_b64 s[6:7], s[6:7]
; %bb.36:                               ;   in Loop: Header=BB73_21 Depth=1
	v_mul_f32_e32 v65, v48, v48
	v_fmamk_f32 v66, v65, 0xbbbac73d, v39
	v_fmaak_f32 v66, v65, v66, 0xbd5c1c4e
	v_fmaak_f32 v66, v65, v66, 0x3e088382
	;; [unrolled: 1-line block ×3, first 2 shown]
	v_mul_f32_e64 v66, |v48|, v66
	v_fma_f32 v65, v65, v66, |v48|
; %bb.37:                               ;   in Loop: Header=BB73_21 Depth=1
	s_or_b64 exec, exec, s[6:7]
	v_cvt_f32_f16_e32 v55, v55
	v_cvt_f32_f16_e32 v78, v61
	v_bfi_b32 v47, s33, v64, v47
	v_bfi_b32 v48, s33, v65, v48
	v_fmac_f32_e32 v55, s10, v47
	v_fmac_f32_e32 v78, s10, v48
	v_add_f32_e32 v47, 0x40051340, v55
	v_add_f32_e32 v48, 0x40051340, v78
	v_max3_f32 v47, v45, v47, v48
	ds_bpermute_b32 v24, v24, v47
	s_waitcnt lgkmcnt(1)
	v_max_f32_e32 v48, v63, v63
	v_max_f32_e32 v61, v62, v62
	s_mul_hi_i32 s7, s2, s11
	s_mul_i32 s6, s2, s11
	s_waitcnt lgkmcnt(0)
	v_max_f32_e32 v24, v24, v24
	v_max_f32_e32 v47, v47, v24
	ds_bpermute_b32 v60, v60, v47
	v_max_f32_e32 v24, v61, v48
	v_sub_f32_e32 v48, v56, v24
	v_sub_f32_e32 v80, v25, v24
	v_sub_f32_e32 v79, v46, v24
	s_waitcnt lgkmcnt(0)
	v_max_f32_e32 v56, v60, v60
	v_max_f32_e32 v47, v47, v56
	ds_bpermute_b32 v56, v59, v47
	v_mul_f32_e32 v59, 0x3fb8aa3b, v48
	v_fma_f32 v60, v48, s28, -v59
	v_rndne_f32_e32 v61, v59
	v_fmac_f32_e32 v60, 0x32a5705f, v48
	s_waitcnt lgkmcnt(0)
	v_max_f32_e32 v56, v56, v56
	v_max_f32_e32 v47, v47, v56
	ds_bpermute_b32 v56, v58, v47
	v_sub_f32_e32 v58, v59, v61
	v_mul_f32_e32 v46, 0x3fb8aa3b, v80
	s_lshl_b64 s[6:7], s[6:7], 2
	v_add_f32_e32 v58, v58, v60
	s_waitcnt lgkmcnt(0)
	v_max_f32_e32 v56, v56, v56
	v_max_f32_e32 v47, v47, v56
	ds_bpermute_b32 v56, v57, v47
	s_add_u32 s6, s8, s6
	v_cvt_i32_f32_e32 v59, v61
	v_exp_f32_e32 v58, v58
	s_addc_u32 s7, s9, s7
	s_waitcnt lgkmcnt(0)
	v_max_f32_e32 v25, v56, v56
	v_max_f32_e32 v25, v47, v25
	v_fma_f32 v47, v80, s28, -v46
	v_rndne_f32_e32 v56, v46
	v_fmac_f32_e32 v47, 0x32a5705f, v80
	v_sub_f32_e32 v46, v46, v56
	v_add_f32_e32 v46, v46, v47
	v_cvt_i32_f32_e32 v83, v56
	v_lshl_add_u64 v[56:57], v[18:19], 2, s[6:7]
	v_exp_f32_e32 v82, v46
	v_lshl_add_u64 v[46:47], v[16:17], 2, s[6:7]
	v_lshl_add_u64 v[72:73], v[56:57], 0, v[4:5]
	;; [unrolled: 1-line block ×6, first 2 shown]
	s_barrier
	v_ldexp_f32 v81, v58, v59
	v_lshl_add_u64 v[76:77], v[56:57], 0, v[4:5]
	global_load_dwordx4 v[56:59], v[46:47], off
	global_load_dwordx4 v[60:63], v[72:73], off
	;; [unrolled: 1-line block ×4, first 2 shown]
	v_cmp_ngt_f32_e32 vcc, s29, v48
	v_ldexp_f32 v47, v82, v83
	s_nop 0
	v_cndmask_b32_e32 v46, 0, v81, vcc
	v_cmp_nlt_f32_e32 vcc, s31, v48
	v_mul_f32_e32 v48, 0x3fb8aa3b, v79
	v_fma_f32 v72, v79, s28, -v48
	v_rndne_f32_e32 v73, v48
	v_fmac_f32_e32 v72, 0x32a5705f, v79
	v_sub_f32_e32 v48, v48, v73
	v_add_f32_e32 v48, v48, v72
	v_exp_f32_e32 v48, v48
	v_cvt_i32_f32_e32 v73, v73
	v_cndmask_b32_e32 v46, v40, v46, vcc
	v_cmp_ngt_f32_e32 vcc, s29, v80
	s_nop 1
	v_cndmask_b32_e32 v47, 0, v47, vcc
	v_cmp_nlt_f32_e32 vcc, s31, v80
	s_nop 1
	v_cndmask_b32_e32 v72, v40, v47, vcc
	v_ldexp_f32 v47, v48, v73
	v_sub_f32_e32 v48, v55, v25
	v_cmp_ngt_f32_e32 vcc, s29, v79
	v_mul_f32_e32 v55, 0x3fb8aa3b, v48
	v_fma_f32 v73, v48, s28, -v55
	v_cndmask_b32_e32 v47, 0, v47, vcc
	v_cmp_nlt_f32_e32 vcc, s31, v79
	v_rndne_f32_e32 v75, v55
	v_fmac_f32_e32 v73, 0x32a5705f, v48
	v_cndmask_b32_e32 v74, v40, v47, vcc
	v_sub_f32_e32 v55, v55, v75
	v_cvt_f16_f32_e32 v47, v74
	v_add_f32_e32 v55, v55, v73
	v_exp_f32_e32 v55, v55
	v_cvt_i32_f32_e32 v73, v75
	v_mul_u32_u24_e32 v76, 0x10001, v47
	v_pk_mul_f16 v77, v44, v76
	v_sub_f32_e32 v44, v45, v25
	v_ldexp_f32 v45, v55, v73
	v_cmp_ngt_f32_e32 vcc, s29, v48
	s_nop 1
	v_cndmask_b32_e32 v45, 0, v45, vcc
	v_cmp_nlt_f32_e32 vcc, s31, v48
	s_nop 1
	v_cndmask_b32_e32 v47, v40, v45, vcc
	v_sub_f32_e32 v45, v78, v25
	v_mul_f32_e32 v48, 0x3fb8aa3b, v45
	v_fma_f32 v55, v45, s28, -v48
	v_rndne_f32_e32 v73, v48
	v_fmac_f32_e32 v55, 0x32a5705f, v45
	v_sub_f32_e32 v48, v48, v73
	v_add_f32_e32 v48, v48, v55
	v_cvt_i32_f32_e32 v55, v73
	v_mul_f32_e32 v73, 0x3fb8aa3b, v44
	v_fma_f32 v75, v44, s28, -v73
	v_rndne_f32_e32 v78, v73
	v_fmac_f32_e32 v75, 0x32a5705f, v44
	v_sub_f32_e32 v73, v73, v78
	v_exp_f32_e32 v48, v48
	v_add_f32_e32 v73, v73, v75
	v_exp_f32_e32 v73, v73
	v_cvt_i32_f32_e32 v75, v78
	v_ldexp_f32 v48, v48, v55
	v_cmp_ngt_f32_e32 vcc, s29, v45
	v_ldexp_f32 v55, v73, v75
	s_nop 0
	v_cndmask_b32_e32 v48, 0, v48, vcc
	v_cmp_ngt_f32_e32 vcc, s29, v44
	s_nop 1
	v_cndmask_b32_e32 v55, 0, v55, vcc
	v_cmp_nlt_f32_e32 vcc, s31, v44
	s_nop 1
	v_cndmask_b32_e32 v75, v40, v55, vcc
	v_cmp_nlt_f32_e32 vcc, s31, v45
	v_cvt_f16_f32_e32 v55, v75
	s_nop 0
	v_cndmask_b32_e32 v73, v40, v48, vcc
	v_pk_add_f32 v[44:45], v[46:47], v[72:73]
	v_mul_u32_u24_e32 v48, 0x10001, v55
	v_pk_fma_f32 v[2:3], v[2:3], v[74:75], v[44:45]
	v_add_u32_e32 v44, v34, v27
	v_cvt_pk_f16_f32 v45, v46, v47
	v_cvt_pk_f16_f32 v46, v72, v73
	ds_write2_b32 v44, v45, v46 offset1:32
	s_waitcnt vmcnt(3)
	ds_write_b128 v35, v[56:59]
	s_waitcnt vmcnt(2)
	ds_write_b128 v36, v[60:63]
	;; [unrolled: 2-line block ×4, first 2 shown]
	s_waitcnt lgkmcnt(0)
	s_barrier
	ds_read_b128 v[44:47], v34
	ds_read2_b64 v[56:59], v28 offset1:32
	ds_read_b128 v[60:63], v34 offset:16
	ds_read_b128 v[64:67], v34 offset:32
	;; [unrolled: 1-line block ×3, first 2 shown]
	s_waitcnt lgkmcnt(4)
	v_mul_u32_u24_sdwa v55, v44, s34 dst_sel:DWORD dst_unused:UNUSED_PAD src0_sel:WORD_0 src1_sel:DWORD
	v_mul_u32_u24_sdwa v44, v44, s34 dst_sel:DWORD dst_unused:UNUSED_PAD src0_sel:WORD_1 src1_sel:DWORD
	s_waitcnt lgkmcnt(3)
	v_pk_mul_f16 v72, v56, v55
	v_pk_mul_f16 v56, v56, v44
	;; [unrolled: 1-line block ×3, first 2 shown]
	v_pk_fma_f16 v43, v43, v76, v72
	v_pk_fma_f16 v41, v41, v48, v56
	v_mul_u32_u24_sdwa v56, v45, s34 dst_sel:DWORD dst_unused:UNUSED_PAD src0_sel:WORD_0 src1_sel:DWORD
	v_pk_fma_f16 v48, v57, v55, v77
	v_pk_fma_f16 v55, v57, v44, v42
	v_mul_u32_u24_sdwa v57, v45, s34 dst_sel:DWORD dst_unused:UNUSED_PAD src0_sel:WORD_1 src1_sel:DWORD
	v_pk_fma_f16 v72, v58, v56, v43
	ds_read2_b64 v[42:45], v28 offset0:64 offset1:96
	v_pk_fma_f16 v41, v58, v57, v41
	v_pk_fma_f16 v48, v59, v56, v48
	;; [unrolled: 1-line block ×3, first 2 shown]
	v_mul_u32_u24_sdwa v56, v46, s34 dst_sel:DWORD dst_unused:UNUSED_PAD src0_sel:WORD_0 src1_sel:DWORD
	v_mul_u32_u24_sdwa v46, v46, s34 dst_sel:DWORD dst_unused:UNUSED_PAD src0_sel:WORD_1 src1_sel:DWORD
	s_waitcnt lgkmcnt(0)
	v_pk_fma_f16 v57, v42, v56, v72
	v_pk_fma_f16 v41, v42, v46, v41
	;; [unrolled: 1-line block ×4, first 2 shown]
	v_mul_u32_u24_sdwa v46, v47, s34 dst_sel:DWORD dst_unused:UNUSED_PAD src0_sel:WORD_0 src1_sel:DWORD
	v_pk_fma_f16 v48, v44, v46, v57
	ds_read2_b64 v[56:59], v28 offset0:128 offset1:160
	v_mul_u32_u24_sdwa v47, v47, s34 dst_sel:DWORD dst_unused:UNUSED_PAD src0_sel:WORD_1 src1_sel:DWORD
	v_pk_fma_f16 v41, v44, v47, v41
	v_pk_fma_f16 v42, v45, v46, v42
	;; [unrolled: 1-line block ×3, first 2 shown]
	v_mul_u32_u24_sdwa v44, v60, s34 dst_sel:DWORD dst_unused:UNUSED_PAD src0_sel:WORD_0 src1_sel:DWORD
	v_mul_u32_u24_sdwa v45, v60, s34 dst_sel:DWORD dst_unused:UNUSED_PAD src0_sel:WORD_1 src1_sel:DWORD
	s_waitcnt lgkmcnt(0)
	v_pk_fma_f16 v46, v56, v44, v48
	v_pk_fma_f16 v41, v56, v45, v41
	;; [unrolled: 1-line block ×4, first 2 shown]
	ds_read2_b64 v[42:45], v28 offset0:192 offset1:224
	v_mul_u32_u24_sdwa v55, v61, s34 dst_sel:DWORD dst_unused:UNUSED_PAD src0_sel:WORD_0 src1_sel:DWORD
	v_mul_u32_u24_sdwa v56, v61, s34 dst_sel:DWORD dst_unused:UNUSED_PAD src0_sel:WORD_1 src1_sel:DWORD
	v_pk_fma_f16 v46, v58, v55, v46
	v_pk_fma_f16 v41, v58, v56, v41
	;; [unrolled: 1-line block ×4, first 2 shown]
	v_mul_u32_u24_sdwa v55, v62, s34 dst_sel:DWORD dst_unused:UNUSED_PAD src0_sel:WORD_0 src1_sel:DWORD
	v_mul_u32_u24_sdwa v56, v62, s34 dst_sel:DWORD dst_unused:UNUSED_PAD src0_sel:WORD_1 src1_sel:DWORD
	s_waitcnt lgkmcnt(0)
	v_pk_fma_f16 v46, v42, v55, v46
	v_pk_fma_f16 v41, v42, v56, v41
	;; [unrolled: 1-line block ×3, first 2 shown]
	v_add_u32_e32 v55, 0x800, v28
	v_pk_fma_f16 v43, v43, v56, v48
	ds_read2_b64 v[56:59], v55 offset1:32
	v_mul_u32_u24_sdwa v47, v63, s34 dst_sel:DWORD dst_unused:UNUSED_PAD src0_sel:WORD_0 src1_sel:DWORD
	v_mul_u32_u24_sdwa v48, v63, s34 dst_sel:DWORD dst_unused:UNUSED_PAD src0_sel:WORD_1 src1_sel:DWORD
	v_pk_fma_f16 v46, v44, v47, v46
	v_pk_fma_f16 v41, v44, v48, v41
	v_pk_fma_f16 v42, v45, v47, v42
	v_pk_fma_f16 v43, v45, v48, v43
	v_mul_u32_u24_sdwa v44, v64, s34 dst_sel:DWORD dst_unused:UNUSED_PAD src0_sel:WORD_0 src1_sel:DWORD
	v_mul_u32_u24_sdwa v45, v64, s34 dst_sel:DWORD dst_unused:UNUSED_PAD src0_sel:WORD_1 src1_sel:DWORD
	s_waitcnt lgkmcnt(0)
	v_pk_fma_f16 v46, v56, v44, v46
	v_pk_fma_f16 v41, v56, v45, v41
	v_pk_fma_f16 v47, v57, v44, v42
	v_pk_fma_f16 v48, v57, v45, v43
	ds_read2_b64 v[42:45], v55 offset0:64 offset1:96
	v_mul_u32_u24_sdwa v56, v65, s34 dst_sel:DWORD dst_unused:UNUSED_PAD src0_sel:WORD_0 src1_sel:DWORD
	v_mul_u32_u24_sdwa v57, v65, s34 dst_sel:DWORD dst_unused:UNUSED_PAD src0_sel:WORD_1 src1_sel:DWORD
	v_pk_fma_f16 v46, v58, v56, v46
	v_pk_fma_f16 v41, v58, v57, v41
	v_pk_fma_f16 v47, v59, v56, v47
	v_pk_fma_f16 v48, v59, v57, v48
	v_mul_u32_u24_sdwa v56, v66, s34 dst_sel:DWORD dst_unused:UNUSED_PAD src0_sel:WORD_0 src1_sel:DWORD
	v_mul_u32_u24_sdwa v57, v66, s34 dst_sel:DWORD dst_unused:UNUSED_PAD src0_sel:WORD_1 src1_sel:DWORD
	s_waitcnt lgkmcnt(0)
	v_pk_fma_f16 v46, v42, v56, v46
	v_pk_fma_f16 v41, v42, v57, v41
	v_pk_fma_f16 v42, v43, v56, v47
	v_pk_fma_f16 v43, v43, v57, v48
	ds_read2_b64 v[56:59], v55 offset0:128 offset1:160
	;; [unrolled: 14-line block ×3, first 2 shown]
	v_mul_u32_u24_sdwa v56, v69, s34 dst_sel:DWORD dst_unused:UNUSED_PAD src0_sel:WORD_0 src1_sel:DWORD
	v_mul_u32_u24_sdwa v57, v69, s34 dst_sel:DWORD dst_unused:UNUSED_PAD src0_sel:WORD_1 src1_sel:DWORD
	v_pk_fma_f16 v46, v58, v56, v46
	v_pk_fma_f16 v41, v58, v57, v41
	;; [unrolled: 1-line block ×4, first 2 shown]
	v_mul_u32_u24_sdwa v55, v70, s34 dst_sel:DWORD dst_unused:UNUSED_PAD src0_sel:WORD_0 src1_sel:DWORD
	v_mul_u32_u24_sdwa v56, v70, s34 dst_sel:DWORD dst_unused:UNUSED_PAD src0_sel:WORD_1 src1_sel:DWORD
	s_waitcnt lgkmcnt(0)
	v_pk_fma_f16 v46, v42, v55, v46
	v_pk_fma_f16 v41, v42, v56, v41
	;; [unrolled: 1-line block ×4, first 2 shown]
	ds_read_b128 v[56:59], v34 offset:64
	v_add_u32_e32 v55, 0x1000, v28
	ds_read2_b64 v[60:63], v55 offset1:32
	v_mul_u32_u24_sdwa v47, v71, s34 dst_sel:DWORD dst_unused:UNUSED_PAD src0_sel:WORD_0 src1_sel:DWORD
	v_mul_u32_u24_sdwa v48, v71, s34 dst_sel:DWORD dst_unused:UNUSED_PAD src0_sel:WORD_1 src1_sel:DWORD
	v_pk_fma_f16 v46, v44, v47, v46
	v_pk_fma_f16 v41, v44, v48, v41
	;; [unrolled: 1-line block ×4, first 2 shown]
	ds_read_b128 v[42:45], v34 offset:80
	s_waitcnt lgkmcnt(2)
	v_mul_u32_u24_sdwa v64, v56, s34 dst_sel:DWORD dst_unused:UNUSED_PAD src0_sel:WORD_0 src1_sel:DWORD
	s_waitcnt lgkmcnt(1)
	v_pk_fma_f16 v46, v60, v64, v46
	v_pk_fma_f16 v47, v61, v64, v47
	ds_read2_b64 v[64:67], v55 offset0:64 offset1:96
	v_mul_u32_u24_sdwa v56, v56, s34 dst_sel:DWORD dst_unused:UNUSED_PAD src0_sel:WORD_1 src1_sel:DWORD
	v_pk_fma_f16 v41, v60, v56, v41
	v_pk_fma_f16 v48, v61, v56, v48
	v_mul_u32_u24_sdwa v56, v57, s34 dst_sel:DWORD dst_unused:UNUSED_PAD src0_sel:WORD_0 src1_sel:DWORD
	v_mul_u32_u24_sdwa v57, v57, s34 dst_sel:DWORD dst_unused:UNUSED_PAD src0_sel:WORD_1 src1_sel:DWORD
	v_pk_fma_f16 v46, v62, v56, v46
	v_pk_fma_f16 v41, v62, v57, v41
	;; [unrolled: 1-line block ×4, first 2 shown]
	v_mul_u32_u24_sdwa v56, v58, s34 dst_sel:DWORD dst_unused:UNUSED_PAD src0_sel:WORD_0 src1_sel:DWORD
	v_mul_u32_u24_sdwa v57, v58, s34 dst_sel:DWORD dst_unused:UNUSED_PAD src0_sel:WORD_1 src1_sel:DWORD
	s_waitcnt lgkmcnt(0)
	v_pk_fma_f16 v46, v64, v56, v46
	v_pk_fma_f16 v41, v64, v57, v41
	;; [unrolled: 1-line block ×4, first 2 shown]
	v_mul_u32_u24_sdwa v60, v59, s34 dst_sel:DWORD dst_unused:UNUSED_PAD src0_sel:WORD_0 src1_sel:DWORD
	v_mul_u32_u24_sdwa v61, v59, s34 dst_sel:DWORD dst_unused:UNUSED_PAD src0_sel:WORD_1 src1_sel:DWORD
	ds_read2_b64 v[56:59], v55 offset0:128 offset1:160
	v_pk_fma_f16 v46, v66, v60, v46
	v_pk_fma_f16 v47, v67, v60, v47
	v_mul_u32_u24_sdwa v60, v42, s34 dst_sel:DWORD dst_unused:UNUSED_PAD src0_sel:WORD_0 src1_sel:DWORD
	v_pk_fma_f16 v41, v66, v61, v41
	v_pk_fma_f16 v48, v67, v61, v48
	s_waitcnt lgkmcnt(0)
	v_pk_fma_f16 v46, v56, v60, v46
	v_pk_fma_f16 v47, v57, v60, v47
	ds_read2_b64 v[60:63], v55 offset0:192 offset1:224
	v_mul_u32_u24_sdwa v42, v42, s34 dst_sel:DWORD dst_unused:UNUSED_PAD src0_sel:WORD_1 src1_sel:DWORD
	v_pk_fma_f16 v41, v56, v42, v41
	v_pk_fma_f16 v42, v57, v42, v48
	v_mul_u32_u24_sdwa v48, v43, s34 dst_sel:DWORD dst_unused:UNUSED_PAD src0_sel:WORD_0 src1_sel:DWORD
	v_mul_u32_u24_sdwa v43, v43, s34 dst_sel:DWORD dst_unused:UNUSED_PAD src0_sel:WORD_1 src1_sel:DWORD
	v_pk_fma_f16 v46, v58, v48, v46
	v_pk_fma_f16 v41, v58, v43, v41
	;; [unrolled: 1-line block ×4, first 2 shown]
	v_mul_u32_u24_sdwa v43, v44, s34 dst_sel:DWORD dst_unused:UNUSED_PAD src0_sel:WORD_0 src1_sel:DWORD
	v_mul_u32_u24_sdwa v44, v44, s34 dst_sel:DWORD dst_unused:UNUSED_PAD src0_sel:WORD_1 src1_sel:DWORD
	s_waitcnt lgkmcnt(0)
	v_pk_fma_f16 v46, v60, v43, v46
	v_pk_fma_f16 v43, v61, v43, v47
	;; [unrolled: 1-line block ×3, first 2 shown]
	v_mul_u32_u24_sdwa v42, v45, s34 dst_sel:DWORD dst_unused:UNUSED_PAD src0_sel:WORD_0 src1_sel:DWORD
	v_pk_fma_f16 v41, v60, v44, v41
	v_mul_u32_u24_sdwa v48, v45, s34 dst_sel:DWORD dst_unused:UNUSED_PAD src0_sel:WORD_1 src1_sel:DWORD
	v_pk_fma_f16 v46, v62, v42, v46
	v_pk_fma_f16 v55, v63, v42, v43
	ds_read_b128 v[42:45], v34 offset:96
	v_add_u32_e32 v68, 0x1800, v28
	ds_read2_b64 v[56:59], v68 offset1:32
	ds_read2_b64 v[64:67], v68 offset0:64 offset1:96
	v_pk_fma_f16 v41, v62, v48, v41
	v_pk_fma_f16 v47, v63, v48, v47
	ds_read_b128 v[60:63], v34 offset:112
	s_waitcnt lgkmcnt(3)
	v_mul_u32_u24_sdwa v48, v42, s34 dst_sel:DWORD dst_unused:UNUSED_PAD src0_sel:WORD_0 src1_sel:DWORD
	v_mul_u32_u24_sdwa v42, v42, s34 dst_sel:DWORD dst_unused:UNUSED_PAD src0_sel:WORD_1 src1_sel:DWORD
	s_waitcnt lgkmcnt(2)
	v_pk_fma_f16 v46, v56, v48, v46
	v_pk_fma_f16 v41, v56, v42, v41
	;; [unrolled: 1-line block ×4, first 2 shown]
	v_mul_u32_u24_sdwa v47, v43, s34 dst_sel:DWORD dst_unused:UNUSED_PAD src0_sel:WORD_0 src1_sel:DWORD
	v_mul_u32_u24_sdwa v43, v43, s34 dst_sel:DWORD dst_unused:UNUSED_PAD src0_sel:WORD_1 src1_sel:DWORD
	v_pk_fma_f16 v46, v58, v47, v46
	v_pk_fma_f16 v41, v58, v43, v41
	;; [unrolled: 1-line block ×4, first 2 shown]
	v_mul_u32_u24_sdwa v43, v44, s34 dst_sel:DWORD dst_unused:UNUSED_PAD src0_sel:WORD_0 src1_sel:DWORD
	v_mul_u32_u24_sdwa v44, v44, s34 dst_sel:DWORD dst_unused:UNUSED_PAD src0_sel:WORD_1 src1_sel:DWORD
	s_waitcnt lgkmcnt(1)
	v_pk_fma_f16 v46, v64, v43, v46
	v_pk_fma_f16 v41, v64, v44, v41
	;; [unrolled: 1-line block ×4, first 2 shown]
	v_mul_u32_u24_sdwa v55, v45, s34 dst_sel:DWORD dst_unused:UNUSED_PAD src0_sel:WORD_0 src1_sel:DWORD
	v_mul_u32_u24_sdwa v56, v45, s34 dst_sel:DWORD dst_unused:UNUSED_PAD src0_sel:WORD_1 src1_sel:DWORD
	ds_read2_b64 v[42:45], v68 offset0:128 offset1:160
	v_pk_fma_f16 v46, v66, v55, v46
	v_pk_fma_f16 v41, v66, v56, v41
	v_pk_fma_f16 v47, v67, v55, v47
	v_pk_fma_f16 v48, v67, v56, v48
	s_waitcnt lgkmcnt(1)
	v_mul_u32_u24_sdwa v55, v60, s34 dst_sel:DWORD dst_unused:UNUSED_PAD src0_sel:WORD_0 src1_sel:DWORD
	v_mul_u32_u24_sdwa v56, v60, s34 dst_sel:DWORD dst_unused:UNUSED_PAD src0_sel:WORD_1 src1_sel:DWORD
	s_waitcnt lgkmcnt(0)
	v_pk_fma_f16 v46, v42, v55, v46
	v_pk_fma_f16 v41, v42, v56, v41
	;; [unrolled: 1-line block ×4, first 2 shown]
	ds_read2_b64 v[56:59], v68 offset0:192 offset1:224
	v_mul_u32_u24_sdwa v47, v61, s34 dst_sel:DWORD dst_unused:UNUSED_PAD src0_sel:WORD_0 src1_sel:DWORD
	v_mul_u32_u24_sdwa v48, v61, s34 dst_sel:DWORD dst_unused:UNUSED_PAD src0_sel:WORD_1 src1_sel:DWORD
	v_pk_fma_f16 v46, v44, v47, v46
	v_pk_fma_f16 v41, v44, v48, v41
	;; [unrolled: 1-line block ×4, first 2 shown]
	v_mul_u32_u24_sdwa v44, v62, s34 dst_sel:DWORD dst_unused:UNUSED_PAD src0_sel:WORD_0 src1_sel:DWORD
	v_mul_u32_u24_sdwa v45, v62, s34 dst_sel:DWORD dst_unused:UNUSED_PAD src0_sel:WORD_1 src1_sel:DWORD
	s_waitcnt lgkmcnt(0)
	v_pk_fma_f16 v46, v56, v44, v46
	v_pk_fma_f16 v42, v57, v44, v42
	;; [unrolled: 1-line block ×3, first 2 shown]
	v_mul_u32_u24_sdwa v43, v63, s34 dst_sel:DWORD dst_unused:UNUSED_PAD src0_sel:WORD_0 src1_sel:DWORD
	v_pk_fma_f16 v41, v56, v45, v41
	v_pk_fma_f16 v46, v58, v43, v46
	;; [unrolled: 1-line block ×3, first 2 shown]
	ds_read_b128 v[42:45], v34 offset:128
	v_add_u32_e32 v68, 0x2000, v28
	v_mul_u32_u24_sdwa v48, v63, s34 dst_sel:DWORD dst_unused:UNUSED_PAD src0_sel:WORD_1 src1_sel:DWORD
	ds_read2_b64 v[60:63], v68 offset1:32
	ds_read2_b64 v[64:67], v68 offset0:64 offset1:96
	v_pk_fma_f16 v41, v58, v48, v41
	v_pk_fma_f16 v47, v59, v48, v47
	ds_read_b128 v[56:59], v34 offset:144
	s_waitcnt lgkmcnt(3)
	v_mul_u32_u24_sdwa v48, v42, s34 dst_sel:DWORD dst_unused:UNUSED_PAD src0_sel:WORD_0 src1_sel:DWORD
	v_mul_u32_u24_sdwa v42, v42, s34 dst_sel:DWORD dst_unused:UNUSED_PAD src0_sel:WORD_1 src1_sel:DWORD
	s_waitcnt lgkmcnt(2)
	v_pk_fma_f16 v46, v60, v48, v46
	v_pk_fma_f16 v41, v60, v42, v41
	;; [unrolled: 1-line block ×4, first 2 shown]
	v_mul_u32_u24_sdwa v47, v43, s34 dst_sel:DWORD dst_unused:UNUSED_PAD src0_sel:WORD_0 src1_sel:DWORD
	v_mul_u32_u24_sdwa v43, v43, s34 dst_sel:DWORD dst_unused:UNUSED_PAD src0_sel:WORD_1 src1_sel:DWORD
	v_pk_fma_f16 v46, v62, v47, v46
	v_pk_fma_f16 v41, v62, v43, v41
	;; [unrolled: 1-line block ×4, first 2 shown]
	v_mul_u32_u24_sdwa v43, v44, s34 dst_sel:DWORD dst_unused:UNUSED_PAD src0_sel:WORD_0 src1_sel:DWORD
	v_mul_u32_u24_sdwa v44, v44, s34 dst_sel:DWORD dst_unused:UNUSED_PAD src0_sel:WORD_1 src1_sel:DWORD
	s_waitcnt lgkmcnt(1)
	v_pk_fma_f16 v46, v64, v43, v46
	v_pk_fma_f16 v41, v64, v44, v41
	;; [unrolled: 1-line block ×4, first 2 shown]
	v_mul_u32_u24_sdwa v55, v45, s34 dst_sel:DWORD dst_unused:UNUSED_PAD src0_sel:WORD_0 src1_sel:DWORD
	v_mul_u32_u24_sdwa v60, v45, s34 dst_sel:DWORD dst_unused:UNUSED_PAD src0_sel:WORD_1 src1_sel:DWORD
	ds_read2_b64 v[42:45], v68 offset0:128 offset1:160
	v_pk_fma_f16 v41, v66, v60, v41
	v_pk_fma_f16 v48, v67, v60, v48
	ds_read2_b64 v[60:63], v68 offset0:192 offset1:224
	v_pk_fma_f16 v46, v66, v55, v46
	v_pk_fma_f16 v47, v67, v55, v47
	s_waitcnt lgkmcnt(2)
	v_mul_u32_u24_sdwa v55, v56, s34 dst_sel:DWORD dst_unused:UNUSED_PAD src0_sel:WORD_0 src1_sel:DWORD
	v_mul_u32_u24_sdwa v56, v56, s34 dst_sel:DWORD dst_unused:UNUSED_PAD src0_sel:WORD_1 src1_sel:DWORD
	s_waitcnt lgkmcnt(1)
	v_pk_fma_f16 v46, v42, v55, v46
	v_pk_fma_f16 v41, v42, v56, v41
	;; [unrolled: 1-line block ×4, first 2 shown]
	v_mul_u32_u24_sdwa v47, v57, s34 dst_sel:DWORD dst_unused:UNUSED_PAD src0_sel:WORD_0 src1_sel:DWORD
	v_mul_u32_u24_sdwa v48, v57, s34 dst_sel:DWORD dst_unused:UNUSED_PAD src0_sel:WORD_1 src1_sel:DWORD
	v_pk_fma_f16 v46, v44, v47, v46
	v_pk_fma_f16 v41, v44, v48, v41
	;; [unrolled: 1-line block ×4, first 2 shown]
	v_mul_u32_u24_sdwa v44, v58, s34 dst_sel:DWORD dst_unused:UNUSED_PAD src0_sel:WORD_0 src1_sel:DWORD
	v_mul_u32_u24_sdwa v45, v58, s34 dst_sel:DWORD dst_unused:UNUSED_PAD src0_sel:WORD_1 src1_sel:DWORD
	s_waitcnt lgkmcnt(0)
	v_pk_fma_f16 v46, v60, v44, v46
	v_pk_fma_f16 v42, v61, v44, v42
	;; [unrolled: 1-line block ×3, first 2 shown]
	v_mul_u32_u24_sdwa v43, v59, s34 dst_sel:DWORD dst_unused:UNUSED_PAD src0_sel:WORD_0 src1_sel:DWORD
	v_pk_fma_f16 v41, v60, v45, v41
	v_pk_fma_f16 v46, v62, v43, v46
	;; [unrolled: 1-line block ×3, first 2 shown]
	ds_read_b128 v[42:45], v34 offset:160
	v_add_u32_e32 v68, 0x2800, v28
	v_mul_u32_u24_sdwa v48, v59, s34 dst_sel:DWORD dst_unused:UNUSED_PAD src0_sel:WORD_1 src1_sel:DWORD
	ds_read2_b64 v[56:59], v68 offset1:32
	ds_read2_b64 v[64:67], v68 offset0:64 offset1:96
	v_pk_fma_f16 v41, v62, v48, v41
	v_pk_fma_f16 v47, v63, v48, v47
	ds_read_b128 v[60:63], v34 offset:176
	s_waitcnt lgkmcnt(3)
	v_mul_u32_u24_sdwa v48, v42, s34 dst_sel:DWORD dst_unused:UNUSED_PAD src0_sel:WORD_0 src1_sel:DWORD
	v_mul_u32_u24_sdwa v42, v42, s34 dst_sel:DWORD dst_unused:UNUSED_PAD src0_sel:WORD_1 src1_sel:DWORD
	s_waitcnt lgkmcnt(2)
	v_pk_fma_f16 v46, v56, v48, v46
	v_pk_fma_f16 v41, v56, v42, v41
	;; [unrolled: 1-line block ×4, first 2 shown]
	v_mul_u32_u24_sdwa v47, v43, s34 dst_sel:DWORD dst_unused:UNUSED_PAD src0_sel:WORD_0 src1_sel:DWORD
	v_mul_u32_u24_sdwa v43, v43, s34 dst_sel:DWORD dst_unused:UNUSED_PAD src0_sel:WORD_1 src1_sel:DWORD
	v_pk_fma_f16 v46, v58, v47, v46
	v_pk_fma_f16 v41, v58, v43, v41
	;; [unrolled: 1-line block ×4, first 2 shown]
	v_mul_u32_u24_sdwa v43, v44, s34 dst_sel:DWORD dst_unused:UNUSED_PAD src0_sel:WORD_0 src1_sel:DWORD
	v_mul_u32_u24_sdwa v44, v44, s34 dst_sel:DWORD dst_unused:UNUSED_PAD src0_sel:WORD_1 src1_sel:DWORD
	s_waitcnt lgkmcnt(1)
	v_pk_fma_f16 v46, v64, v43, v46
	v_pk_fma_f16 v41, v64, v44, v41
	;; [unrolled: 1-line block ×4, first 2 shown]
	v_mul_u32_u24_sdwa v55, v45, s34 dst_sel:DWORD dst_unused:UNUSED_PAD src0_sel:WORD_0 src1_sel:DWORD
	v_mul_u32_u24_sdwa v56, v45, s34 dst_sel:DWORD dst_unused:UNUSED_PAD src0_sel:WORD_1 src1_sel:DWORD
	ds_read2_b64 v[42:45], v68 offset0:128 offset1:160
	v_pk_fma_f16 v46, v66, v55, v46
	v_pk_fma_f16 v41, v66, v56, v41
	;; [unrolled: 1-line block ×4, first 2 shown]
	s_waitcnt lgkmcnt(1)
	v_mul_u32_u24_sdwa v55, v60, s34 dst_sel:DWORD dst_unused:UNUSED_PAD src0_sel:WORD_0 src1_sel:DWORD
	v_mul_u32_u24_sdwa v56, v60, s34 dst_sel:DWORD dst_unused:UNUSED_PAD src0_sel:WORD_1 src1_sel:DWORD
	s_waitcnt lgkmcnt(0)
	v_pk_fma_f16 v46, v42, v55, v46
	v_pk_fma_f16 v41, v42, v56, v41
	;; [unrolled: 1-line block ×4, first 2 shown]
	ds_read2_b64 v[56:59], v68 offset0:192 offset1:224
	v_mul_u32_u24_sdwa v47, v61, s34 dst_sel:DWORD dst_unused:UNUSED_PAD src0_sel:WORD_0 src1_sel:DWORD
	v_mul_u32_u24_sdwa v48, v61, s34 dst_sel:DWORD dst_unused:UNUSED_PAD src0_sel:WORD_1 src1_sel:DWORD
	v_pk_fma_f16 v46, v44, v47, v46
	v_pk_fma_f16 v41, v44, v48, v41
	;; [unrolled: 1-line block ×4, first 2 shown]
	v_mul_u32_u24_sdwa v44, v62, s34 dst_sel:DWORD dst_unused:UNUSED_PAD src0_sel:WORD_0 src1_sel:DWORD
	v_mul_u32_u24_sdwa v45, v62, s34 dst_sel:DWORD dst_unused:UNUSED_PAD src0_sel:WORD_1 src1_sel:DWORD
	s_waitcnt lgkmcnt(0)
	v_pk_fma_f16 v46, v56, v44, v46
	v_pk_fma_f16 v42, v57, v44, v42
	;; [unrolled: 1-line block ×3, first 2 shown]
	v_mul_u32_u24_sdwa v43, v63, s34 dst_sel:DWORD dst_unused:UNUSED_PAD src0_sel:WORD_0 src1_sel:DWORD
	v_pk_fma_f16 v41, v56, v45, v41
	v_pk_fma_f16 v46, v58, v43, v46
	v_pk_fma_f16 v55, v59, v43, v42
	ds_read_b128 v[42:45], v34 offset:192
	v_add_u32_e32 v68, 0x3000, v28
	v_mul_u32_u24_sdwa v48, v63, s34 dst_sel:DWORD dst_unused:UNUSED_PAD src0_sel:WORD_1 src1_sel:DWORD
	ds_read2_b64 v[60:63], v68 offset1:32
	ds_read2_b64 v[64:67], v68 offset0:64 offset1:96
	v_pk_fma_f16 v41, v58, v48, v41
	v_pk_fma_f16 v47, v59, v48, v47
	ds_read_b128 v[56:59], v34 offset:208
	s_waitcnt lgkmcnt(3)
	v_mul_u32_u24_sdwa v48, v42, s34 dst_sel:DWORD dst_unused:UNUSED_PAD src0_sel:WORD_0 src1_sel:DWORD
	v_mul_u32_u24_sdwa v42, v42, s34 dst_sel:DWORD dst_unused:UNUSED_PAD src0_sel:WORD_1 src1_sel:DWORD
	s_waitcnt lgkmcnt(2)
	v_pk_fma_f16 v46, v60, v48, v46
	v_pk_fma_f16 v41, v60, v42, v41
	;; [unrolled: 1-line block ×4, first 2 shown]
	v_mul_u32_u24_sdwa v47, v43, s34 dst_sel:DWORD dst_unused:UNUSED_PAD src0_sel:WORD_0 src1_sel:DWORD
	v_mul_u32_u24_sdwa v43, v43, s34 dst_sel:DWORD dst_unused:UNUSED_PAD src0_sel:WORD_1 src1_sel:DWORD
	v_pk_fma_f16 v46, v62, v47, v46
	v_pk_fma_f16 v41, v62, v43, v41
	;; [unrolled: 1-line block ×4, first 2 shown]
	v_mul_u32_u24_sdwa v43, v44, s34 dst_sel:DWORD dst_unused:UNUSED_PAD src0_sel:WORD_0 src1_sel:DWORD
	v_mul_u32_u24_sdwa v44, v44, s34 dst_sel:DWORD dst_unused:UNUSED_PAD src0_sel:WORD_1 src1_sel:DWORD
	s_waitcnt lgkmcnt(1)
	v_pk_fma_f16 v46, v64, v43, v46
	v_pk_fma_f16 v41, v64, v44, v41
	;; [unrolled: 1-line block ×4, first 2 shown]
	v_mul_u32_u24_sdwa v55, v45, s34 dst_sel:DWORD dst_unused:UNUSED_PAD src0_sel:WORD_0 src1_sel:DWORD
	v_mul_u32_u24_sdwa v60, v45, s34 dst_sel:DWORD dst_unused:UNUSED_PAD src0_sel:WORD_1 src1_sel:DWORD
	ds_read2_b64 v[42:45], v68 offset0:128 offset1:160
	v_pk_fma_f16 v41, v66, v60, v41
	v_pk_fma_f16 v48, v67, v60, v48
	ds_read2_b64 v[60:63], v68 offset0:192 offset1:224
	v_pk_fma_f16 v46, v66, v55, v46
	v_pk_fma_f16 v47, v67, v55, v47
	s_waitcnt lgkmcnt(2)
	v_mul_u32_u24_sdwa v55, v56, s34 dst_sel:DWORD dst_unused:UNUSED_PAD src0_sel:WORD_0 src1_sel:DWORD
	v_mul_u32_u24_sdwa v56, v56, s34 dst_sel:DWORD dst_unused:UNUSED_PAD src0_sel:WORD_1 src1_sel:DWORD
	s_waitcnt lgkmcnt(1)
	v_pk_fma_f16 v46, v42, v55, v46
	v_pk_fma_f16 v41, v42, v56, v41
	;; [unrolled: 1-line block ×4, first 2 shown]
	v_mul_u32_u24_sdwa v47, v57, s34 dst_sel:DWORD dst_unused:UNUSED_PAD src0_sel:WORD_0 src1_sel:DWORD
	v_mul_u32_u24_sdwa v48, v57, s34 dst_sel:DWORD dst_unused:UNUSED_PAD src0_sel:WORD_1 src1_sel:DWORD
	v_pk_fma_f16 v46, v44, v47, v46
	v_pk_fma_f16 v41, v44, v48, v41
	;; [unrolled: 1-line block ×4, first 2 shown]
	v_mul_u32_u24_sdwa v44, v58, s34 dst_sel:DWORD dst_unused:UNUSED_PAD src0_sel:WORD_0 src1_sel:DWORD
	v_mul_u32_u24_sdwa v45, v58, s34 dst_sel:DWORD dst_unused:UNUSED_PAD src0_sel:WORD_1 src1_sel:DWORD
	s_waitcnt lgkmcnt(0)
	v_pk_fma_f16 v46, v60, v44, v46
	v_pk_fma_f16 v42, v61, v44, v42
	;; [unrolled: 1-line block ×3, first 2 shown]
	v_mul_u32_u24_sdwa v43, v59, s34 dst_sel:DWORD dst_unused:UNUSED_PAD src0_sel:WORD_0 src1_sel:DWORD
	v_pk_fma_f16 v41, v60, v45, v41
	v_pk_fma_f16 v46, v62, v43, v46
	;; [unrolled: 1-line block ×3, first 2 shown]
	ds_read_b128 v[42:45], v34 offset:224
	v_add_u32_e32 v68, 0x3800, v28
	v_mul_u32_u24_sdwa v48, v59, s34 dst_sel:DWORD dst_unused:UNUSED_PAD src0_sel:WORD_1 src1_sel:DWORD
	ds_read2_b64 v[56:59], v68 offset1:32
	ds_read2_b64 v[64:67], v68 offset0:64 offset1:96
	v_pk_fma_f16 v41, v62, v48, v41
	v_pk_fma_f16 v47, v63, v48, v47
	ds_read_b128 v[60:63], v34 offset:240
	s_waitcnt lgkmcnt(3)
	v_mul_u32_u24_sdwa v48, v42, s34 dst_sel:DWORD dst_unused:UNUSED_PAD src0_sel:WORD_0 src1_sel:DWORD
	v_mul_u32_u24_sdwa v42, v42, s34 dst_sel:DWORD dst_unused:UNUSED_PAD src0_sel:WORD_1 src1_sel:DWORD
	s_waitcnt lgkmcnt(2)
	v_pk_fma_f16 v46, v56, v48, v46
	v_pk_fma_f16 v41, v56, v42, v41
	;; [unrolled: 1-line block ×4, first 2 shown]
	v_mul_u32_u24_sdwa v47, v43, s34 dst_sel:DWORD dst_unused:UNUSED_PAD src0_sel:WORD_0 src1_sel:DWORD
	v_mul_u32_u24_sdwa v43, v43, s34 dst_sel:DWORD dst_unused:UNUSED_PAD src0_sel:WORD_1 src1_sel:DWORD
	v_pk_fma_f16 v46, v58, v47, v46
	v_pk_fma_f16 v41, v58, v43, v41
	;; [unrolled: 1-line block ×4, first 2 shown]
	v_mul_u32_u24_sdwa v43, v44, s34 dst_sel:DWORD dst_unused:UNUSED_PAD src0_sel:WORD_0 src1_sel:DWORD
	v_mul_u32_u24_sdwa v44, v44, s34 dst_sel:DWORD dst_unused:UNUSED_PAD src0_sel:WORD_1 src1_sel:DWORD
	s_waitcnt lgkmcnt(1)
	v_pk_fma_f16 v46, v64, v43, v46
	v_pk_fma_f16 v41, v64, v44, v41
	;; [unrolled: 1-line block ×4, first 2 shown]
	v_mul_u32_u24_sdwa v55, v45, s34 dst_sel:DWORD dst_unused:UNUSED_PAD src0_sel:WORD_0 src1_sel:DWORD
	v_mul_u32_u24_sdwa v56, v45, s34 dst_sel:DWORD dst_unused:UNUSED_PAD src0_sel:WORD_1 src1_sel:DWORD
	ds_read2_b64 v[42:45], v68 offset0:128 offset1:160
	v_pk_fma_f16 v46, v66, v55, v46
	v_pk_fma_f16 v41, v66, v56, v41
	;; [unrolled: 1-line block ×4, first 2 shown]
	s_waitcnt lgkmcnt(1)
	v_mul_u32_u24_sdwa v55, v60, s34 dst_sel:DWORD dst_unused:UNUSED_PAD src0_sel:WORD_0 src1_sel:DWORD
	v_mul_u32_u24_sdwa v56, v60, s34 dst_sel:DWORD dst_unused:UNUSED_PAD src0_sel:WORD_1 src1_sel:DWORD
	s_waitcnt lgkmcnt(0)
	v_pk_fma_f16 v46, v42, v55, v46
	v_pk_fma_f16 v41, v42, v56, v41
	;; [unrolled: 1-line block ×4, first 2 shown]
	ds_read2_b64 v[56:59], v68 offset0:192 offset1:224
	s_waitcnt lgkmcnt(0)
	s_barrier
	s_load_dword s6, s[4:5], 0x4
	v_mul_u32_u24_sdwa v47, v61, s34 dst_sel:DWORD dst_unused:UNUSED_PAD src0_sel:WORD_0 src1_sel:DWORD
	v_mul_u32_u24_sdwa v48, v61, s34 dst_sel:DWORD dst_unused:UNUSED_PAD src0_sel:WORD_1 src1_sel:DWORD
	v_pk_fma_f16 v46, v44, v47, v46
	v_pk_fma_f16 v41, v44, v48, v41
	;; [unrolled: 1-line block ×4, first 2 shown]
	v_mul_u32_u24_sdwa v44, v62, s34 dst_sel:DWORD dst_unused:UNUSED_PAD src0_sel:WORD_0 src1_sel:DWORD
	v_mul_u32_u24_sdwa v45, v62, s34 dst_sel:DWORD dst_unused:UNUSED_PAD src0_sel:WORD_1 src1_sel:DWORD
	s_waitcnt lgkmcnt(0)
	s_lshl_b32 s6, s6, 6
	v_pk_fma_f16 v46, v56, v44, v46
	v_pk_fma_f16 v41, v56, v45, v41
	v_pk_fma_f16 v42, v57, v44, v42
	v_pk_fma_f16 v45, v57, v45, v43
	v_mul_u32_u24_sdwa v44, v63, s34 dst_sel:DWORD dst_unused:UNUSED_PAD src0_sel:WORD_0 src1_sel:DWORD
	v_mul_u32_u24_sdwa v47, v63, s34 dst_sel:DWORD dst_unused:UNUSED_PAD src0_sel:WORD_1 src1_sel:DWORD
	s_add_i32 s2, s6, s2
	v_pk_fma_f16 v43, v58, v44, v46
	v_pk_fma_f16 v41, v58, v47, v41
	;; [unrolled: 1-line block ×3, first 2 shown]
	s_cmp_ge_i32 s2, s24
	v_pk_fma_f16 v42, v59, v47, v45
	s_cbranch_scc1 .LBB73_7
; %bb.38:                               ;   in Loop: Header=BB73_21 Depth=1
	v_mov_b32_e32 v46, v24
	v_mov_b32_e32 v45, v25
	s_branch .LBB73_21
	.section	.rodata,"a",@progbits
	.p2align	6, 0x0
	.amdhsa_kernel _ZL15flash_attn_tileILi128ELi128ELi2ELi8ELb1EEvPKcS1_S1_S1_S1_PKiPfP15HIP_vector_typeIfLj2EEffffjfiS5_IjLj3EEiiiiiiiiiiiliiliiiiil
		.amdhsa_group_segment_fixed_size 23552
		.amdhsa_private_segment_fixed_size 0
		.amdhsa_kernarg_size 464
		.amdhsa_user_sgpr_count 2
		.amdhsa_user_sgpr_dispatch_ptr 0
		.amdhsa_user_sgpr_queue_ptr 0
		.amdhsa_user_sgpr_kernarg_segment_ptr 1
		.amdhsa_user_sgpr_dispatch_id 0
		.amdhsa_user_sgpr_kernarg_preload_length 0
		.amdhsa_user_sgpr_kernarg_preload_offset 0
		.amdhsa_user_sgpr_private_segment_size 0
		.amdhsa_uses_dynamic_stack 0
		.amdhsa_enable_private_segment 0
		.amdhsa_system_sgpr_workgroup_id_x 1
		.amdhsa_system_sgpr_workgroup_id_y 1
		.amdhsa_system_sgpr_workgroup_id_z 1
		.amdhsa_system_sgpr_workgroup_info 0
		.amdhsa_system_vgpr_workitem_id 1
		.amdhsa_next_free_vgpr 84
		.amdhsa_next_free_sgpr 91
		.amdhsa_accum_offset 84
		.amdhsa_reserve_vcc 1
		.amdhsa_float_round_mode_32 0
		.amdhsa_float_round_mode_16_64 0
		.amdhsa_float_denorm_mode_32 3
		.amdhsa_float_denorm_mode_16_64 3
		.amdhsa_dx10_clamp 1
		.amdhsa_ieee_mode 1
		.amdhsa_fp16_overflow 0
		.amdhsa_tg_split 0
		.amdhsa_exception_fp_ieee_invalid_op 0
		.amdhsa_exception_fp_denorm_src 0
		.amdhsa_exception_fp_ieee_div_zero 0
		.amdhsa_exception_fp_ieee_overflow 0
		.amdhsa_exception_fp_ieee_underflow 0
		.amdhsa_exception_fp_ieee_inexact 0
		.amdhsa_exception_int_div_zero 0
	.end_amdhsa_kernel
	.section	.text._ZL15flash_attn_tileILi128ELi128ELi2ELi8ELb1EEvPKcS1_S1_S1_S1_PKiPfP15HIP_vector_typeIfLj2EEffffjfiS5_IjLj3EEiiiiiiiiiiiliiliiiiil,"axG",@progbits,_ZL15flash_attn_tileILi128ELi128ELi2ELi8ELb1EEvPKcS1_S1_S1_S1_PKiPfP15HIP_vector_typeIfLj2EEffffjfiS5_IjLj3EEiiiiiiiiiiiliiliiiiil,comdat
.Lfunc_end73:
	.size	_ZL15flash_attn_tileILi128ELi128ELi2ELi8ELb1EEvPKcS1_S1_S1_S1_PKiPfP15HIP_vector_typeIfLj2EEffffjfiS5_IjLj3EEiiiiiiiiiiiliiliiiiil, .Lfunc_end73-_ZL15flash_attn_tileILi128ELi128ELi2ELi8ELb1EEvPKcS1_S1_S1_S1_PKiPfP15HIP_vector_typeIfLj2EEffffjfiS5_IjLj3EEiiiiiiiiiiiliiliiiiil
                                        ; -- End function
	.set _ZL15flash_attn_tileILi128ELi128ELi2ELi8ELb1EEvPKcS1_S1_S1_S1_PKiPfP15HIP_vector_typeIfLj2EEffffjfiS5_IjLj3EEiiiiiiiiiiiliiliiiiil.num_vgpr, 84
	.set _ZL15flash_attn_tileILi128ELi128ELi2ELi8ELb1EEvPKcS1_S1_S1_S1_PKiPfP15HIP_vector_typeIfLj2EEffffjfiS5_IjLj3EEiiiiiiiiiiiliiliiiiil.num_agpr, 0
	.set _ZL15flash_attn_tileILi128ELi128ELi2ELi8ELb1EEvPKcS1_S1_S1_S1_PKiPfP15HIP_vector_typeIfLj2EEffffjfiS5_IjLj3EEiiiiiiiiiiiliiliiiiil.numbered_sgpr, 40
	.set _ZL15flash_attn_tileILi128ELi128ELi2ELi8ELb1EEvPKcS1_S1_S1_S1_PKiPfP15HIP_vector_typeIfLj2EEffffjfiS5_IjLj3EEiiiiiiiiiiiliiliiiiil.num_named_barrier, 0
	.set _ZL15flash_attn_tileILi128ELi128ELi2ELi8ELb1EEvPKcS1_S1_S1_S1_PKiPfP15HIP_vector_typeIfLj2EEffffjfiS5_IjLj3EEiiiiiiiiiiiliiliiiiil.private_seg_size, 0
	.set _ZL15flash_attn_tileILi128ELi128ELi2ELi8ELb1EEvPKcS1_S1_S1_S1_PKiPfP15HIP_vector_typeIfLj2EEffffjfiS5_IjLj3EEiiiiiiiiiiiliiliiiiil.uses_vcc, 1
	.set _ZL15flash_attn_tileILi128ELi128ELi2ELi8ELb1EEvPKcS1_S1_S1_S1_PKiPfP15HIP_vector_typeIfLj2EEffffjfiS5_IjLj3EEiiiiiiiiiiiliiliiiiil.uses_flat_scratch, 0
	.set _ZL15flash_attn_tileILi128ELi128ELi2ELi8ELb1EEvPKcS1_S1_S1_S1_PKiPfP15HIP_vector_typeIfLj2EEffffjfiS5_IjLj3EEiiiiiiiiiiiliiliiiiil.has_dyn_sized_stack, 0
	.set _ZL15flash_attn_tileILi128ELi128ELi2ELi8ELb1EEvPKcS1_S1_S1_S1_PKiPfP15HIP_vector_typeIfLj2EEffffjfiS5_IjLj3EEiiiiiiiiiiiliiliiiiil.has_recursion, 0
	.set _ZL15flash_attn_tileILi128ELi128ELi2ELi8ELb1EEvPKcS1_S1_S1_S1_PKiPfP15HIP_vector_typeIfLj2EEffffjfiS5_IjLj3EEiiiiiiiiiiiliiliiiiil.has_indirect_call, 0
	.section	.AMDGPU.csdata,"",@progbits
; Kernel info:
; codeLenInByte = 14200
; TotalNumSgprs: 46
; NumVgprs: 84
; NumAgprs: 0
; TotalNumVgprs: 84
; ScratchSize: 0
; MemoryBound: 0
; FloatMode: 240
; IeeeMode: 1
; LDSByteSize: 23552 bytes/workgroup (compile time only)
; SGPRBlocks: 12
; VGPRBlocks: 10
; NumSGPRsForWavesPerEU: 97
; NumVGPRsForWavesPerEU: 84
; AccumOffset: 84
; Occupancy: 5
; WaveLimiterHint : 1
; COMPUTE_PGM_RSRC2:SCRATCH_EN: 0
; COMPUTE_PGM_RSRC2:USER_SGPR: 2
; COMPUTE_PGM_RSRC2:TRAP_HANDLER: 0
; COMPUTE_PGM_RSRC2:TGID_X_EN: 1
; COMPUTE_PGM_RSRC2:TGID_Y_EN: 1
; COMPUTE_PGM_RSRC2:TGID_Z_EN: 1
; COMPUTE_PGM_RSRC2:TIDIG_COMP_CNT: 1
; COMPUTE_PGM_RSRC3_GFX90A:ACCUM_OFFSET: 20
; COMPUTE_PGM_RSRC3_GFX90A:TG_SPLIT: 0
	.section	.text._ZL15flash_attn_tileILi128ELi128ELi1ELi8ELb1EEvPKcS1_S1_S1_S1_PKiPfP15HIP_vector_typeIfLj2EEffffjfiS5_IjLj3EEiiiiiiiiiiiliiliiiiil,"axG",@progbits,_ZL15flash_attn_tileILi128ELi128ELi1ELi8ELb1EEvPKcS1_S1_S1_S1_PKiPfP15HIP_vector_typeIfLj2EEffffjfiS5_IjLj3EEiiiiiiiiiiiliiliiiiil,comdat
	.globl	_ZL15flash_attn_tileILi128ELi128ELi1ELi8ELb1EEvPKcS1_S1_S1_S1_PKiPfP15HIP_vector_typeIfLj2EEffffjfiS5_IjLj3EEiiiiiiiiiiiliiliiiiil ; -- Begin function _ZL15flash_attn_tileILi128ELi128ELi1ELi8ELb1EEvPKcS1_S1_S1_S1_PKiPfP15HIP_vector_typeIfLj2EEffffjfiS5_IjLj3EEiiiiiiiiiiiliiliiiiil
	.p2align	8
	.type	_ZL15flash_attn_tileILi128ELi128ELi1ELi8ELb1EEvPKcS1_S1_S1_S1_PKiPfP15HIP_vector_typeIfLj2EEffffjfiS5_IjLj3EEiiiiiiiiiiiliiliiiiil,@function
_ZL15flash_attn_tileILi128ELi128ELi1ELi8ELb1EEvPKcS1_S1_S1_S1_PKiPfP15HIP_vector_typeIfLj2EEffffjfiS5_IjLj3EEiiiiiiiiiiiliiliiiiil: ; @_ZL15flash_attn_tileILi128ELi128ELi1ELi8ELb1EEvPKcS1_S1_S1_S1_PKiPfP15HIP_vector_typeIfLj2EEffffjfiS5_IjLj3EEiiiiiiiiiiiliiliiiiil
; %bb.0:
	s_load_dwordx4 s[20:23], s[0:1], 0x5c
	s_load_dwordx2 s[28:29], s[0:1], 0x80
	s_load_dwordx2 s[34:35], s[0:1], 0xb8
	s_mov_b64 s[30:31], 0
	s_waitcnt lgkmcnt(0)
	s_ashr_i32 s5, s23, 31
	s_lshr_b32 s5, s5, 29
	s_add_i32 s5, s23, s5
	s_ashr_i32 s5, s5, 3
	v_cvt_f32_u32_e32 v1, s5
	s_sub_i32 s6, 0, s5
	v_rcp_iflag_f32_e32 v1, v1
	s_nop 0
	v_mul_f32_e32 v1, 0x4f7ffffe, v1
	v_cvt_u32_f32_e32 v1, v1
	s_nop 0
	v_readfirstlane_b32 s7, v1
	s_mul_i32 s6, s6, s7
	s_mul_hi_u32 s6, s7, s6
	s_add_i32 s7, s7, s6
	s_mul_hi_u32 s6, s4, s7
	s_mul_i32 s7, s6, s5
	s_sub_i32 s7, s4, s7
	s_add_i32 s8, s6, 1
	s_sub_i32 s9, s7, s5
	s_cmp_ge_u32 s7, s5
	s_cselect_b32 s6, s8, s6
	s_cselect_b32 s7, s9, s7
	s_add_i32 s8, s6, 1
	s_cmp_ge_u32 s7, s5
	s_cselect_b32 s33, s8, s6
	s_abs_i32 s5, s29
	v_cvt_f32_u32_e32 v1, s5
	s_lshl_b32 s4, s4, 3
	s_mul_i32 s8, s33, s23
	s_xor_b32 s6, s23, s29
	v_rcp_iflag_f32_e32 v1, v1
	s_sub_i32 s9, 0, s5
	s_sub_i32 s29, s4, s8
	s_abs_i32 s7, s23
	v_mul_f32_e32 v1, 0x4f7ffffe, v1
	v_cvt_u32_f32_e32 v1, v1
	s_ashr_i32 s6, s6, 31
	v_readfirstlane_b32 s4, v1
	s_mul_i32 s9, s9, s4
	s_mul_hi_u32 s8, s4, s9
	s_add_i32 s4, s4, s8
	s_mul_hi_u32 s4, s7, s4
	s_mul_i32 s8, s4, s5
	s_sub_i32 s7, s7, s8
	s_add_i32 s9, s4, 1
	s_sub_i32 s8, s7, s5
	s_cmp_ge_u32 s7, s5
	s_cselect_b32 s4, s9, s4
	s_cselect_b32 s7, s8, s7
	s_add_i32 s8, s4, 1
	s_cmp_ge_u32 s7, s5
	s_cselect_b32 s4, s8, s4
	s_xor_b32 s4, s4, s6
	s_sub_i32 s37, s4, s6
	s_abs_i32 s36, s37
	v_cvt_f32_u32_e32 v1, s36
	s_load_dwordx16 s[4:19], s[0:1], 0x0
	v_rcp_iflag_f32_e32 v1, v1
	s_waitcnt lgkmcnt(0)
	s_cmp_eq_u64 s[10:11], 0
	v_mul_f32_e32 v1, 0x4f7ffffe, v1
	v_cvt_u32_f32_e32 v1, v1
	s_nop 0
	v_readfirstlane_b32 s38, v1
	s_cbranch_scc1 .LBB74_2
; %bb.1:
	s_abs_i32 s26, s34
	v_cvt_f32_u32_e32 v1, s26
	s_sub_i32 s31, 0, s26
	s_abs_i32 s30, s33
	s_ashr_i32 s27, s33, 31
	v_rcp_iflag_f32_e32 v1, v1
	s_load_dwordx2 s[24:25], s[0:1], 0xc8
	v_mul_f32_e32 v1, 0x4f7ffffe, v1
	v_cvt_u32_f32_e32 v1, v1
	s_nop 0
	v_readfirstlane_b32 s34, v1
	s_mul_i32 s31, s31, s34
	s_mul_hi_u32 s31, s34, s31
	s_add_i32 s34, s34, s31
	s_mul_hi_u32 s31, s30, s34
	s_mul_i32 s31, s31, s26
	s_sub_i32 s30, s30, s31
	s_sub_i32 s31, s30, s26
	s_cmp_ge_u32 s30, s26
	s_cselect_b32 s30, s31, s30
	s_sub_i32 s31, s30, s26
	s_cmp_ge_u32 s30, s26
	s_cselect_b32 s26, s31, s30
	s_xor_b32 s26, s26, s27
	s_sub_i32 s26, s26, s27
	s_ashr_i32 s27, s26, 31
	s_waitcnt lgkmcnt(0)
	s_mul_hi_u32 s30, s24, s26
	s_mul_i32 s27, s24, s27
	s_mul_i32 s25, s25, s26
	s_add_i32 s27, s30, s27
	s_add_i32 s27, s27, s25
	s_mul_i32 s24, s24, s26
	s_add_u32 s30, s10, s24
	s_addc_u32 s31, s11, s27
.LBB74_2:
	s_load_dwordx4 s[24:27], s[0:1], 0x70
	v_bfe_u32 v24, v0, 10, 3
	v_lshrrev_b32_e32 v1, 10, v0
	v_bfe_u32 v1, v1, 3, 7
	s_waitcnt lgkmcnt(0)
	s_mul_i32 s10, s33, s26
	s_ashr_i32 s26, s10, 31
	s_mul_i32 s11, s29, s25
	s_add_u32 s4, s4, s10
	s_addc_u32 s5, s5, s26
	s_ashr_i32 s10, s11, 31
	s_add_u32 s4, s4, s11
	s_addc_u32 s5, s5, s10
	s_ashr_i32 s11, s25, 31
	s_mov_b32 s10, s25
	s_lshr_b64 s[26:27], s[10:11], 2
	s_lshr_b32 s25, s11, 2
	v_mad_u64_u32 v[4:5], s[10:11], s26, v24, 0
	v_mov_b32_e32 v2, v5
	v_mad_u64_u32 v[2:3], s[10:11], s25, v24, v[2:3]
	v_add_u32_e32 v3, s2, v1
	v_mul_hi_u32 v1, s20, v3
	v_add_u32_e32 v1, v3, v1
	v_lshrrev_b32_e32 v1, s21, v1
	v_mul_lo_u32 v1, v1, s22
	s_ashr_i32 s25, s24, 31
	v_sub_u32_e32 v12, v3, v1
	s_lshr_b64 s[10:11], s[24:25], 2
	v_mad_u64_u32 v[6:7], s[10:11], s10, v12, 0
	v_mov_b32_e32 v5, v2
	v_mov_b32_e32 v2, v7
	s_lshr_b32 s10, s25, 2
	v_mad_u64_u32 v[8:9], s[10:11], s10, v12, v[2:3]
	v_mov_b32_e32 v7, v8
	v_and_b32_e32 v2, 0x3ff, v0
	v_lshl_add_u64 v[4:5], v[4:5], 2, s[4:5]
	v_lshl_add_u64 v[4:5], v[6:7], 2, v[4:5]
	v_lshlrev_b32_e32 v6, 4, v2
	v_mov_b32_e32 v7, 0
	v_lshl_add_u64 v[4:5], v[4:5], 0, v[6:7]
	global_load_dwordx4 v[4:7], v[4:5], off
	s_load_dword s4, s[0:1], 0x40
	v_bfe_u32 v0, v0, 10, 10
	v_mov_b32_e32 v1, 0x4400
	v_lshlrev_b32_e32 v26, 3, v2
	v_lshl_add_u32 v27, v0, 8, v1
	v_add_u32_e32 v1, v27, v26
	s_cmp_eq_u64 s[14:15], 0
	s_waitcnt vmcnt(0) lgkmcnt(0)
	v_fma_mixlo_f16 v8, s4, v4, 0
	v_mov_b32_e32 v4, v7
	v_pk_mul_f32 v[4:5], s[4:5], v[4:5] op_sel_hi:[0,1]
	v_cvt_pk_f16_f32 v4, v4, v5
	v_fma_mixlo_f16 v6, s4, v6, 0
	v_and_b32_e32 v7, 0xffff, v8
	v_lshlrev_b32_e32 v5, 16, v4
	v_and_b32_e32 v4, 0xffff0000, v4
	v_and_b32_e32 v6, 0xffff, v6
	v_or_b32_e32 v4, v4, v7
	v_or3_b32 v5, v5, v6, 0
	v_or3_b32 v4, 0, 0, v4
	ds_write_b64 v1, v[4:5]
	s_waitcnt lgkmcnt(0)
	s_barrier
	s_cbranch_scc1 .LBB74_4
; %bb.3:
	s_load_dword s4, s[0:1], 0xd0
	s_mov_b32 s5, 0
	s_waitcnt lgkmcnt(0)
	s_mul_i32 s4, s4, s33
	s_add_i32 s4, s4, s2
	s_lshl_b64 s[4:5], s[4:5], 2
	s_add_u32 s4, s14, s4
	s_addc_u32 s5, s15, s5
	s_load_dword s28, s[4:5], 0x0
.LBB74_4:
	s_lshl_b32 s2, s3, 6
	s_waitcnt lgkmcnt(0)
	s_cmp_lt_i32 s2, s28
	v_mbcnt_lo_u32_b32 v22, -1, 0
	s_cbranch_scc1 .LBB74_9
; %bb.5:
	v_mbcnt_hi_u32_b32 v13, -1, v22
	v_and_b32_e32 v1, 0x60, v13
	v_add_u32_e32 v45, 32, v1
	v_xor_b32_e32 v44, 16, v13
	v_xor_b32_e32 v43, 8, v13
	;; [unrolled: 1-line block ×5, first 2 shown]
	v_lshlrev_b32_e32 v25, 2, v2
	s_cbranch_execz .LBB74_10
; %bb.6:
	v_mov_b32_e32 v39, 0
	v_mov_b32_e32 v48, 0
	;; [unrolled: 1-line block ×4, first 2 shown]
.LBB74_7:
	v_cmp_lt_i32_e32 vcc, v44, v45
	s_cmp_lg_u64 s[12:13], 0
	s_cselect_b64 s[4:5], -1, 0
	v_cndmask_b32_e32 v0, v13, v44, vcc
	v_lshlrev_b32_e32 v0, 2, v0
	ds_bpermute_b32 v0, v0, v48
	v_cmp_lt_i32_e32 vcc, v43, v45
	s_cmp_eq_u32 s3, 0
	s_cselect_b64 s[6:7], -1, 0
	v_cndmask_b32_e32 v1, v13, v43, vcc
	v_lshlrev_b32_e32 v1, 2, v1
	s_waitcnt lgkmcnt(0)
	v_add_f32_e32 v0, v48, v0
	ds_bpermute_b32 v1, v1, v0
	v_cmp_lt_i32_e32 vcc, v23, v45
	s_and_b64 s[4:5], s[6:7], s[4:5]
	s_waitcnt lgkmcnt(0)
	v_add_f32_e32 v0, v0, v1
	v_cndmask_b32_e32 v4, v13, v23, vcc
	v_lshlrev_b32_e32 v4, 2, v4
	ds_bpermute_b32 v1, v4, v0
	v_cmp_lt_i32_e32 vcc, v46, v45
	s_waitcnt lgkmcnt(0)
	v_add_f32_e32 v1, v0, v1
	v_cndmask_b32_e32 v4, v13, v46, vcc
	v_lshlrev_b32_e32 v4, 2, v4
	ds_bpermute_b32 v4, v4, v1
	v_cmp_lt_i32_e32 vcc, v47, v45
	v_add_u32_e32 v0, s29, v24
	s_waitcnt lgkmcnt(0)
	v_add_f32_e32 v1, v1, v4
	v_cndmask_b32_e32 v5, v13, v47, vcc
	v_lshlrev_b32_e32 v5, 2, v5
	ds_bpermute_b32 v4, v5, v1
	s_and_b64 vcc, exec, s[4:5]
	s_waitcnt lgkmcnt(0)
	v_add_f32_e32 v23, v1, v4
	s_cbranch_vccz .LBB74_21
; %bb.8:
	v_ashrrev_i32_e32 v1, 31, v0
	v_lshl_add_u64 v[4:5], v[0:1], 2, s[12:13]
	global_load_dword v1, v[4:5], off
	v_max_f32_e32 v4, v22, v22
	s_mov_b32 s2, 0x3fb8aa3b
	s_mov_b32 s4, 0xc2ce8ed0
	s_waitcnt vmcnt(0)
	v_max_f32_e32 v5, v1, v1
	v_max_f32_e32 v4, v4, v5
	v_sub_f32_e32 v5, v22, v4
	v_sub_f32_e32 v1, v1, v4
	v_mul_f32_e32 v6, 0x3fb8aa3b, v5
	v_mul_f32_e32 v7, 0x3fb8aa3b, v1
	v_fma_f32 v8, v5, s2, -v6
	v_rndne_f32_e32 v9, v6
	v_fma_f32 v10, v1, s2, -v7
	v_rndne_f32_e32 v11, v7
	v_fmac_f32_e32 v8, 0x32a5705f, v5
	v_sub_f32_e32 v6, v6, v9
	v_fmac_f32_e32 v10, 0x32a5705f, v1
	v_sub_f32_e32 v7, v7, v11
	v_add_f32_e32 v6, v6, v8
	v_cvt_i32_f32_e32 v9, v9
	v_add_f32_e32 v7, v7, v10
	v_exp_f32_e32 v6, v6
	v_cvt_i32_f32_e32 v11, v11
	v_exp_f32_e32 v7, v7
	v_cmp_ngt_f32_e32 vcc, s4, v5
	v_ldexp_f32 v6, v6, v9
	s_mov_b32 s2, 0x42b17218
	v_ldexp_f32 v7, v7, v11
	v_cndmask_b32_e32 v6, 0, v6, vcc
	v_cmp_ngt_f32_e32 vcc, s4, v1
	v_mov_b32_e32 v8, 0x7f800000
	s_nop 0
	v_cndmask_b32_e32 v7, 0, v7, vcc
	v_cmp_nlt_f32_e32 vcc, s2, v5
	s_nop 1
	v_cndmask_b32_e32 v6, v8, v6, vcc
	v_cvt_f16_f32_e32 v9, v6
	v_cmp_nlt_f32_e32 vcc, s2, v1
	v_mul_u32_u24_e32 v1, 0x10001, v9
	s_nop 0
	v_cndmask_b32_e32 v5, v8, v7, vcc
	v_fmac_f32_e32 v5, v23, v6
	v_pk_mul_f16 v40, v40, v1
	v_pk_mul_f16 v39, v39, v1
	v_mov_b64_e32 v[22:23], v[4:5]
	s_branch .LBB74_22
.LBB74_9:
                                        ; implicit-def: $vgpr13
                                        ; implicit-def: $vgpr45
                                        ; implicit-def: $vgpr44
                                        ; implicit-def: $vgpr43
                                        ; implicit-def: $vgpr23
                                        ; implicit-def: $vgpr46
                                        ; implicit-def: $vgpr47
	v_lshlrev_b32_e32 v25, 2, v2
.LBB74_10:
	s_sub_i32 s4, 0, s36
	s_mul_i32 s4, s4, s38
	s_mul_hi_u32 s4, s38, s4
	s_add_i32 s38, s38, s4
	s_load_dwordx4 s[24:27], s[0:1], 0x98
	s_load_dword s10, s[0:1], 0x54
	s_load_dwordx2 s[4:5], s[0:1], 0x8c
	s_ashr_i32 s34, s37, 31
	s_abs_i32 s15, s29
	s_waitcnt lgkmcnt(0)
	s_ashr_i32 s11, s26, 2
	s_ashr_i32 s26, s35, 1
	;; [unrolled: 1-line block ×4, first 2 shown]
	s_mul_hi_u32 s35, s24, s33
	s_mul_i32 s37, s24, s4
	s_add_i32 s35, s35, s37
	s_mul_i32 s25, s25, s33
	s_mul_hi_u32 s20, s15, s38
	s_ashr_i32 s21, s29, 31
	s_add_i32 s35, s35, s25
	s_mul_i32 s24, s24, s33
	s_add_u32 s6, s6, s24
	s_mul_i32 s24, s20, s36
	s_addc_u32 s7, s7, s35
	s_sub_i32 s15, s15, s24
	s_xor_b32 s21, s21, s34
	s_add_i32 s24, s20, 1
	s_sub_i32 s25, s15, s36
	s_cmp_ge_u32 s15, s36
	s_cselect_b32 s20, s24, s20
	s_cselect_b32 s15, s25, s15
	s_add_i32 s24, s20, 1
	s_cmp_ge_u32 s15, s36
	s_load_dwordx2 s[38:39], s[0:1], 0xa8
	s_cselect_b32 s15, s24, s20
	s_xor_b32 s15, s15, s21
	s_sub_i32 s21, s15, s21
	s_mul_i32 s5, s21, s5
	s_ashr_i32 s20, s5, 31
	s_add_u32 s15, s6, s5
	s_waitcnt lgkmcnt(0)
	s_mul_hi_u32 s5, s38, s33
	s_mul_i32 s4, s38, s4
	s_addc_u32 s20, s7, s20
	s_add_i32 s4, s5, s4
	s_mul_i32 s5, s39, s33
	s_add_i32 s4, s4, s5
	s_mul_i32 s5, s38, s33
	s_add_u32 s5, s8, s5
	s_mul_i32 s21, s21, s27
	s_addc_u32 s4, s9, s4
	s_ashr_i32 s6, s21, 31
	s_add_u32 s8, s5, s21
	v_lshrrev_b32_e32 v1, 4, v2
	v_and_b32_e32 v38, 60, v25
	s_addc_u32 s9, s4, s6
	v_lshl_add_u32 v14, v0, 1, v1
	v_lshlrev_b32_e32 v15, 2, v38
	s_movk_i32 s4, 0x110
	v_mad_u32_u24 v28, v14, s4, v15
	v_mul_lo_u32 v4, s14, v14
	s_lshl_b32 s4, s14, 4
	v_add_u32_e32 v6, s4, v4
	v_add_u32_e32 v8, s4, v6
	;; [unrolled: 1-line block ×3, first 2 shown]
	v_mad_u64_u32 v[12:13], s[4:5], v12, s26, v[2:3]
	v_lshl_or_b32 v33, v14, 8, v15
	v_mul_lo_u32 v14, s11, v14
	s_lshl_b32 s4, s11, 4
	v_add_u32_e32 v16, s4, v14
	v_mov_b32_e32 v13, 0x4c00
	v_add_u32_e32 v18, s4, v16
	v_mov_b32_e32 v1, 0
	v_lshl_add_u32 v31, v0, 7, v13
	v_add_u32_e32 v20, s4, v18
	s_add_u32 s4, s0, 0xd0
                                        ; implicit-def: $vgpr13
                                        ; implicit-def: $vgpr13
	;; [unrolled: 1-line block ×3, first 2 shown]
	v_ashrrev_i32_e32 v5, 31, v4
	v_ashrrev_i32_e32 v7, 31, v6
	;; [unrolled: 1-line block ×3, first 2 shown]
	v_add_u32_e32 v29, 0x3300, v28
	v_ashrrev_i32_e32 v11, 31, v10
	v_mul_u32_u24_e32 v30, 0x110, v2
	v_lshl_add_u32 v32, v2, 1, v31
	v_ashrrev_i32_e32 v15, 31, v14
	v_add_u32_e32 v34, 0x1000, v33
	v_ashrrev_i32_e32 v17, 31, v16
	v_add_u32_e32 v35, 0x2000, v33
	;; [unrolled: 2-line block ×3, first 2 shown]
	v_ashrrev_i32_e32 v21, 31, v20
	s_addc_u32 s5, s1, 0
	v_mov_b32_e32 v42, 0xfeffffff
	v_lshlrev_b32_e32 v0, 2, v38
	s_mov_b32 s21, 0x3f200000
	s_mov_b32 s24, 0x3fb8aa3b
	;; [unrolled: 1-line block ×4, first 2 shown]
	v_mov_b32_e32 v37, 0x3ca908c9
	s_brev_b32 s27, -2
	s_mov_b32 s34, 0x10001
	v_mov_b32_e32 v38, 0x7f800000
	v_mbcnt_hi_u32_b32 v13, -1, v22
	v_mov_b32_e32 v40, v1
	v_mov_b32_e32 v39, v1
	;; [unrolled: 1-line block ×3, first 2 shown]
.LBB74_11:                              ; =>This Inner Loop Header: Depth=1
	s_mul_hi_i32 s7, s2, s14
	s_mul_i32 s6, s2, s14
	s_lshl_b64 s[6:7], s[6:7], 2
	s_add_u32 s6, s15, s6
	s_addc_u32 s7, s20, s7
	v_lshl_add_u64 v[22:23], v[4:5], 2, s[6:7]
	v_lshl_add_u64 v[22:23], v[22:23], 0, v[0:1]
	;; [unrolled: 1-line block ×4, first 2 shown]
	global_load_dwordx4 v[44:47], v[22:23], off
	global_load_dwordx4 v[48:51], v[52:53], off
	v_lshl_add_u64 v[22:23], v[8:9], 2, s[6:7]
	v_lshl_add_u64 v[22:23], v[22:23], 0, v[0:1]
	;; [unrolled: 1-line block ×4, first 2 shown]
	global_load_dwordx4 v[52:55], v[22:23], off
	global_load_dwordx4 v[56:59], v[60:61], off
	v_add_u32_e32 v22, 0x1100, v28
	v_add_u32_e32 v23, 0x2200, v28
	v_mov_b32_e32 v43, 0
	s_waitcnt vmcnt(3)
	ds_write_b128 v28, v[44:47]
	s_waitcnt vmcnt(2)
	ds_write_b128 v22, v[48:51]
	;; [unrolled: 2-line block ×4, first 2 shown]
	s_waitcnt lgkmcnt(0)
	s_barrier
	ds_read_b128 v[46:49], v30
	ds_read_b128 v[50:53], v27
	ds_read_b128 v[54:57], v30 offset:8704
	s_waitcnt lgkmcnt(1)
	;;#ASMSTART
	v_dot2_f32_f16 v43, v46, v50, v43
	;;#ASMEND
	s_nop 0
	;;#ASMSTART
	v_dot2_f32_f16 v43, v47, v51, v43
	;;#ASMEND
	v_mov_b32_e32 v45, 0
	;;#ASMSTART
	v_dot2_f32_f16 v43, v48, v52, v43
	;;#ASMEND
                                        ; implicit-def: $vgpr44
	s_nop 0
	;;#ASMSTART
	v_dot2_f32_f16 v43, v49, v53, v43
	;;#ASMEND
	s_waitcnt lgkmcnt(0)
	;;#ASMSTART
	v_dot2_f32_f16 v45, v54, v50, v45
	;;#ASMEND
	s_nop 0
	;;#ASMSTART
	v_dot2_f32_f16 v45, v55, v51, v45
	;;#ASMEND
	s_nop 0
	;;#ASMSTART
	v_dot2_f32_f16 v45, v56, v52, v45
	;;#ASMEND
	s_nop 0
	;;#ASMSTART
	v_dot2_f32_f16 v45, v57, v53, v45
	;;#ASMEND
	ds_read_b128 v[46:49], v30 offset:16
	ds_read_b128 v[50:53], v27 offset:16
	ds_read_b128 v[54:57], v30 offset:8720
	s_waitcnt lgkmcnt(1)
	;;#ASMSTART
	v_dot2_f32_f16 v43, v46, v50, v43
	;;#ASMEND
	s_nop 0
	;;#ASMSTART
	v_dot2_f32_f16 v43, v47, v51, v43
	;;#ASMEND
	s_nop 0
	;;#ASMSTART
	v_dot2_f32_f16 v43, v48, v52, v43
	;;#ASMEND
	s_nop 0
	;;#ASMSTART
	v_dot2_f32_f16 v43, v49, v53, v43
	;;#ASMEND
	s_waitcnt lgkmcnt(0)
	;;#ASMSTART
	v_dot2_f32_f16 v45, v54, v50, v45
	;;#ASMEND
	s_nop 0
	;;#ASMSTART
	v_dot2_f32_f16 v45, v55, v51, v45
	;;#ASMEND
	s_nop 0
	;;#ASMSTART
	v_dot2_f32_f16 v45, v56, v52, v45
	;;#ASMEND
	s_nop 0
	;;#ASMSTART
	v_dot2_f32_f16 v45, v57, v53, v45
	;;#ASMEND
	ds_read_b128 v[46:49], v30 offset:32
	ds_read_b128 v[50:53], v27 offset:32
	ds_read_b128 v[54:57], v30 offset:8736
	s_waitcnt lgkmcnt(1)
	;;#ASMSTART
	v_dot2_f32_f16 v43, v46, v50, v43
	;;#ASMEND
	s_nop 0
	;;#ASMSTART
	v_dot2_f32_f16 v43, v47, v51, v43
	;;#ASMEND
	s_nop 0
	;;#ASMSTART
	v_dot2_f32_f16 v43, v48, v52, v43
	;;#ASMEND
	;; [unrolled: 35-line block ×15, first 2 shown]
	s_nop 0
	;;#ASMSTART
	v_dot2_f32_f16 v43, v49, v53, v43
	;;#ASMEND
	s_waitcnt lgkmcnt(0)
	;;#ASMSTART
	v_dot2_f32_f16 v45, v54, v50, v45
	;;#ASMEND
	s_nop 0
	;;#ASMSTART
	v_dot2_f32_f16 v45, v55, v51, v45
	;;#ASMEND
	v_cmp_nlt_f32_e64 s[6:7], |v43|, s21
	;;#ASMSTART
	v_dot2_f32_f16 v45, v56, v52, v45
	;;#ASMEND
	s_nop 0
	;;#ASMSTART
	v_dot2_f32_f16 v45, v57, v53, v45
	;;#ASMEND
	s_and_saveexec_b64 s[36:37], s[6:7]
	s_xor_b64 s[6:7], exec, s[36:37]
	s_cbranch_execz .LBB74_13
; %bb.12:                               ;   in Loop: Header=BB74_11 Depth=1
	v_add_f32_e64 v22, |v43|, |v43|
	v_mul_f32_e32 v23, 0x3fb8aa3b, v22
	v_rndne_f32_e32 v44, v23
	v_sub_f32_e32 v46, v23, v44
	v_fma_f32 v23, v22, s24, -v23
	v_fmac_f32_e32 v23, 0x32a5705f, v22
	v_add_f32_e32 v23, v46, v23
	v_cvt_i32_f32_e32 v44, v44
	v_exp_f32_e32 v23, v23
	v_cmp_ngt_f32_e32 vcc, s25, v22
	v_ldexp_f32 v23, v23, v44
	s_nop 0
	v_cndmask_b32_e32 v23, 0, v23, vcc
	v_cmp_nlt_f32_e32 vcc, s26, v22
	s_nop 1
	v_cndmask_b32_e32 v22, v38, v23, vcc
	v_add_f32_e32 v22, 1.0, v22
	v_rcp_f32_e32 v22, v22
	s_nop 0
	v_fma_f32 v44, v22, -2.0, 1.0
.LBB74_13:                              ;   in Loop: Header=BB74_11 Depth=1
	s_andn2_saveexec_b64 s[6:7], s[6:7]
; %bb.14:                               ;   in Loop: Header=BB74_11 Depth=1
	v_mul_f32_e32 v22, v43, v43
	v_fmamk_f32 v23, v22, 0xbbbac73d, v37
	v_fmaak_f32 v23, v22, v23, 0xbd5c1c4e
	v_fmaak_f32 v23, v22, v23, 0x3e088382
	;; [unrolled: 1-line block ×3, first 2 shown]
	v_mul_f32_e64 v23, |v43|, v23
	v_fma_f32 v44, v22, v23, |v43|
; %bb.15:                               ;   in Loop: Header=BB74_11 Depth=1
	s_or_b64 exec, exec, s[6:7]
	v_add_u32_e32 v22, s2, v12
	v_ashrrev_i32_e32 v23, 31, v22
	v_lshl_add_u64 v[22:23], v[22:23], 1, s[30:31]
	global_load_ushort v46, v[22:23], off
	v_cmp_nlt_f32_e64 s[6:7], |v45|, s21
                                        ; implicit-def: $vgpr47
	s_and_saveexec_b64 s[36:37], s[6:7]
	s_xor_b64 s[6:7], exec, s[36:37]
	s_cbranch_execz .LBB74_17
; %bb.16:                               ;   in Loop: Header=BB74_11 Depth=1
	v_add_f32_e64 v47, |v45|, |v45|
	v_mul_f32_e32 v48, 0x3fb8aa3b, v47
	v_rndne_f32_e32 v49, v48
	v_sub_f32_e32 v50, v48, v49
	v_fma_f32 v48, v47, s24, -v48
	v_fmac_f32_e32 v48, 0x32a5705f, v47
	v_add_f32_e32 v48, v50, v48
	v_cvt_i32_f32_e32 v49, v49
	v_exp_f32_e32 v48, v48
	v_cmp_ngt_f32_e32 vcc, s25, v47
	v_ldexp_f32 v48, v48, v49
	s_nop 0
	v_cndmask_b32_e32 v48, 0, v48, vcc
	v_cmp_nlt_f32_e32 vcc, s26, v47
	s_nop 1
	v_cndmask_b32_e32 v47, v38, v48, vcc
	v_add_f32_e32 v47, 1.0, v47
	v_rcp_f32_e32 v47, v47
	s_nop 0
	v_fma_f32 v47, v47, -2.0, 1.0
.LBB74_17:                              ;   in Loop: Header=BB74_11 Depth=1
	s_andn2_saveexec_b64 s[6:7], s[6:7]
; %bb.18:                               ;   in Loop: Header=BB74_11 Depth=1
	v_mul_f32_e32 v47, v45, v45
	v_fmamk_f32 v48, v47, 0xbbbac73d, v37
	v_fmaak_f32 v48, v47, v48, 0xbd5c1c4e
	v_fmaak_f32 v48, v47, v48, 0x3e088382
	;; [unrolled: 1-line block ×3, first 2 shown]
	v_mul_f32_e64 v48, |v45|, v48
	v_fma_f32 v47, v47, v48, |v45|
; %bb.19:                               ;   in Loop: Header=BB74_11 Depth=1
	s_or_b64 exec, exec, s[6:7]
	global_load_ushort v22, v[22:23], off offset:64
	v_and_b32_e32 v49, 0x60, v13
	v_bfi_b32 v48, s27, v44, v43
	v_xor_b32_e32 v43, 8, v13
	v_bfi_b32 v54, s27, v47, v45
	v_add_u32_e32 v45, 32, v49
	v_xor_b32_e32 v44, 16, v13
	v_cmp_lt_i32_e32 vcc, v43, v45
	s_waitcnt vmcnt(1)
	v_fma_mix_f32 v70, s10, v48, v46 op_sel_hi:[0,0,1]
	v_add_f32_e32 v55, 0x40051340, v70
	v_cndmask_b32_e32 v46, v13, v43, vcc
	v_cmp_lt_i32_e32 vcc, v44, v45
	s_mul_hi_i32 s7, s2, s11
	s_mul_i32 s6, s2, s11
	v_cndmask_b32_e32 v47, v13, v44, vcc
	v_lshlrev_b32_e32 v56, 2, v47
	s_lshl_b64 s[6:7], s[6:7], 2
	s_add_u32 s6, s8, s6
	s_addc_u32 s7, s9, s7
	v_lshlrev_b32_e32 v58, 2, v46
	v_lshl_add_u64 v[46:47], v[14:15], 2, s[6:7]
	v_lshl_add_u64 v[48:49], v[16:17], 2, s[6:7]
	;; [unrolled: 1-line block ×5, first 2 shown]
	s_barrier
	v_lshl_add_u64 v[48:49], v[48:49], 0, v[0:1]
	v_lshl_add_u64 v[66:67], v[50:51], 0, v[0:1]
	;; [unrolled: 1-line block ×3, first 2 shown]
	v_xor_b32_e32 v23, 4, v13
	v_cmp_lt_i32_e32 vcc, v23, v45
	s_waitcnt vmcnt(0)
	v_fma_mix_f32 v71, s10, v54, v22 op_sel_hi:[0,0,1]
	v_add_f32_e32 v22, 0x40051340, v71
	v_max3_f32 v22, v42, v55, v22
	ds_bpermute_b32 v59, v56, v22
	global_load_dwordx4 v[50:53], v[46:47], off
	global_load_dwordx4 v[54:57], v[48:49], off
	v_cndmask_b32_e32 v47, v13, v23, vcc
	v_lshlrev_b32_e32 v47, 2, v47
	s_waitcnt lgkmcnt(0)
	v_max_f32_e32 v46, v59, v59
	v_max_f32_e32 v22, v22, v46
	ds_bpermute_b32 v46, v58, v22
	global_load_dwordx4 v[58:61], v[66:67], off
	global_load_dwordx4 v[62:65], v[68:69], off
	s_waitcnt lgkmcnt(0)
	v_max_f32_e32 v46, v46, v46
	v_max_f32_e32 v22, v22, v46
	ds_bpermute_b32 v47, v47, v22
	v_xor_b32_e32 v46, 2, v13
	v_cmp_lt_i32_e32 vcc, v46, v45
	s_waitcnt lgkmcnt(0)
	v_max_f32_e32 v47, v47, v47
	v_cndmask_b32_e32 v48, v13, v46, vcc
	v_lshlrev_b32_e32 v48, 2, v48
	v_max_f32_e32 v22, v22, v47
	ds_bpermute_b32 v48, v48, v22
	v_xor_b32_e32 v47, 1, v13
	v_cmp_lt_i32_e32 vcc, v47, v45
	s_waitcnt lgkmcnt(0)
	v_max_f32_e32 v48, v48, v48
	v_cndmask_b32_e32 v49, v13, v47, vcc
	v_lshlrev_b32_e32 v49, 2, v49
	v_max_f32_e32 v22, v22, v48
	ds_bpermute_b32 v48, v49, v22
	s_waitcnt lgkmcnt(0)
	v_max_f32_e32 v48, v48, v48
	v_max_f32_e32 v22, v22, v48
	v_sub_f32_e32 v48, v70, v22
	v_sub_f32_e32 v49, v71, v22
	v_mul_f32_e32 v66, 0x3fb8aa3b, v48
	v_sub_f32_e32 v42, v42, v22
	v_mul_f32_e32 v67, 0x3fb8aa3b, v49
	v_fma_f32 v69, v48, s24, -v66
	v_rndne_f32_e32 v70, v66
	v_mul_f32_e32 v68, 0x3fb8aa3b, v42
	v_fma_f32 v71, v49, s24, -v67
	v_rndne_f32_e32 v72, v67
	v_fmac_f32_e32 v69, 0x32a5705f, v48
	v_sub_f32_e32 v66, v66, v70
	v_fma_f32 v73, v42, s24, -v68
	v_rndne_f32_e32 v74, v68
	v_fmac_f32_e32 v71, 0x32a5705f, v49
	v_sub_f32_e32 v67, v67, v72
	v_add_f32_e32 v66, v66, v69
	v_cvt_i32_f32_e32 v70, v70
	v_fmac_f32_e32 v73, 0x32a5705f, v42
	v_sub_f32_e32 v68, v68, v74
	v_add_f32_e32 v67, v67, v71
	v_exp_f32_e32 v66, v66
	v_cvt_i32_f32_e32 v72, v72
	v_add_f32_e32 v68, v68, v73
	v_exp_f32_e32 v67, v67
	v_cvt_i32_f32_e32 v74, v74
	v_exp_f32_e32 v68, v68
	v_ldexp_f32 v66, v66, v70
	v_cmp_ngt_f32_e32 vcc, s25, v48
	v_ldexp_f32 v67, v67, v72
	v_ldexp_f32 v68, v68, v74
	v_cndmask_b32_e32 v66, 0, v66, vcc
	v_cmp_ngt_f32_e32 vcc, s25, v49
	s_nop 1
	v_cndmask_b32_e32 v67, 0, v67, vcc
	v_cmp_ngt_f32_e32 vcc, s25, v42
	s_nop 1
	v_cndmask_b32_e32 v68, 0, v68, vcc
	v_cmp_nlt_f32_e32 vcc, s26, v48
	s_nop 1
	v_cndmask_b32_e32 v48, v38, v66, vcc
	v_cmp_nlt_f32_e32 vcc, s26, v49
	v_cvt_f16_f32_e32 v66, v48
	s_nop 0
	v_cndmask_b32_e32 v49, v38, v67, vcc
	v_cmp_nlt_f32_e32 vcc, s26, v42
	v_add_f32_e32 v48, v48, v49
	v_cvt_f16_f32_e32 v49, v49
	v_cndmask_b32_e32 v42, v38, v68, vcc
	v_cvt_f16_f32_e32 v67, v42
	v_fmac_f32_e32 v48, v41, v42
	ds_write_b16 v32, v66
	ds_write_b16 v32, v49 offset:64
	s_waitcnt vmcnt(3)
	ds_write_b128 v33, v[50:53]
	s_waitcnt vmcnt(2)
	ds_write_b128 v34, v[54:57]
	;; [unrolled: 2-line block ×4, first 2 shown]
	s_waitcnt lgkmcnt(0)
	v_mul_u32_u24_e32 v41, 0x10001, v67
	s_barrier
	ds_read2_b64 v[50:53], v26 offset1:32
	ds_read_b128 v[54:57], v31
	ds_read_b128 v[58:61], v31 offset:16
	ds_read_b128 v[62:65], v31 offset:32
	;; [unrolled: 1-line block ×3, first 2 shown]
	ds_read2_b64 v[70:73], v26 offset0:64 offset1:96
	s_waitcnt lgkmcnt(4)
	v_mul_u32_u24_sdwa v42, v54, s34 dst_sel:DWORD dst_unused:UNUSED_PAD src0_sel:WORD_0 src1_sel:DWORD
	v_pk_mul_f16 v49, v50, v42
	ds_read2_b64 v[74:77], v26 offset0:128 offset1:160
	v_pk_mul_f16 v42, v51, v42
	v_pk_fma_f16 v40, v40, v41, v49
	v_pk_fma_f16 v39, v39, v41, v42
	v_mul_u32_u24_sdwa v41, v54, s34 dst_sel:DWORD dst_unused:UNUSED_PAD src0_sel:WORD_1 src1_sel:DWORD
	v_mul_u32_u24_sdwa v42, v55, s34 dst_sel:DWORD dst_unused:UNUSED_PAD src0_sel:WORD_0 src1_sel:DWORD
	v_pk_fma_f16 v40, v52, v41, v40
	v_pk_fma_f16 v39, v53, v41, v39
	ds_read2_b64 v[50:53], v26 offset0:192 offset1:224
	v_mul_u32_u24_sdwa v41, v55, s34 dst_sel:DWORD dst_unused:UNUSED_PAD src0_sel:WORD_1 src1_sel:DWORD
	s_waitcnt lgkmcnt(2)
	v_pk_fma_f16 v40, v70, v42, v40
	v_pk_fma_f16 v39, v71, v42, v39
	v_mul_u32_u24_sdwa v49, v56, s34 dst_sel:DWORD dst_unused:UNUSED_PAD src0_sel:WORD_0 src1_sel:DWORD
	v_pk_fma_f16 v40, v72, v41, v40
	v_pk_fma_f16 v39, v73, v41, v39
	s_waitcnt lgkmcnt(1)
	v_pk_fma_f16 v40, v74, v49, v40
	v_pk_fma_f16 v39, v75, v49, v39
	v_mul_u32_u24_sdwa v41, v56, s34 dst_sel:DWORD dst_unused:UNUSED_PAD src0_sel:WORD_1 src1_sel:DWORD
	v_pk_fma_f16 v40, v76, v41, v40
	v_pk_fma_f16 v39, v77, v41, v39
	v_mul_u32_u24_sdwa v41, v57, s34 dst_sel:DWORD dst_unused:UNUSED_PAD src0_sel:WORD_0 src1_sel:DWORD
	s_waitcnt lgkmcnt(0)
	v_pk_fma_f16 v40, v50, v41, v40
	v_pk_fma_f16 v39, v51, v41, v39
	v_add_u32_e32 v41, 0x800, v26
	ds_read2_b64 v[70:73], v41 offset1:32
	v_mul_u32_u24_sdwa v42, v57, s34 dst_sel:DWORD dst_unused:UNUSED_PAD src0_sel:WORD_1 src1_sel:DWORD
	v_pk_fma_f16 v40, v52, v42, v40
	v_pk_fma_f16 v39, v53, v42, v39
	ds_read2_b64 v[50:53], v41 offset0:64 offset1:96
	v_mul_u32_u24_sdwa v42, v58, s34 dst_sel:DWORD dst_unused:UNUSED_PAD src0_sel:WORD_0 src1_sel:DWORD
	s_waitcnt lgkmcnt(1)
	v_pk_fma_f16 v40, v70, v42, v40
	v_pk_fma_f16 v39, v71, v42, v39
	v_mul_u32_u24_sdwa v42, v58, s34 dst_sel:DWORD dst_unused:UNUSED_PAD src0_sel:WORD_1 src1_sel:DWORD
	v_pk_fma_f16 v40, v72, v42, v40
	v_pk_fma_f16 v39, v73, v42, v39
	v_mul_u32_u24_sdwa v42, v59, s34 dst_sel:DWORD dst_unused:UNUSED_PAD src0_sel:WORD_0 src1_sel:DWORD
	ds_read2_b64 v[54:57], v41 offset0:128 offset1:160
	s_waitcnt lgkmcnt(1)
	v_pk_fma_f16 v40, v50, v42, v40
	v_pk_fma_f16 v39, v51, v42, v39
	v_mul_u32_u24_sdwa v42, v59, s34 dst_sel:DWORD dst_unused:UNUSED_PAD src0_sel:WORD_1 src1_sel:DWORD
	v_pk_fma_f16 v40, v52, v42, v40
	v_pk_fma_f16 v39, v53, v42, v39
	ds_read2_b64 v[50:53], v41 offset0:192 offset1:224
	v_mul_u32_u24_sdwa v42, v60, s34 dst_sel:DWORD dst_unused:UNUSED_PAD src0_sel:WORD_0 src1_sel:DWORD
	s_waitcnt lgkmcnt(1)
	v_pk_fma_f16 v40, v54, v42, v40
	v_pk_fma_f16 v39, v55, v42, v39
	v_mul_u32_u24_sdwa v41, v60, s34 dst_sel:DWORD dst_unused:UNUSED_PAD src0_sel:WORD_1 src1_sel:DWORD
	v_pk_fma_f16 v40, v56, v41, v40
	v_pk_fma_f16 v39, v57, v41, v39
	v_mul_u32_u24_sdwa v41, v61, s34 dst_sel:DWORD dst_unused:UNUSED_PAD src0_sel:WORD_0 src1_sel:DWORD
	s_waitcnt lgkmcnt(0)
	v_pk_fma_f16 v40, v50, v41, v40
	v_pk_fma_f16 v39, v51, v41, v39
	v_add_u32_e32 v41, 0x1000, v26
	ds_read2_b64 v[54:57], v41 offset1:32
	v_mul_u32_u24_sdwa v42, v61, s34 dst_sel:DWORD dst_unused:UNUSED_PAD src0_sel:WORD_1 src1_sel:DWORD
	v_pk_fma_f16 v40, v52, v42, v40
	v_pk_fma_f16 v39, v53, v42, v39
	ds_read2_b64 v[50:53], v41 offset0:64 offset1:96
	v_mul_u32_u24_sdwa v42, v62, s34 dst_sel:DWORD dst_unused:UNUSED_PAD src0_sel:WORD_0 src1_sel:DWORD
	s_waitcnt lgkmcnt(1)
	v_pk_fma_f16 v40, v54, v42, v40
	v_pk_fma_f16 v39, v55, v42, v39
	v_mul_u32_u24_sdwa v42, v62, s34 dst_sel:DWORD dst_unused:UNUSED_PAD src0_sel:WORD_1 src1_sel:DWORD
	v_pk_fma_f16 v40, v56, v42, v40
	v_pk_fma_f16 v39, v57, v42, v39
	v_mul_u32_u24_sdwa v42, v63, s34 dst_sel:DWORD dst_unused:UNUSED_PAD src0_sel:WORD_0 src1_sel:DWORD
	ds_read2_b64 v[54:57], v41 offset0:128 offset1:160
	s_waitcnt lgkmcnt(1)
	v_pk_fma_f16 v40, v50, v42, v40
	v_pk_fma_f16 v39, v51, v42, v39
	v_mul_u32_u24_sdwa v42, v63, s34 dst_sel:DWORD dst_unused:UNUSED_PAD src0_sel:WORD_1 src1_sel:DWORD
	v_pk_fma_f16 v40, v52, v42, v40
	v_pk_fma_f16 v39, v53, v42, v39
	ds_read2_b64 v[50:53], v41 offset0:192 offset1:224
	v_mul_u32_u24_sdwa v42, v64, s34 dst_sel:DWORD dst_unused:UNUSED_PAD src0_sel:WORD_0 src1_sel:DWORD
	s_waitcnt lgkmcnt(1)
	v_pk_fma_f16 v40, v54, v42, v40
	v_pk_fma_f16 v39, v55, v42, v39
	v_mul_u32_u24_sdwa v41, v64, s34 dst_sel:DWORD dst_unused:UNUSED_PAD src0_sel:WORD_1 src1_sel:DWORD
	v_pk_fma_f16 v40, v56, v41, v40
	v_pk_fma_f16 v39, v57, v41, v39
	v_mul_u32_u24_sdwa v41, v65, s34 dst_sel:DWORD dst_unused:UNUSED_PAD src0_sel:WORD_0 src1_sel:DWORD
	s_waitcnt lgkmcnt(0)
	v_pk_fma_f16 v40, v50, v41, v40
	v_pk_fma_f16 v39, v51, v41, v39
	v_add_u32_e32 v41, 0x1800, v26
	ds_read2_b64 v[54:57], v41 offset1:32
	v_mul_u32_u24_sdwa v42, v65, s34 dst_sel:DWORD dst_unused:UNUSED_PAD src0_sel:WORD_1 src1_sel:DWORD
	v_pk_fma_f16 v40, v52, v42, v40
	v_pk_fma_f16 v39, v53, v42, v39
	v_mul_u32_u24_sdwa v42, v66, s34 dst_sel:DWORD dst_unused:UNUSED_PAD src0_sel:WORD_0 src1_sel:DWORD
	ds_read2_b64 v[50:53], v41 offset0:64 offset1:96
	s_waitcnt lgkmcnt(1)
	v_pk_fma_f16 v40, v54, v42, v40
	v_pk_fma_f16 v39, v55, v42, v39
	v_mul_u32_u24_sdwa v42, v66, s34 dst_sel:DWORD dst_unused:UNUSED_PAD src0_sel:WORD_1 src1_sel:DWORD
	v_pk_fma_f16 v40, v56, v42, v40
	v_pk_fma_f16 v39, v57, v42, v39
	ds_read2_b64 v[54:57], v41 offset0:128 offset1:160
	v_mul_u32_u24_sdwa v42, v67, s34 dst_sel:DWORD dst_unused:UNUSED_PAD src0_sel:WORD_0 src1_sel:DWORD
	s_waitcnt lgkmcnt(1)
	v_pk_fma_f16 v40, v50, v42, v40
	v_pk_fma_f16 v39, v51, v42, v39
	v_mul_u32_u24_sdwa v42, v67, s34 dst_sel:DWORD dst_unused:UNUSED_PAD src0_sel:WORD_1 src1_sel:DWORD
	v_pk_fma_f16 v40, v52, v42, v40
	v_pk_fma_f16 v39, v53, v42, v39
	v_mul_u32_u24_sdwa v42, v68, s34 dst_sel:DWORD dst_unused:UNUSED_PAD src0_sel:WORD_0 src1_sel:DWORD
	ds_read2_b64 v[50:53], v41 offset0:192 offset1:224
	s_waitcnt lgkmcnt(1)
	v_pk_fma_f16 v40, v54, v42, v40
	v_pk_fma_f16 v39, v55, v42, v39
	v_mul_u32_u24_sdwa v41, v68, s34 dst_sel:DWORD dst_unused:UNUSED_PAD src0_sel:WORD_1 src1_sel:DWORD
	v_pk_fma_f16 v40, v56, v41, v40
	v_pk_fma_f16 v39, v57, v41, v39
	v_add_u32_e32 v42, 0x2000, v26
	ds_read_b128 v[54:57], v31 offset:64
	ds_read2_b64 v[58:61], v42 offset1:32
	v_mul_u32_u24_sdwa v41, v69, s34 dst_sel:DWORD dst_unused:UNUSED_PAD src0_sel:WORD_0 src1_sel:DWORD
	ds_read2_b64 v[62:65], v42 offset0:64 offset1:96
	s_waitcnt lgkmcnt(3)
	v_pk_fma_f16 v40, v50, v41, v40
	v_pk_fma_f16 v39, v51, v41, v39
	v_mul_u32_u24_sdwa v41, v69, s34 dst_sel:DWORD dst_unused:UNUSED_PAD src0_sel:WORD_1 src1_sel:DWORD
	v_pk_fma_f16 v40, v52, v41, v40
	v_pk_fma_f16 v39, v53, v41, v39
	s_waitcnt lgkmcnt(2)
	v_mul_u32_u24_sdwa v41, v54, s34 dst_sel:DWORD dst_unused:UNUSED_PAD src0_sel:WORD_0 src1_sel:DWORD
	s_waitcnt lgkmcnt(1)
	v_pk_fma_f16 v40, v58, v41, v40
	v_pk_fma_f16 v39, v59, v41, v39
	v_mul_u32_u24_sdwa v41, v54, s34 dst_sel:DWORD dst_unused:UNUSED_PAD src0_sel:WORD_1 src1_sel:DWORD
	v_pk_fma_f16 v40, v60, v41, v40
	v_pk_fma_f16 v39, v61, v41, v39
	v_mul_u32_u24_sdwa v41, v55, s34 dst_sel:DWORD dst_unused:UNUSED_PAD src0_sel:WORD_0 src1_sel:DWORD
	ds_read2_b64 v[58:61], v42 offset0:128 offset1:160
	s_waitcnt lgkmcnt(1)
	v_pk_fma_f16 v40, v62, v41, v40
	v_pk_fma_f16 v39, v63, v41, v39
	v_mul_u32_u24_sdwa v41, v55, s34 dst_sel:DWORD dst_unused:UNUSED_PAD src0_sel:WORD_1 src1_sel:DWORD
	v_pk_fma_f16 v40, v64, v41, v40
	v_pk_fma_f16 v39, v65, v41, v39
	ds_read2_b64 v[62:65], v42 offset0:192 offset1:224
	v_mul_u32_u24_sdwa v41, v56, s34 dst_sel:DWORD dst_unused:UNUSED_PAD src0_sel:WORD_0 src1_sel:DWORD
	s_waitcnt lgkmcnt(1)
	v_pk_fma_f16 v40, v58, v41, v40
	v_pk_fma_f16 v39, v59, v41, v39
	v_mul_u32_u24_sdwa v41, v56, s34 dst_sel:DWORD dst_unused:UNUSED_PAD src0_sel:WORD_1 src1_sel:DWORD
	v_pk_fma_f16 v40, v60, v41, v40
	v_pk_fma_f16 v39, v61, v41, v39
	v_mul_u32_u24_sdwa v41, v57, s34 dst_sel:DWORD dst_unused:UNUSED_PAD src0_sel:WORD_0 src1_sel:DWORD
	ds_read_b128 v[50:53], v31 offset:80
	s_waitcnt lgkmcnt(1)
	v_pk_fma_f16 v40, v62, v41, v40
	v_pk_fma_f16 v39, v63, v41, v39
	v_add_u32_e32 v41, 0x2800, v26
	ds_read2_b64 v[58:61], v41 offset1:32
	v_mul_u32_u24_sdwa v42, v57, s34 dst_sel:DWORD dst_unused:UNUSED_PAD src0_sel:WORD_1 src1_sel:DWORD
	ds_read2_b64 v[54:57], v41 offset0:64 offset1:96
	v_pk_fma_f16 v40, v64, v42, v40
	v_pk_fma_f16 v39, v65, v42, v39
	s_waitcnt lgkmcnt(2)
	v_mul_u32_u24_sdwa v42, v50, s34 dst_sel:DWORD dst_unused:UNUSED_PAD src0_sel:WORD_0 src1_sel:DWORD
	s_waitcnt lgkmcnt(1)
	v_pk_fma_f16 v40, v58, v42, v40
	v_pk_fma_f16 v39, v59, v42, v39
	v_mul_u32_u24_sdwa v42, v50, s34 dst_sel:DWORD dst_unused:UNUSED_PAD src0_sel:WORD_1 src1_sel:DWORD
	v_pk_fma_f16 v40, v60, v42, v40
	v_pk_fma_f16 v39, v61, v42, v39
	v_mul_u32_u24_sdwa v42, v51, s34 dst_sel:DWORD dst_unused:UNUSED_PAD src0_sel:WORD_0 src1_sel:DWORD
	ds_read2_b64 v[58:61], v41 offset0:128 offset1:160
	s_waitcnt lgkmcnt(1)
	v_pk_fma_f16 v40, v54, v42, v40
	v_pk_fma_f16 v39, v55, v42, v39
	v_mul_u32_u24_sdwa v42, v51, s34 dst_sel:DWORD dst_unused:UNUSED_PAD src0_sel:WORD_1 src1_sel:DWORD
	v_pk_fma_f16 v40, v56, v42, v40
	v_pk_fma_f16 v39, v57, v42, v39
	ds_read2_b64 v[54:57], v41 offset0:192 offset1:224
	v_mul_u32_u24_sdwa v42, v52, s34 dst_sel:DWORD dst_unused:UNUSED_PAD src0_sel:WORD_0 src1_sel:DWORD
	s_waitcnt lgkmcnt(1)
	v_pk_fma_f16 v40, v58, v42, v40
	v_pk_fma_f16 v39, v59, v42, v39
	v_mul_u32_u24_sdwa v41, v52, s34 dst_sel:DWORD dst_unused:UNUSED_PAD src0_sel:WORD_1 src1_sel:DWORD
	v_pk_fma_f16 v40, v60, v41, v40
	v_pk_fma_f16 v39, v61, v41, v39
	v_mul_u32_u24_sdwa v41, v53, s34 dst_sel:DWORD dst_unused:UNUSED_PAD src0_sel:WORD_0 src1_sel:DWORD
	s_waitcnt lgkmcnt(0)
	v_pk_fma_f16 v40, v54, v41, v40
	v_pk_fma_f16 v39, v55, v41, v39
	v_mul_u32_u24_sdwa v41, v53, s34 dst_sel:DWORD dst_unused:UNUSED_PAD src0_sel:WORD_1 src1_sel:DWORD
	v_add_u32_e32 v42, 0x3000, v26
	ds_read_b128 v[50:53], v31 offset:96
	ds_read2_b64 v[58:61], v42 offset1:32
	ds_read2_b64 v[62:65], v42 offset0:64 offset1:96
	v_pk_fma_f16 v40, v56, v41, v40
	v_pk_fma_f16 v39, v57, v41, v39
	s_waitcnt lgkmcnt(2)
	v_mul_u32_u24_sdwa v41, v50, s34 dst_sel:DWORD dst_unused:UNUSED_PAD src0_sel:WORD_0 src1_sel:DWORD
	s_waitcnt lgkmcnt(1)
	v_pk_fma_f16 v40, v58, v41, v40
	v_pk_fma_f16 v39, v59, v41, v39
	v_mul_u32_u24_sdwa v41, v50, s34 dst_sel:DWORD dst_unused:UNUSED_PAD src0_sel:WORD_1 src1_sel:DWORD
	v_pk_fma_f16 v40, v60, v41, v40
	v_pk_fma_f16 v39, v61, v41, v39
	v_mul_u32_u24_sdwa v41, v51, s34 dst_sel:DWORD dst_unused:UNUSED_PAD src0_sel:WORD_0 src1_sel:DWORD
	ds_read2_b64 v[58:61], v42 offset0:128 offset1:160
	s_waitcnt lgkmcnt(1)
	v_pk_fma_f16 v40, v62, v41, v40
	v_pk_fma_f16 v39, v63, v41, v39
	v_mul_u32_u24_sdwa v41, v51, s34 dst_sel:DWORD dst_unused:UNUSED_PAD src0_sel:WORD_1 src1_sel:DWORD
	v_pk_fma_f16 v40, v64, v41, v40
	v_pk_fma_f16 v39, v65, v41, v39
	ds_read2_b64 v[62:65], v42 offset0:192 offset1:224
	v_mul_u32_u24_sdwa v41, v52, s34 dst_sel:DWORD dst_unused:UNUSED_PAD src0_sel:WORD_0 src1_sel:DWORD
	s_waitcnt lgkmcnt(1)
	v_pk_fma_f16 v40, v58, v41, v40
	v_pk_fma_f16 v39, v59, v41, v39
	v_mul_u32_u24_sdwa v41, v52, s34 dst_sel:DWORD dst_unused:UNUSED_PAD src0_sel:WORD_1 src1_sel:DWORD
	v_pk_fma_f16 v40, v60, v41, v40
	v_pk_fma_f16 v39, v61, v41, v39
	v_mul_u32_u24_sdwa v41, v53, s34 dst_sel:DWORD dst_unused:UNUSED_PAD src0_sel:WORD_0 src1_sel:DWORD
	ds_read_b128 v[54:57], v31 offset:112
	s_waitcnt lgkmcnt(1)
	v_pk_fma_f16 v40, v62, v41, v40
	v_pk_fma_f16 v39, v63, v41, v39
	v_add_u32_e32 v41, 0x3800, v26
	ds_read2_b64 v[58:61], v41 offset1:32
	v_mul_u32_u24_sdwa v42, v53, s34 dst_sel:DWORD dst_unused:UNUSED_PAD src0_sel:WORD_1 src1_sel:DWORD
	ds_read2_b64 v[50:53], v41 offset0:64 offset1:96
	v_pk_fma_f16 v40, v64, v42, v40
	v_pk_fma_f16 v39, v65, v42, v39
	s_waitcnt lgkmcnt(2)
	v_mul_u32_u24_sdwa v42, v54, s34 dst_sel:DWORD dst_unused:UNUSED_PAD src0_sel:WORD_0 src1_sel:DWORD
	s_waitcnt lgkmcnt(1)
	v_pk_fma_f16 v40, v58, v42, v40
	v_pk_fma_f16 v39, v59, v42, v39
	v_mul_u32_u24_sdwa v42, v54, s34 dst_sel:DWORD dst_unused:UNUSED_PAD src0_sel:WORD_1 src1_sel:DWORD
	v_pk_fma_f16 v40, v60, v42, v40
	v_pk_fma_f16 v39, v61, v42, v39
	v_mul_u32_u24_sdwa v42, v55, s34 dst_sel:DWORD dst_unused:UNUSED_PAD src0_sel:WORD_0 src1_sel:DWORD
	s_waitcnt lgkmcnt(0)
	v_pk_fma_f16 v40, v50, v42, v40
	v_pk_fma_f16 v39, v51, v42, v39
	ds_read2_b64 v[58:61], v41 offset0:128 offset1:160
	v_mul_u32_u24_sdwa v42, v55, s34 dst_sel:DWORD dst_unused:UNUSED_PAD src0_sel:WORD_1 src1_sel:DWORD
	v_pk_fma_f16 v40, v52, v42, v40
	v_pk_fma_f16 v39, v53, v42, v39
	ds_read2_b64 v[50:53], v41 offset0:192 offset1:224
	s_waitcnt lgkmcnt(0)
	s_barrier
	s_load_dword s6, s[4:5], 0x4
	v_mul_u32_u24_sdwa v42, v56, s34 dst_sel:DWORD dst_unused:UNUSED_PAD src0_sel:WORD_0 src1_sel:DWORD
	v_pk_fma_f16 v40, v58, v42, v40
	v_pk_fma_f16 v39, v59, v42, v39
	v_mul_u32_u24_sdwa v42, v56, s34 dst_sel:DWORD dst_unused:UNUSED_PAD src0_sel:WORD_1 src1_sel:DWORD
	v_pk_fma_f16 v40, v60, v42, v40
	v_pk_fma_f16 v39, v61, v42, v39
	v_mul_u32_u24_sdwa v41, v57, s34 dst_sel:DWORD dst_unused:UNUSED_PAD src0_sel:WORD_0 src1_sel:DWORD
	s_waitcnt lgkmcnt(0)
	s_lshl_b32 s6, s6, 6
	v_pk_fma_f16 v40, v50, v41, v40
	v_pk_fma_f16 v39, v51, v41, v39
	v_mul_u32_u24_sdwa v41, v57, s34 dst_sel:DWORD dst_unused:UNUSED_PAD src0_sel:WORD_1 src1_sel:DWORD
	s_add_i32 s2, s6, s2
	v_pk_fma_f16 v40, v52, v41, v40
	s_cmp_ge_i32 s2, s28
	v_pk_fma_f16 v39, v53, v41, v39
	s_cbranch_scc1 .LBB74_7
; %bb.20:                               ;   in Loop: Header=BB74_11 Depth=1
	v_mov_b32_e32 v42, v22
	v_mov_b32_e32 v41, v48
	s_branch .LBB74_11
.LBB74_21:
	v_mov_b32_e32 v5, v23
.LBB74_22:
	s_load_dword s2, s[0:1], 0xd4
	v_div_scale_f32 v1, s[0:1], v5, v5, 1.0
	v_rcp_f32_e32 v4, v1
	s_mul_i32 s33, s33, s22
	s_waitcnt lgkmcnt(0)
	s_cmp_lg_u32 s2, 1
	s_cselect_b64 s[0:1], -1, 0
	v_fma_f32 v8, -v1, v4, 1.0
	v_fmac_f32_e32 v4, v8, v4
	v_div_scale_f32 v8, vcc, 1.0, v5, 1.0
	v_mul_f32_e32 v9, v8, v4
	v_fma_f32 v10, -v1, v9, v8
	v_fmac_f32_e32 v9, v10, v4
	v_fma_f32 v1, -v1, v9, v8
	v_div_fmas_f32 v1, v1, v4, v9
	v_div_fixup_f32 v1, v1, v5, 1.0
	v_cndmask_b32_e64 v4, v1, 1.0, s[0:1]
	v_add_u32_e32 v1, s33, v3
	v_mad_u64_u32 v[0:1], s[4:5], v1, s23, v[0:1]
	v_cmp_eq_u32_e32 vcc, 0, v2
	v_cvt_f32_f16_sdwa v3, v40 dst_sel:DWORD dst_unused:UNUSED_PAD src0_sel:WORD_1
	v_cvt_f32_f16_e32 v2, v40
	v_cvt_f32_f16_sdwa v11, v39 dst_sel:DWORD dst_unused:UNUSED_PAD src0_sel:WORD_1
	v_cvt_f32_f16_e32 v10, v39
	v_mul_lo_u32 v0, s2, v0
	v_add_u32_e32 v0, s3, v0
	v_mov_b32_e32 v6, s16
	v_mov_b32_e32 v7, s17
	v_lshl_add_u32 v8, v0, 7, v25
	v_mov_b32_e32 v9, 0
	v_lshl_add_u64 v[6:7], v[8:9], 2, v[6:7]
	s_and_b64 s[0:1], vcc, s[0:1]
	v_pk_mul_f32 v[2:3], v[4:5], v[2:3] op_sel_hi:[0,1]
	v_pk_mul_f32 v[4:5], v[4:5], v[10:11] op_sel_hi:[0,1]
	global_store_dwordx4 v[6:7], v[2:5], off
	s_and_saveexec_b64 s[2:3], s[0:1]
	s_cbranch_execz .LBB74_24
; %bb.23:
	v_mov_b32_e32 v2, s18
	v_mov_b32_e32 v3, s19
	v_ashrrev_i32_e32 v1, 31, v0
	v_lshl_add_u64 v[0:1], v[0:1], 3, v[2:3]
	global_store_dwordx2 v[0:1], v[22:23], off
.LBB74_24:
	s_endpgm
	.section	.rodata,"a",@progbits
	.p2align	6, 0x0
	.amdhsa_kernel _ZL15flash_attn_tileILi128ELi128ELi1ELi8ELb1EEvPKcS1_S1_S1_S1_PKiPfP15HIP_vector_typeIfLj2EEffffjfiS5_IjLj3EEiiiiiiiiiiiliiliiiiil
		.amdhsa_group_segment_fixed_size 20480
		.amdhsa_private_segment_fixed_size 0
		.amdhsa_kernarg_size 464
		.amdhsa_user_sgpr_count 2
		.amdhsa_user_sgpr_dispatch_ptr 0
		.amdhsa_user_sgpr_queue_ptr 0
		.amdhsa_user_sgpr_kernarg_segment_ptr 1
		.amdhsa_user_sgpr_dispatch_id 0
		.amdhsa_user_sgpr_kernarg_preload_length 0
		.amdhsa_user_sgpr_kernarg_preload_offset 0
		.amdhsa_user_sgpr_private_segment_size 0
		.amdhsa_uses_dynamic_stack 0
		.amdhsa_enable_private_segment 0
		.amdhsa_system_sgpr_workgroup_id_x 1
		.amdhsa_system_sgpr_workgroup_id_y 1
		.amdhsa_system_sgpr_workgroup_id_z 1
		.amdhsa_system_sgpr_workgroup_info 0
		.amdhsa_system_vgpr_workitem_id 1
		.amdhsa_next_free_vgpr 78
		.amdhsa_next_free_sgpr 40
		.amdhsa_accum_offset 80
		.amdhsa_reserve_vcc 1
		.amdhsa_float_round_mode_32 0
		.amdhsa_float_round_mode_16_64 0
		.amdhsa_float_denorm_mode_32 3
		.amdhsa_float_denorm_mode_16_64 3
		.amdhsa_dx10_clamp 1
		.amdhsa_ieee_mode 1
		.amdhsa_fp16_overflow 0
		.amdhsa_tg_split 0
		.amdhsa_exception_fp_ieee_invalid_op 0
		.amdhsa_exception_fp_denorm_src 0
		.amdhsa_exception_fp_ieee_div_zero 0
		.amdhsa_exception_fp_ieee_overflow 0
		.amdhsa_exception_fp_ieee_underflow 0
		.amdhsa_exception_fp_ieee_inexact 0
		.amdhsa_exception_int_div_zero 0
	.end_amdhsa_kernel
	.section	.text._ZL15flash_attn_tileILi128ELi128ELi1ELi8ELb1EEvPKcS1_S1_S1_S1_PKiPfP15HIP_vector_typeIfLj2EEffffjfiS5_IjLj3EEiiiiiiiiiiiliiliiiiil,"axG",@progbits,_ZL15flash_attn_tileILi128ELi128ELi1ELi8ELb1EEvPKcS1_S1_S1_S1_PKiPfP15HIP_vector_typeIfLj2EEffffjfiS5_IjLj3EEiiiiiiiiiiiliiliiiiil,comdat
.Lfunc_end74:
	.size	_ZL15flash_attn_tileILi128ELi128ELi1ELi8ELb1EEvPKcS1_S1_S1_S1_PKiPfP15HIP_vector_typeIfLj2EEffffjfiS5_IjLj3EEiiiiiiiiiiiliiliiiiil, .Lfunc_end74-_ZL15flash_attn_tileILi128ELi128ELi1ELi8ELb1EEvPKcS1_S1_S1_S1_PKiPfP15HIP_vector_typeIfLj2EEffffjfiS5_IjLj3EEiiiiiiiiiiiliiliiiiil
                                        ; -- End function
	.set _ZL15flash_attn_tileILi128ELi128ELi1ELi8ELb1EEvPKcS1_S1_S1_S1_PKiPfP15HIP_vector_typeIfLj2EEffffjfiS5_IjLj3EEiiiiiiiiiiiliiliiiiil.num_vgpr, 78
	.set _ZL15flash_attn_tileILi128ELi128ELi1ELi8ELb1EEvPKcS1_S1_S1_S1_PKiPfP15HIP_vector_typeIfLj2EEffffjfiS5_IjLj3EEiiiiiiiiiiiliiliiiiil.num_agpr, 0
	.set _ZL15flash_attn_tileILi128ELi128ELi1ELi8ELb1EEvPKcS1_S1_S1_S1_PKiPfP15HIP_vector_typeIfLj2EEffffjfiS5_IjLj3EEiiiiiiiiiiiliiliiiiil.numbered_sgpr, 40
	.set _ZL15flash_attn_tileILi128ELi128ELi1ELi8ELb1EEvPKcS1_S1_S1_S1_PKiPfP15HIP_vector_typeIfLj2EEffffjfiS5_IjLj3EEiiiiiiiiiiiliiliiiiil.num_named_barrier, 0
	.set _ZL15flash_attn_tileILi128ELi128ELi1ELi8ELb1EEvPKcS1_S1_S1_S1_PKiPfP15HIP_vector_typeIfLj2EEffffjfiS5_IjLj3EEiiiiiiiiiiiliiliiiiil.private_seg_size, 0
	.set _ZL15flash_attn_tileILi128ELi128ELi1ELi8ELb1EEvPKcS1_S1_S1_S1_PKiPfP15HIP_vector_typeIfLj2EEffffjfiS5_IjLj3EEiiiiiiiiiiiliiliiiiil.uses_vcc, 1
	.set _ZL15flash_attn_tileILi128ELi128ELi1ELi8ELb1EEvPKcS1_S1_S1_S1_PKiPfP15HIP_vector_typeIfLj2EEffffjfiS5_IjLj3EEiiiiiiiiiiiliiliiiiil.uses_flat_scratch, 0
	.set _ZL15flash_attn_tileILi128ELi128ELi1ELi8ELb1EEvPKcS1_S1_S1_S1_PKiPfP15HIP_vector_typeIfLj2EEffffjfiS5_IjLj3EEiiiiiiiiiiiliiliiiiil.has_dyn_sized_stack, 0
	.set _ZL15flash_attn_tileILi128ELi128ELi1ELi8ELb1EEvPKcS1_S1_S1_S1_PKiPfP15HIP_vector_typeIfLj2EEffffjfiS5_IjLj3EEiiiiiiiiiiiliiliiiiil.has_recursion, 0
	.set _ZL15flash_attn_tileILi128ELi128ELi1ELi8ELb1EEvPKcS1_S1_S1_S1_PKiPfP15HIP_vector_typeIfLj2EEffffjfiS5_IjLj3EEiiiiiiiiiiiliiliiiiil.has_indirect_call, 0
	.section	.AMDGPU.csdata,"",@progbits
; Kernel info:
; codeLenInByte = 8552
; TotalNumSgprs: 46
; NumVgprs: 78
; NumAgprs: 0
; TotalNumVgprs: 78
; ScratchSize: 0
; MemoryBound: 0
; FloatMode: 240
; IeeeMode: 1
; LDSByteSize: 20480 bytes/workgroup (compile time only)
; SGPRBlocks: 5
; VGPRBlocks: 9
; NumSGPRsForWavesPerEU: 46
; NumVGPRsForWavesPerEU: 78
; AccumOffset: 80
; Occupancy: 6
; WaveLimiterHint : 1
; COMPUTE_PGM_RSRC2:SCRATCH_EN: 0
; COMPUTE_PGM_RSRC2:USER_SGPR: 2
; COMPUTE_PGM_RSRC2:TRAP_HANDLER: 0
; COMPUTE_PGM_RSRC2:TGID_X_EN: 1
; COMPUTE_PGM_RSRC2:TGID_Y_EN: 1
; COMPUTE_PGM_RSRC2:TGID_Z_EN: 1
; COMPUTE_PGM_RSRC2:TIDIG_COMP_CNT: 1
; COMPUTE_PGM_RSRC3_GFX90A:ACCUM_OFFSET: 19
; COMPUTE_PGM_RSRC3_GFX90A:TG_SPLIT: 0
	.section	.text._ZL15flash_attn_tileILi128ELi128ELi16ELi4ELb1EEvPKcS1_S1_S1_S1_PKiPfP15HIP_vector_typeIfLj2EEffffjfiS5_IjLj3EEiiiiiiiiiiiliiliiiiil,"axG",@progbits,_ZL15flash_attn_tileILi128ELi128ELi16ELi4ELb1EEvPKcS1_S1_S1_S1_PKiPfP15HIP_vector_typeIfLj2EEffffjfiS5_IjLj3EEiiiiiiiiiiiliiliiiiil,comdat
	.globl	_ZL15flash_attn_tileILi128ELi128ELi16ELi4ELb1EEvPKcS1_S1_S1_S1_PKiPfP15HIP_vector_typeIfLj2EEffffjfiS5_IjLj3EEiiiiiiiiiiiliiliiiiil ; -- Begin function _ZL15flash_attn_tileILi128ELi128ELi16ELi4ELb1EEvPKcS1_S1_S1_S1_PKiPfP15HIP_vector_typeIfLj2EEffffjfiS5_IjLj3EEiiiiiiiiiiiliiliiiiil
	.p2align	8
	.type	_ZL15flash_attn_tileILi128ELi128ELi16ELi4ELb1EEvPKcS1_S1_S1_S1_PKiPfP15HIP_vector_typeIfLj2EEffffjfiS5_IjLj3EEiiiiiiiiiiiliiliiiiil,@function
_ZL15flash_attn_tileILi128ELi128ELi16ELi4ELb1EEvPKcS1_S1_S1_S1_PKiPfP15HIP_vector_typeIfLj2EEffffjfiS5_IjLj3EEiiiiiiiiiiiliiliiiiil: ; @_ZL15flash_attn_tileILi128ELi128ELi16ELi4ELb1EEvPKcS1_S1_S1_S1_PKiPfP15HIP_vector_typeIfLj2EEffffjfiS5_IjLj3EEiiiiiiiiiiiliiliiiiil
; %bb.0:
	s_load_dwordx4 s[20:23], s[0:1], 0x5c
	s_load_dwordx2 s[30:31], s[0:1], 0x80
	s_load_dwordx2 s[36:37], s[0:1], 0xb8
	s_mov_b64 s[34:35], 0
	s_waitcnt lgkmcnt(0)
	s_ashr_i32 s5, s23, 31
	s_lshr_b32 s5, s5, 30
	s_add_i32 s5, s23, s5
	s_ashr_i32 s5, s5, 2
	v_cvt_f32_u32_e32 v1, s5
	s_sub_i32 s6, 0, s5
	v_rcp_iflag_f32_e32 v1, v1
	s_nop 0
	v_mul_f32_e32 v1, 0x4f7ffffe, v1
	v_cvt_u32_f32_e32 v1, v1
	s_nop 0
	v_readfirstlane_b32 s7, v1
	s_mul_i32 s6, s6, s7
	s_mul_hi_u32 s6, s7, s6
	s_add_i32 s7, s7, s6
	s_mul_hi_u32 s6, s4, s7
	s_mul_i32 s7, s6, s5
	s_sub_i32 s7, s4, s7
	s_add_i32 s8, s6, 1
	s_sub_i32 s9, s7, s5
	s_cmp_ge_u32 s7, s5
	s_cselect_b32 s6, s8, s6
	s_cselect_b32 s7, s9, s7
	s_add_i32 s8, s6, 1
	s_cmp_ge_u32 s7, s5
	s_cselect_b32 s33, s8, s6
	s_abs_i32 s5, s31
	v_cvt_f32_u32_e32 v1, s5
	s_lshl_b32 s4, s4, 2
	s_mul_i32 s8, s33, s23
	s_sub_i32 s9, 0, s5
	v_rcp_iflag_f32_e32 v1, v1
	s_sub_i32 s28, s4, s8
	s_abs_i32 s7, s23
	s_xor_b32 s6, s23, s31
	v_mul_f32_e32 v1, 0x4f7ffffe, v1
	v_cvt_u32_f32_e32 v1, v1
	s_ashr_i32 s6, s6, 31
	v_readfirstlane_b32 s4, v1
	s_mul_i32 s9, s9, s4
	s_mul_hi_u32 s8, s4, s9
	s_add_i32 s4, s4, s8
	s_mul_hi_u32 s4, s7, s4
	s_mul_i32 s8, s4, s5
	s_sub_i32 s7, s7, s8
	s_add_i32 s9, s4, 1
	s_sub_i32 s8, s7, s5
	s_cmp_ge_u32 s7, s5
	s_cselect_b32 s4, s9, s4
	s_cselect_b32 s7, s8, s7
	s_add_i32 s8, s4, 1
	s_cmp_ge_u32 s7, s5
	s_cselect_b32 s4, s8, s4
	s_xor_b32 s4, s4, s6
	s_sub_i32 s38, s4, s6
	s_abs_i32 s29, s38
	v_cvt_f32_u32_e32 v1, s29
	s_load_dwordx16 s[4:19], s[0:1], 0x0
	v_rcp_iflag_f32_e32 v1, v1
	s_waitcnt lgkmcnt(0)
	s_cmp_eq_u64 s[10:11], 0
	v_mul_f32_e32 v1, 0x4f7ffffe, v1
	v_cvt_u32_f32_e32 v1, v1
	s_nop 0
	v_readfirstlane_b32 s39, v1
	s_cbranch_scc1 .LBB75_2
; %bb.1:
	s_abs_i32 s26, s36
	v_cvt_f32_u32_e32 v1, s26
	s_sub_i32 s34, 0, s26
	s_abs_i32 s31, s33
	s_ashr_i32 s27, s33, 31
	v_rcp_iflag_f32_e32 v1, v1
	s_load_dwordx2 s[24:25], s[0:1], 0xc8
	v_mul_f32_e32 v1, 0x4f7ffffe, v1
	v_cvt_u32_f32_e32 v1, v1
	s_nop 0
	v_readfirstlane_b32 s35, v1
	s_mul_i32 s34, s34, s35
	s_mul_hi_u32 s34, s35, s34
	s_add_i32 s35, s35, s34
	s_mul_hi_u32 s34, s31, s35
	s_mul_i32 s34, s34, s26
	s_sub_i32 s31, s31, s34
	s_sub_i32 s34, s31, s26
	s_cmp_ge_u32 s31, s26
	s_cselect_b32 s31, s34, s31
	s_sub_i32 s34, s31, s26
	s_cmp_ge_u32 s31, s26
	s_cselect_b32 s26, s34, s31
	s_xor_b32 s26, s26, s27
	s_sub_i32 s26, s26, s27
	s_ashr_i32 s27, s26, 31
	s_waitcnt lgkmcnt(0)
	s_mul_hi_u32 s31, s24, s26
	s_mul_i32 s27, s24, s27
	s_mul_i32 s25, s25, s26
	s_add_i32 s27, s31, s27
	s_add_i32 s27, s27, s25
	s_mul_i32 s24, s24, s26
	s_add_u32 s34, s10, s24
	s_addc_u32 s35, s11, s27
.LBB75_2:
	s_load_dwordx4 s[24:27], s[0:1], 0x70
	v_bfe_u32 v2, v0, 10, 10
	s_lshl_b32 s31, s2, 4
	v_lshlrev_b32_e32 v49, 1, v2
	v_add_u32_e32 v51, s31, v49
	s_waitcnt lgkmcnt(0)
	s_mul_i32 s10, s33, s26
	s_ashr_i32 s26, s10, 31
	s_mul_i32 s11, s28, s25
	s_add_u32 s4, s4, s10
	v_and_b32_e32 v50, 0x3ff, v0
	v_mul_hi_u32 v0, v51, s20
	s_addc_u32 s5, s5, s26
	s_ashr_i32 s26, s11, 31
	v_add_u32_e32 v0, v51, v0
	s_add_u32 s10, s4, s11
	v_lshrrev_b32_e32 v0, s21, v0
	s_addc_u32 s11, s5, s26
	s_ashr_i32 s27, s24, 31
	s_mov_b32 s26, s24
	v_mul_lo_u32 v0, v0, s22
	s_lshr_b64 s[4:5], s[26:27], 2
	v_sub_u32_e32 v4, v51, v0
	v_mad_u64_u32 v[0:1], s[40:41], s4, v4, 0
	v_mov_b32_e32 v6, v1
	s_lshr_b32 s24, s27, 2
	v_mad_u64_u32 v[6:7], s[26:27], s24, v4, v[6:7]
	v_mov_b32_e32 v1, v6
	v_lshlrev_b64 v[18:19], 2, v[0:1]
	v_lshl_add_u64 v[6:7], s[10:11], 0, v[18:19]
	v_lshlrev_b32_e32 v0, 4, v50
	v_mov_b32_e32 v1, 0
	v_lshl_add_u64 v[6:7], v[6:7], 0, v[0:1]
	global_load_dwordx4 v[6:9], v[6:7], off
	v_lshlrev_b32_e32 v5, 3, v2
	v_or_b32_e32 v36, 4, v5
	v_or_b32_e32 v37, 5, v5
	v_lshrrev_b32_e32 v46, 2, v36
	v_lshrrev_b32_e32 v43, 2, v37
	v_add_u32_e32 v47, s31, v46
	v_add_u32_e32 v45, s31, v43
	s_mov_b32 s26, s25
	v_mul_hi_u32 v10, v47, s20
	v_mul_hi_u32 v11, v45, s20
	s_ashr_i32 s27, s25, 31
	v_add_u32_e32 v10, v47, v10
	v_add_u32_e32 v11, v45, v11
	s_and_b32 s25, s25, -4
	s_lshr_b64 s[40:41], s[26:27], 2
	v_lshrrev_b32_e32 v10, s21, v10
	v_lshrrev_b32_e32 v11, s21, v11
	s_add_u32 s42, s10, s25
	v_mul_lo_u32 v10, v10, s22
	v_mul_lo_u32 v11, v11, s22
	s_addc_u32 s43, s11, s27
	v_sub_u32_e32 v21, v47, v10
	v_sub_u32_e32 v27, v45, v11
	v_lshl_add_u64 v[10:11], s[42:43], 0, v[18:19]
	v_lshl_add_u64 v[10:11], v[10:11], 0, v[0:1]
	s_mul_i32 s25, s27, 12
	v_mad_u64_u32 v[22:23], s[26:27], s4, v21, 0
	global_load_dwordx4 v[10:13], v[10:11], off
	s_lshl_b64 s[26:27], s[40:41], 3
	s_add_u32 s26, s10, s26
	s_addc_u32 s27, s11, s27
	s_mul_hi_u32 s36, s40, 12
	v_lshl_add_u64 v[14:15], s[26:27], 0, v[18:19]
	v_mov_b32_e32 v20, v23
	s_mul_i32 s44, s40, 12
	v_lshl_add_u64 v[14:15], v[14:15], 0, v[0:1]
	v_mad_u64_u32 v[24:25], s[40:41], s4, v27, 0
	v_mad_u64_u32 v[28:29], s[40:41], s24, v21, v[20:21]
	s_add_i32 s36, s36, s25
	s_load_dword s5, s[0:1], 0x40
	global_load_dwordx4 v[14:17], v[14:15], off
	s_add_u32 s40, s10, s44
	s_addc_u32 s41, s11, s36
	v_lshl_add_u64 v[18:19], s[40:41], 0, v[18:19]
	v_mov_b32_e32 v26, v25
	v_lshl_add_u64 v[18:19], v[18:19], 0, v[0:1]
	global_load_dwordx4 v[18:21], v[18:19], off
	v_mad_u64_u32 v[26:27], s[44:45], s24, v27, v[26:27]
	v_or_b32_e32 v39, 6, v5
	v_mov_b32_e32 v25, v26
	v_lshrrev_b32_e32 v42, 2, v39
	v_mov_b32_e32 v23, v28
	v_lshl_add_u64 v[26:27], v[24:25], 2, s[42:43]
	v_add_u32_e32 v44, s31, v42
	v_lshl_add_u64 v[22:23], v[22:23], 2, s[10:11]
	v_lshl_add_u64 v[22:23], v[22:23], 0, v[0:1]
	global_load_dwordx4 v[22:25], v[22:23], off
	v_or_b32_e32 v48, 7, v5
	v_lshrrev_b32_e32 v40, 2, v48
	v_add_u32_e32 v41, s31, v40
	v_mul_hi_u32 v30, v41, s20
	v_add_u32_e32 v30, v41, v30
	v_lshrrev_b32_e32 v30, s21, v30
	v_mul_lo_u32 v30, v30, s22
	v_sub_u32_e32 v33, v41, v30
	v_mad_u64_u32 v[30:31], s[10:11], s4, v33, 0
	v_mov_b32_e32 v32, v31
	v_mad_u64_u32 v[32:33], s[10:11], s24, v33, v[32:33]
	v_mov_b32_e32 v31, v32
	v_lshl_add_u64 v[30:31], v[30:31], 2, s[40:41]
	v_lshl_add_u64 v[30:31], v[30:31], 0, v[0:1]
	global_load_dwordx4 v[30:33], v[30:31], off
	v_lshlrev_b32_e32 v3, 3, v50
	s_waitcnt vmcnt(5) lgkmcnt(0)
	v_fma_mixlo_f16 v6, s5, v6, 0
	v_fma_mixlo_f16 v7, s5, v7, 0
	v_lshlrev_b32_e32 v7, 16, v7
	v_and_b32_e32 v6, 0xffff, v6
	v_or_b32_e32 v38, v7, v6
	v_lshl_add_u64 v[6:7], v[26:27], 0, v[0:1]
	v_mul_hi_u32 v26, v44, s20
	v_add_u32_e32 v26, v44, v26
	v_lshrrev_b32_e32 v26, s21, v26
	v_mul_lo_u32 v26, v26, s22
	v_sub_u32_e32 v29, v44, v26
	v_mad_u64_u32 v[26:27], s[10:11], s4, v29, 0
	v_fma_mixlo_f16 v34, s5, v8, 0
	v_fma_mixlo_f16 v35, s5, v9, 0
	global_load_dwordx4 v[6:9], v[6:7], off
	v_mov_b32_e32 v28, v27
	v_mad_u64_u32 v[28:29], s[10:11], s24, v29, v[28:29]
	v_mov_b32_e32 v27, v28
	v_lshl_add_u64 v[26:27], v[26:27], 2, s[26:27]
	v_lshl_add_u64 v[26:27], v[26:27], 0, v[0:1]
	global_load_dwordx4 v[26:29], v[26:27], off
	v_lshlrev_b32_e32 v52, 11, v2
	v_lshlrev_b32_e32 v35, 16, v35
	v_and_b32_e32 v34, 0xffff, v34
	v_add_u32_e32 v1, v3, v52
	v_or3_b32 v35, v35, v34, 0
	v_or3_b32 v34, 0, 0, v38
	s_waitcnt vmcnt(6)
	v_fma_mixlo_f16 v10, s5, v10, 0
	v_fma_mixlo_f16 v11, s5, v11, 0
	v_lshlrev_b32_e32 v11, 16, v11
	v_and_b32_e32 v10, 0xffff, v10
	v_or_b32_e32 v10, v11, v10
	v_fma_mixlo_f16 v11, s5, v12, 0
	v_fma_mixlo_f16 v12, s5, v13, 0
	v_lshlrev_b32_e32 v12, 16, v12
	v_and_b32_e32 v11, 0xffff, v11
	v_or3_b32 v11, v12, v11, 0
	v_or3_b32 v10, 0, 0, v10
	ds_write2_b64 v1, v[34:35], v[10:11] offset1:32
	s_cmp_eq_u64 s[14:15], 0
	s_waitcnt vmcnt(5)
	v_fma_mixlo_f16 v10, s5, v14, 0
	v_fma_mixlo_f16 v11, s5, v15, 0
	v_lshlrev_b32_e32 v11, 16, v11
	v_and_b32_e32 v10, 0xffff, v10
	v_or_b32_e32 v10, v11, v10
	v_fma_mixlo_f16 v11, s5, v16, 0
	v_fma_mixlo_f16 v12, s5, v17, 0
	v_lshlrev_b32_e32 v12, 16, v12
	v_and_b32_e32 v11, 0xffff, v11
	v_or3_b32 v11, v12, v11, 0
	s_waitcnt vmcnt(4)
	v_fma_mixlo_f16 v12, s5, v18, 0
	v_fma_mixlo_f16 v13, s5, v19, 0
	v_lshlrev_b32_e32 v13, 16, v13
	v_and_b32_e32 v12, 0xffff, v12
	v_or_b32_e32 v12, v13, v12
	v_fma_mixlo_f16 v13, s5, v20, 0
	v_fma_mixlo_f16 v14, s5, v21, 0
	v_lshlrev_b32_e32 v14, 16, v14
	v_and_b32_e32 v13, 0xffff, v13
	v_or3_b32 v10, 0, 0, v10
	v_or3_b32 v13, v14, v13, 0
	;; [unrolled: 1-line block ×3, first 2 shown]
	ds_write2_b64 v1, v[10:11], v[12:13] offset0:64 offset1:96
	s_waitcnt vmcnt(3)
	v_fma_mixlo_f16 v1, s5, v22, 0
	v_fma_mixlo_f16 v10, s5, v23, 0
	v_lshlrev_b32_e32 v10, 16, v10
	v_and_b32_e32 v1, 0xffff, v1
	v_or_b32_e32 v1, v10, v1
	v_fma_mixlo_f16 v10, s5, v24, 0
	v_fma_mixlo_f16 v11, s5, v25, 0
	v_lshlrev_b32_e32 v11, 16, v11
	v_and_b32_e32 v10, 0xffff, v10
	v_or3_b32 v11, v11, v10, 0
	v_or3_b32 v10, 0, 0, v1
	v_lshl_add_u32 v12, v36, 8, v3
	ds_write_b64 v12, v[10:11]
	s_waitcnt vmcnt(1)
	v_fma_mixlo_f16 v1, s5, v6, 0
	v_fma_mixlo_f16 v6, s5, v7, 0
	v_lshlrev_b32_e32 v6, 16, v6
	v_and_b32_e32 v1, 0xffff, v1
	v_or_b32_e32 v1, v6, v1
	v_fma_mixlo_f16 v6, s5, v8, 0
	v_fma_mixlo_f16 v7, s5, v9, 0
	v_lshlrev_b32_e32 v7, 16, v7
	v_and_b32_e32 v6, 0xffff, v6
	v_lshl_add_u32 v8, v37, 8, v3
	v_or3_b32 v7, v7, v6, 0
	v_or3_b32 v6, 0, 0, v1
	ds_write_b64 v8, v[6:7]
	s_waitcnt vmcnt(0)
	v_fma_mixlo_f16 v1, s5, v26, 0
	v_fma_mixlo_f16 v6, s5, v27, 0
	v_lshlrev_b32_e32 v6, 16, v6
	v_and_b32_e32 v1, 0xffff, v1
	v_or_b32_e32 v1, v6, v1
	v_fma_mixlo_f16 v6, s5, v28, 0
	v_fma_mixlo_f16 v7, s5, v29, 0
	v_lshlrev_b32_e32 v7, 16, v7
	v_and_b32_e32 v6, 0xffff, v6
	v_lshl_add_u32 v8, v39, 8, v3
	v_or3_b32 v7, v7, v6, 0
	v_or3_b32 v6, 0, 0, v1
	ds_write_b64 v8, v[6:7]
	v_fma_mixlo_f16 v1, s5, v30, 0
	v_fma_mixlo_f16 v6, s5, v31, 0
	v_lshlrev_b32_e32 v6, 16, v6
	v_and_b32_e32 v1, 0xffff, v1
	v_or_b32_e32 v1, v6, v1
	v_fma_mixlo_f16 v6, s5, v32, 0
	v_fma_mixlo_f16 v7, s5, v33, 0
	v_lshlrev_b32_e32 v7, 16, v7
	v_and_b32_e32 v6, 0xffff, v6
	v_lshl_add_u32 v8, v48, 8, v3
	v_or3_b32 v7, v7, v6, 0
	v_or3_b32 v6, 0, 0, v1
	ds_write_b64 v8, v[6:7]
	s_waitcnt lgkmcnt(0)
	s_barrier
	s_cbranch_scc1 .LBB75_4
; %bb.3:
	s_load_dword s4, s[0:1], 0xd0
	s_mov_b32 s5, 0
	s_waitcnt lgkmcnt(0)
	s_mul_i32 s4, s4, s33
	s_add_i32 s4, s4, s2
	s_lshl_b64 s[4:5], s[4:5], 2
	s_add_u32 s4, s14, s4
	s_addc_u32 s5, s15, s5
	s_load_dword s30, s[4:5], 0x0
.LBB75_4:
	s_lshl_b32 s2, s3, 6
	s_waitcnt lgkmcnt(0)
	s_cmp_lt_i32 s2, s30
	v_mbcnt_lo_u32_b32 v1, -1, 0
	s_cbranch_scc1 .LBB75_47
; %bb.5:
	v_mbcnt_hi_u32_b32 v20, -1, v1
	v_and_b32_e32 v6, 0x60, v20
	v_add_u32_e32 v80, 32, v6
	v_xor_b32_e32 v82, 16, v20
	v_xor_b32_e32 v85, 8, v20
	;; [unrolled: 1-line block ×5, first 2 shown]
	v_lshlrev_b32_e32 v48, 2, v50
	s_cbranch_execz .LBB75_48
; %bb.6:
	v_mov_b32_e32 v9, 0
	v_mov_b32_e32 v38, 0
	;; [unrolled: 1-line block ×32, first 2 shown]
.LBB75_7:
	v_cmp_lt_i32_e32 vcc, v82, v80
	s_cmp_lg_u64 s[12:13], 0
	s_cselect_b64 s[4:5], -1, 0
	v_cndmask_b32_e32 v16, v20, v82, vcc
	v_cmp_lt_i32_e32 vcc, v85, v80
	v_lshlrev_b32_e32 v23, 2, v16
	ds_bpermute_b32 v19, v23, v13
	v_cndmask_b32_e32 v18, v20, v85, vcc
	v_cmp_lt_i32_e32 vcc, v84, v80
	v_lshlrev_b32_e32 v26, 2, v18
	ds_bpermute_b32 v16, v23, v14
	v_cndmask_b32_e32 v18, v20, v84, vcc
	v_lshlrev_b32_e32 v27, 2, v18
	ds_bpermute_b32 v18, v23, v12
	ds_bpermute_b32 v17, v23, v15
	;; [unrolled: 1-line block ×4, first 2 shown]
	v_cmp_lt_i32_e32 vcc, v83, v80
	s_waitcnt lgkmcnt(3)
	v_pk_add_f32 v[12:13], v[12:13], v[18:19]
	ds_bpermute_b32 v18, v26, v12
	ds_bpermute_b32 v19, v26, v13
	s_waitcnt lgkmcnt(4)
	v_pk_add_f32 v[14:15], v[14:15], v[16:17]
	v_cndmask_b32_e32 v22, v20, v83, vcc
	s_waitcnt lgkmcnt(2)
	v_pk_add_f32 v[8:9], v[8:9], v[24:25]
	ds_bpermute_b32 v16, v26, v14
	s_waitcnt lgkmcnt(1)
	v_pk_add_f32 v[12:13], v[12:13], v[18:19]
	ds_bpermute_b32 v18, v27, v12
	ds_bpermute_b32 v19, v27, v13
	;; [unrolled: 1-line block ×3, first 2 shown]
	v_lshlrev_b32_e32 v28, 2, v22
	ds_bpermute_b32 v24, v26, v8
	ds_bpermute_b32 v25, v26, v9
	s_waitcnt lgkmcnt(3)
	v_pk_add_f32 v[12:13], v[12:13], v[18:19]
	ds_bpermute_b32 v18, v23, v10
	ds_bpermute_b32 v19, v23, v11
	;; [unrolled: 1-line block ×4, first 2 shown]
	s_waitcnt lgkmcnt(6)
	v_pk_add_f32 v[14:15], v[14:15], v[16:17]
	s_waitcnt lgkmcnt(4)
	v_pk_add_f32 v[8:9], v[8:9], v[24:25]
	;; [unrolled: 2-line block ×3, first 2 shown]
	ds_bpermute_b32 v18, v26, v10
	ds_bpermute_b32 v19, v26, v11
	;; [unrolled: 1-line block ×4, first 2 shown]
	s_waitcnt lgkmcnt(4)
	v_pk_add_f32 v[12:13], v[12:13], v[22:23]
	ds_bpermute_b32 v22, v27, v8
	s_waitcnt lgkmcnt(3)
	v_pk_add_f32 v[10:11], v[10:11], v[18:19]
	ds_bpermute_b32 v18, v27, v10
	ds_bpermute_b32 v19, v27, v11
	ds_bpermute_b32 v23, v27, v9
	s_waitcnt lgkmcnt(4)
	v_pk_add_f32 v[14:15], v[14:15], v[16:17]
	ds_bpermute_b32 v16, v28, v14
	ds_bpermute_b32 v17, v28, v15
	s_waitcnt lgkmcnt(3)
	v_pk_add_f32 v[10:11], v[10:11], v[18:19]
	s_waitcnt lgkmcnt(2)
	v_pk_add_f32 v[8:9], v[8:9], v[22:23]
	ds_bpermute_b32 v18, v28, v10
	ds_bpermute_b32 v19, v28, v11
	;; [unrolled: 1-line block ×4, first 2 shown]
	v_cmp_lt_i32_e32 vcc, v81, v80
	s_waitcnt lgkmcnt(4)
	v_pk_add_f32 v[14:15], v[14:15], v[16:17]
	s_waitcnt lgkmcnt(2)
	v_pk_add_f32 v[10:11], v[10:11], v[18:19]
	v_cndmask_b32_e32 v20, v20, v81, vcc
	v_lshlrev_b32_e32 v20, 2, v20
	s_waitcnt lgkmcnt(0)
	v_pk_add_f32 v[8:9], v[8:9], v[22:23]
	ds_bpermute_b32 v16, v20, v14
	ds_bpermute_b32 v17, v20, v15
	;; [unrolled: 1-line block ×8, first 2 shown]
	s_cmp_eq_u32 s3, 0
	s_cselect_b64 s[6:7], -1, 0
	s_and_b64 s[4:5], s[6:7], s[4:5]
	s_waitcnt lgkmcnt(6)
	v_pk_add_f32 v[26:27], v[14:15], v[16:17]
	s_waitcnt lgkmcnt(4)
	v_pk_add_f32 v[24:25], v[12:13], v[24:25]
	;; [unrolled: 2-line block ×4, first 2 shown]
	s_and_b64 vcc, exec, s[4:5]
	s_cbranch_vccz .LBB75_9
; %bb.8:
	s_ashr_i32 s29, s28, 31
	s_lshl_b64 s[4:5], s[28:29], 2
	s_add_u32 s4, s12, s4
	s_addc_u32 s5, s13, s5
	v_mov_b32_e32 v8, 0
	global_load_dwordx4 v[14:17], v8, s[4:5]
	v_max_f32_e32 v8, v0, v0
	v_max_f32_e32 v9, v1, v1
	s_mov_b32 s5, 0x3fb8aa3b
	v_max_f32_e32 v10, v2, v2
	s_mov_b32 s2, 0xc2ce8ed0
	s_mov_b32 s4, 0x42b17218
	v_mov_b32_e32 v20, 0x7f800000
	s_waitcnt vmcnt(0)
	v_max_f32_e32 v12, v14, v14
	v_max_f32_e32 v8, v8, v12
	;; [unrolled: 1-line block ×3, first 2 shown]
	v_sub_f32_e32 v0, v0, v8
	v_max_f32_e32 v9, v9, v13
	v_sub_f32_e32 v11, v14, v8
	v_mul_f32_e32 v28, 0x3fb8aa3b, v0
	v_max_f32_e32 v56, v16, v16
	v_sub_f32_e32 v1, v1, v9
	v_mul_f32_e32 v53, 0x3fb8aa3b, v11
	v_fma_f32 v59, v0, s5, -v28
	v_rndne_f32_e32 v60, v28
	v_max_f32_e32 v10, v10, v56
	v_sub_f32_e32 v29, v15, v9
	v_mul_f32_e32 v54, 0x3fb8aa3b, v1
	v_fma_f32 v61, v11, s5, -v53
	v_rndne_f32_e32 v62, v53
	v_fmac_f32_e32 v59, 0x32a5705f, v0
	v_sub_f32_e32 v28, v28, v60
	v_sub_f32_e32 v2, v2, v10
	v_mul_f32_e32 v55, 0x3fb8aa3b, v29
	v_fma_f32 v68, v1, s5, -v54
	v_rndne_f32_e32 v69, v54
	v_fmac_f32_e32 v61, 0x32a5705f, v11
	v_sub_f32_e32 v53, v53, v62
	v_add_f32_e32 v28, v28, v59
	v_mul_f32_e32 v57, 0x3fb8aa3b, v2
	v_fma_f32 v70, v29, s5, -v55
	v_rndne_f32_e32 v71, v55
	v_cvt_i32_f32_e32 v60, v60
	v_fmac_f32_e32 v68, 0x32a5705f, v1
	v_sub_f32_e32 v54, v54, v69
	v_add_f32_e32 v53, v53, v61
	v_exp_f32_e32 v28, v28
	v_fma_f32 v72, v2, s5, -v57
	v_rndne_f32_e32 v73, v57
	v_cvt_i32_f32_e32 v62, v62
	v_fmac_f32_e32 v70, 0x32a5705f, v29
	v_sub_f32_e32 v55, v55, v71
	v_add_f32_e32 v54, v54, v68
	v_exp_f32_e32 v53, v53
	v_cvt_i32_f32_e32 v69, v69
	v_fmac_f32_e32 v72, 0x32a5705f, v2
	v_sub_f32_e32 v57, v57, v73
	v_add_f32_e32 v55, v55, v70
	v_exp_f32_e32 v54, v54
	v_cvt_i32_f32_e32 v71, v71
	v_add_f32_e32 v57, v57, v72
	v_exp_f32_e32 v55, v55
	v_cvt_i32_f32_e32 v73, v73
	v_exp_f32_e32 v57, v57
	v_ldexp_f32 v28, v28, v60
	v_cmp_ngt_f32_e32 vcc, s2, v0
	v_ldexp_f32 v53, v53, v62
	v_ldexp_f32 v54, v54, v69
	v_cndmask_b32_e32 v28, 0, v28, vcc
	v_cmp_ngt_f32_e32 vcc, s2, v11
	v_sub_f32_e32 v52, v16, v10
	v_ldexp_f32 v55, v55, v71
	v_cndmask_b32_e32 v53, 0, v53, vcc
	v_cmp_ngt_f32_e32 vcc, s2, v1
	v_mul_f32_e32 v58, 0x3fb8aa3b, v52
	v_ldexp_f32 v57, v57, v73
	v_cndmask_b32_e32 v54, 0, v54, vcc
	v_cmp_ngt_f32_e32 vcc, s2, v29
	v_fma_f32 v74, v52, s5, -v58
	v_rndne_f32_e32 v75, v58
	v_cndmask_b32_e32 v55, 0, v55, vcc
	v_cmp_ngt_f32_e32 vcc, s2, v2
	v_fmac_f32_e32 v74, 0x32a5705f, v52
	v_sub_f32_e32 v58, v58, v75
	v_cndmask_b32_e32 v57, 0, v57, vcc
	v_cmp_nlt_f32_e32 vcc, s4, v0
	v_add_f32_e32 v58, v58, v74
	v_cvt_i32_f32_e32 v75, v75
	v_cndmask_b32_e32 v0, v20, v28, vcc
	v_cmp_nlt_f32_e32 vcc, s4, v11
	v_cvt_f16_f32_e32 v11, v0
	v_exp_f32_e32 v58, v58
	v_cndmask_b32_e32 v28, v20, v53, vcc
	v_cmp_nlt_f32_e32 vcc, s4, v1
	v_mul_u32_u24_e32 v11, 0x10001, v11
	v_pk_mul_f16 v38, v38, v11
	v_cndmask_b32_e32 v1, v20, v54, vcc
	v_cmp_nlt_f32_e32 vcc, s4, v29
	v_pk_mul_f16 v39, v39, v11
	v_ldexp_f32 v11, v58, v75
	v_cndmask_b32_e32 v29, v20, v55, vcc
	v_cmp_nlt_f32_e32 vcc, s4, v2
	v_cvt_f16_f32_e32 v53, v1
	v_pk_fma_f32 v[26:27], v[26:27], v[0:1], v[28:29]
	v_cndmask_b32_e32 v2, v20, v57, vcc
	v_cmp_ngt_f32_e32 vcc, s2, v52
	v_max_f32_e32 v57, v17, v17
	v_mul_u32_u24_e32 v53, 0x10001, v53
	v_cndmask_b32_e32 v11, 0, v11, vcc
	v_cmp_nlt_f32_e32 vcc, s4, v52
	v_pk_mul_f16 v30, v30, v53
	v_pk_mul_f16 v32, v32, v53
	v_cndmask_b32_e32 v52, v20, v11, vcc
	v_max_f32_e32 v11, v3, v3
	v_max_f32_e32 v11, v11, v57
	v_sub_f32_e32 v3, v3, v11
	v_mul_f32_e32 v54, 0x3fb8aa3b, v3
	v_fma_f32 v55, v3, s5, -v54
	v_rndne_f32_e32 v58, v54
	v_fmac_f32_e32 v55, 0x32a5705f, v3
	v_sub_f32_e32 v54, v54, v58
	v_cvt_f16_f32_e32 v53, v2
	v_add_f32_e32 v54, v54, v55
	v_exp_f32_e32 v54, v54
	v_cvt_i32_f32_e32 v55, v58
	v_mul_u32_u24_e32 v53, 0x10001, v53
	v_pk_mul_f16 v31, v31, v53
	v_pk_mul_f16 v33, v33, v53
	v_ldexp_f32 v53, v54, v55
	v_sub_f32_e32 v54, v17, v11
	v_mul_f32_e32 v55, 0x3fb8aa3b, v54
	v_fma_f32 v58, v54, s5, -v55
	v_rndne_f32_e32 v59, v55
	v_fmac_f32_e32 v58, 0x32a5705f, v54
	v_sub_f32_e32 v55, v55, v59
	v_add_f32_e32 v55, v55, v58
	v_exp_f32_e32 v55, v55
	v_cvt_i32_f32_e32 v58, v59
	v_cmp_ngt_f32_e32 vcc, s2, v3
	s_nop 1
	v_cndmask_b32_e32 v53, 0, v53, vcc
	v_cmp_nlt_f32_e32 vcc, s4, v3
	s_nop 1
	v_cndmask_b32_e32 v3, v20, v53, vcc
	v_ldexp_f32 v53, v55, v58
	v_max_f32_e32 v55, v4, v4
	v_max_f32_e32 v12, v55, v12
	v_sub_f32_e32 v4, v4, v12
	v_mul_f32_e32 v55, 0x3fb8aa3b, v4
	v_fma_f32 v58, v4, s5, -v55
	v_rndne_f32_e32 v59, v55
	v_cmp_ngt_f32_e32 vcc, s2, v54
	v_fmac_f32_e32 v58, 0x32a5705f, v4
	v_sub_f32_e32 v55, v55, v59
	v_cndmask_b32_e32 v53, 0, v53, vcc
	v_cmp_nlt_f32_e32 vcc, s4, v54
	v_cvt_f16_f32_e32 v54, v3
	v_add_f32_e32 v55, v55, v58
	v_exp_f32_e32 v55, v55
	v_cvt_i32_f32_e32 v58, v59
	v_mul_u32_u24_e32 v54, 0x10001, v54
	v_sub_f32_e32 v14, v14, v12
	v_pk_mul_f16 v34, v34, v54
	v_pk_mul_f16 v36, v36, v54
	v_ldexp_f32 v54, v55, v58
	v_mul_f32_e32 v55, 0x3fb8aa3b, v14
	v_fma_f32 v58, v14, s5, -v55
	v_rndne_f32_e32 v59, v55
	v_fmac_f32_e32 v58, 0x32a5705f, v14
	v_sub_f32_e32 v55, v55, v59
	v_add_f32_e32 v55, v55, v58
	v_exp_f32_e32 v55, v55
	v_cvt_i32_f32_e32 v58, v59
	v_cndmask_b32_e32 v53, v20, v53, vcc
	v_cmp_ngt_f32_e32 vcc, s2, v4
	v_pk_fma_f32 v[24:25], v[24:25], v[2:3], v[52:53]
	s_nop 0
	v_cndmask_b32_e32 v54, 0, v54, vcc
	v_cmp_nlt_f32_e32 vcc, s4, v4
	s_nop 1
	v_cndmask_b32_e32 v4, v20, v54, vcc
	v_ldexp_f32 v54, v55, v58
	v_max_f32_e32 v55, v5, v5
	v_max_f32_e32 v13, v55, v13
	v_sub_f32_e32 v5, v5, v13
	v_mul_f32_e32 v55, 0x3fb8aa3b, v5
	v_fma_f32 v58, v5, s5, -v55
	v_rndne_f32_e32 v59, v55
	v_cmp_ngt_f32_e32 vcc, s2, v14
	v_fmac_f32_e32 v58, 0x32a5705f, v5
	v_sub_f32_e32 v55, v55, v59
	v_cndmask_b32_e32 v54, 0, v54, vcc
	v_cmp_nlt_f32_e32 vcc, s4, v14
	v_cvt_f16_f32_e32 v14, v4
	v_add_f32_e32 v55, v55, v58
	v_exp_f32_e32 v55, v55
	v_cvt_i32_f32_e32 v58, v59
	v_mul_u32_u24_e32 v14, 0x10001, v14
	v_sub_f32_e32 v15, v15, v13
	v_pk_mul_f16 v35, v35, v14
	v_pk_mul_f16 v37, v37, v14
	v_ldexp_f32 v14, v55, v58
	v_mul_f32_e32 v55, 0x3fb8aa3b, v15
	v_fma_f32 v58, v15, s5, -v55
	v_rndne_f32_e32 v59, v55
	v_fmac_f32_e32 v58, 0x32a5705f, v15
	v_sub_f32_e32 v55, v55, v59
	v_add_f32_e32 v55, v55, v58
	v_exp_f32_e32 v55, v55
	v_cvt_i32_f32_e32 v58, v59
	v_cndmask_b32_e32 v54, v20, v54, vcc
	v_cmp_ngt_f32_e32 vcc, s2, v5
	s_nop 1
	v_cndmask_b32_e32 v14, 0, v14, vcc
	v_cmp_nlt_f32_e32 vcc, s4, v5
	s_nop 1
	v_cndmask_b32_e32 v5, v20, v14, vcc
	v_ldexp_f32 v14, v55, v58
	v_cmp_ngt_f32_e32 vcc, s2, v15
	s_nop 1
	v_cndmask_b32_e32 v14, 0, v14, vcc
	v_cmp_nlt_f32_e32 vcc, s4, v15
	v_cvt_f16_f32_e32 v15, v5
	v_mul_u32_u24_e32 v15, 0x10001, v15
	v_cndmask_b32_e32 v55, v20, v14, vcc
	v_max_f32_e32 v14, v6, v6
	v_max_f32_e32 v14, v14, v56
	v_sub_f32_e32 v6, v6, v14
	v_mul_f32_e32 v56, 0x3fb8aa3b, v6
	v_fma_f32 v58, v6, s5, -v56
	v_rndne_f32_e32 v59, v56
	v_fmac_f32_e32 v58, 0x32a5705f, v6
	v_sub_f32_e32 v56, v56, v59
	v_add_f32_e32 v56, v56, v58
	v_exp_f32_e32 v56, v56
	v_cvt_i32_f32_e32 v58, v59
	v_sub_f32_e32 v16, v16, v14
	v_pk_mul_f16 v66, v66, v15
	v_pk_mul_f16 v67, v67, v15
	v_ldexp_f32 v15, v56, v58
	v_mul_f32_e32 v56, 0x3fb8aa3b, v16
	v_fma_f32 v58, v16, s5, -v56
	v_rndne_f32_e32 v59, v56
	v_fmac_f32_e32 v58, 0x32a5705f, v16
	v_sub_f32_e32 v56, v56, v59
	v_add_f32_e32 v56, v56, v58
	v_exp_f32_e32 v56, v56
	v_cvt_i32_f32_e32 v58, v59
	v_cmp_ngt_f32_e32 vcc, s2, v6
	v_pk_fma_f32 v[22:23], v[22:23], v[4:5], v[54:55]
	s_nop 0
	v_cndmask_b32_e32 v15, 0, v15, vcc
	v_cmp_nlt_f32_e32 vcc, s4, v6
	s_nop 1
	v_cndmask_b32_e32 v6, v20, v15, vcc
	v_ldexp_f32 v15, v56, v58
	v_cmp_ngt_f32_e32 vcc, s2, v16
	v_cvt_f16_f32_e32 v56, v6
	v_mul_u32_u24_e32 v56, 0x10001, v56
	v_cndmask_b32_e32 v15, 0, v15, vcc
	v_cmp_nlt_f32_e32 vcc, s4, v16
	v_pk_mul_f16 v64, v64, v56
	v_pk_mul_f16 v65, v65, v56
	v_cndmask_b32_e32 v16, v20, v15, vcc
	v_max_f32_e32 v15, v7, v7
	v_max_f32_e32 v15, v15, v57
	v_sub_f32_e32 v7, v7, v15
	v_mul_f32_e32 v57, 0x3fb8aa3b, v7
	v_fma_f32 v58, v7, s5, -v57
	v_rndne_f32_e32 v59, v57
	v_fmac_f32_e32 v58, 0x32a5705f, v7
	v_sub_f32_e32 v57, v57, v59
	v_add_f32_e32 v57, v57, v58
	v_exp_f32_e32 v57, v57
	v_cvt_i32_f32_e32 v58, v59
	v_sub_f32_e32 v17, v17, v15
	v_cmp_ngt_f32_e32 vcc, s2, v7
	v_ldexp_f32 v56, v57, v58
	v_mul_f32_e32 v57, 0x3fb8aa3b, v17
	v_fma_f32 v58, v17, s5, -v57
	v_rndne_f32_e32 v59, v57
	v_fmac_f32_e32 v58, 0x32a5705f, v17
	v_sub_f32_e32 v57, v57, v59
	v_add_f32_e32 v57, v57, v58
	v_exp_f32_e32 v57, v57
	v_cvt_i32_f32_e32 v58, v59
	v_cndmask_b32_e32 v56, 0, v56, vcc
	v_cmp_nlt_f32_e32 vcc, s4, v7
	s_nop 1
	v_cndmask_b32_e32 v7, v20, v56, vcc
	v_ldexp_f32 v56, v57, v58
	v_cvt_f16_f32_e32 v57, v7
	v_cmp_ngt_f32_e32 vcc, s2, v17
	s_nop 1
	v_cndmask_b32_e32 v56, 0, v56, vcc
	v_cmp_nlt_f32_e32 vcc, s4, v17
	s_nop 1
	v_cndmask_b32_e32 v17, v20, v56, vcc
	v_mul_u32_u24_e32 v20, 0x10001, v57
	v_pk_fma_f32 v[18:19], v[18:19], v[6:7], v[16:17]
	v_mov_b64_e32 v[0:1], v[8:9]
	v_pk_mul_f16 v63, v63, v20
	v_pk_mul_f16 v21, v21, v20
	v_mov_b64_e32 v[2:3], v[10:11]
	v_mov_b64_e32 v[4:5], v[12:13]
	;; [unrolled: 1-line block ×3, first 2 shown]
.LBB75_9:
	v_cmp_gt_i32_e32 vcc, s22, v51
	s_and_saveexec_b64 s[4:5], vcc
	s_cbranch_execz .LBB75_46
; %bb.10:
	s_load_dword s2, s[0:1], 0xd4
	v_mov_b32_e32 v8, 1.0
	s_waitcnt lgkmcnt(0)
	s_cmp_lg_u32 s2, 1
	s_cselect_b64 s[0:1], -1, 0
	s_cmp_eq_u32 s2, 1
	s_cselect_b64 s[6:7], -1, 0
	s_and_b64 vcc, exec, s[0:1]
	s_cbranch_vccnz .LBB75_12
; %bb.11:
	v_div_scale_f32 v8, s[4:5], v26, v26, 1.0
	v_rcp_f32_e32 v9, v8
	v_div_scale_f32 v10, vcc, 1.0, v26, 1.0
	v_fma_f32 v11, -v8, v9, 1.0
	v_fmac_f32_e32 v9, v11, v9
	v_mul_f32_e32 v11, v10, v9
	v_fma_f32 v12, -v8, v11, v10
	v_fmac_f32_e32 v11, v12, v9
	v_fma_f32 v8, -v8, v11, v10
	v_div_fmas_f32 v8, v8, v9, v11
	v_div_fixup_f32 v8, v8, v26, 1.0
.LBB75_12:
	s_mul_i32 s8, s33, s22
	s_add_i32 s8, s8, s31
	v_add_u32_e32 v9, s8, v49
	v_mul_lo_u32 v12, v9, s23
	v_add_u32_e32 v9, s28, v12
	v_cvt_f32_f16_sdwa v17, v38 dst_sel:DWORD dst_unused:UNUSED_PAD src0_sel:WORD_1
	v_cvt_f32_f16_e32 v16, v38
	v_cvt_f32_f16_sdwa v29, v39 dst_sel:DWORD dst_unused:UNUSED_PAD src0_sel:WORD_1
	v_cvt_f32_f16_e32 v28, v39
	v_mul_lo_u32 v9, s2, v9
	v_add_u32_e32 v10, s3, v9
	v_cmp_eq_u32_e32 vcc, 0, v50
	v_lshl_add_u32 v14, v10, 7, v48
	v_mov_b32_e32 v15, 0
	v_lshl_add_u64 v[38:39], v[14:15], 2, s[16:17]
	v_pk_mul_f32 v[14:15], v[8:9], v[16:17] op_sel_hi:[0,1]
	v_pk_mul_f32 v[16:17], v[8:9], v[28:29] op_sel_hi:[0,1]
	s_and_b64 s[4:5], vcc, s[0:1]
	global_store_dwordx4 v[38:39], v[14:17], off
	s_and_saveexec_b64 s[0:1], s[4:5]
	s_cbranch_execz .LBB75_14
; %bb.13:
	v_ashrrev_i32_e32 v11, 31, v10
	v_lshl_add_u64 v[8:9], v[10:11], 3, s[18:19]
	v_mov_b32_e32 v10, v0
	v_mov_b32_e32 v11, v26
	global_store_dwordx2 v[8:9], v[10:11], off
.LBB75_14:
	s_or_b64 exec, exec, s[0:1]
	v_cndmask_b32_e64 v0, 0, 1, s[6:7]
	v_cmp_ne_u32_e64 s[0:1], 1, v0
	s_andn2_b64 vcc, exec, s[6:7]
	v_mov_b32_e32 v0, 1.0
	s_cbranch_vccnz .LBB75_16
; %bb.15:
	v_div_scale_f32 v0, s[6:7], v27, v27, 1.0
	v_rcp_f32_e32 v8, v0
	v_div_scale_f32 v9, vcc, 1.0, v27, 1.0
	v_fma_f32 v10, -v0, v8, 1.0
	v_fmac_f32_e32 v8, v10, v8
	v_mul_f32_e32 v10, v9, v8
	v_fma_f32 v11, -v0, v10, v9
	v_fmac_f32_e32 v10, v11, v8
	v_fma_f32 v0, -v0, v10, v9
	v_div_fmas_f32 v0, v0, v8, v10
	v_div_fixup_f32 v0, v0, v27, 1.0
.LBB75_16:
	s_add_i32 s11, s28, 1
	v_add_u32_e32 v8, s11, v12
	v_cvt_f32_f16_sdwa v15, v30 dst_sel:DWORD dst_unused:UNUSED_PAD src0_sel:WORD_1
	v_cvt_f32_f16_e32 v14, v30
	v_cvt_f32_f16_sdwa v17, v32 dst_sel:DWORD dst_unused:UNUSED_PAD src0_sel:WORD_1
	v_cvt_f32_f16_e32 v16, v32
	v_mul_lo_u32 v8, s2, v8
	v_add_u32_e32 v8, s3, v8
	v_lshl_add_u32 v10, v8, 7, v48
	v_mov_b32_e32 v11, 0
	v_lshl_add_u64 v[10:11], v[10:11], 2, s[16:17]
	v_pk_mul_f32 v[14:15], v[0:1], v[14:15] op_sel_hi:[0,1]
	v_pk_mul_f32 v[16:17], v[0:1], v[16:17] op_sel_hi:[0,1]
	global_store_dwordx4 v[10:11], v[14:17], off
	s_and_saveexec_b64 s[6:7], s[4:5]
	s_cbranch_execz .LBB75_18
; %bb.17:
	v_ashrrev_i32_e32 v9, 31, v8
	v_lshl_add_u64 v[8:9], v[8:9], 3, s[18:19]
	v_mov_b32_e32 v26, v1
	global_store_dwordx2 v[8:9], v[26:27], off
.LBB75_18:
	s_or_b64 exec, exec, s[6:7]
	s_and_b64 vcc, exec, s[0:1]
	v_mov_b32_e32 v8, 1.0
	s_cbranch_vccnz .LBB75_20
; %bb.19:
	v_div_scale_f32 v0, s[6:7], v24, v24, 1.0
	v_rcp_f32_e32 v1, v0
	v_div_scale_f32 v8, vcc, 1.0, v24, 1.0
	v_fma_f32 v9, -v0, v1, 1.0
	v_fmac_f32_e32 v1, v9, v1
	v_mul_f32_e32 v9, v8, v1
	v_fma_f32 v10, -v0, v9, v8
	v_fmac_f32_e32 v9, v10, v1
	v_fma_f32 v0, -v0, v9, v8
	v_div_fmas_f32 v0, v0, v1, v9
	v_div_fixup_f32 v8, v0, v24, 1.0
.LBB75_20:
	s_add_i32 s10, s28, 2
	v_add_u32_e32 v0, s10, v12
	v_cvt_f32_f16_sdwa v15, v31 dst_sel:DWORD dst_unused:UNUSED_PAD src0_sel:WORD_1
	v_cvt_f32_f16_e32 v14, v31
	v_cvt_f32_f16_sdwa v17, v33 dst_sel:DWORD dst_unused:UNUSED_PAD src0_sel:WORD_1
	v_cvt_f32_f16_e32 v16, v33
	v_mul_lo_u32 v0, s2, v0
	v_add_u32_e32 v0, s3, v0
	v_lshl_add_u32 v10, v0, 7, v48
	v_mov_b32_e32 v11, 0
	v_lshl_add_u64 v[10:11], v[10:11], 2, s[16:17]
	v_pk_mul_f32 v[14:15], v[8:9], v[14:15] op_sel_hi:[0,1]
	v_pk_mul_f32 v[16:17], v[8:9], v[16:17] op_sel_hi:[0,1]
	global_store_dwordx4 v[10:11], v[14:17], off
	s_and_saveexec_b64 s[6:7], s[4:5]
	s_cbranch_execz .LBB75_22
; %bb.21:
	v_ashrrev_i32_e32 v1, 31, v0
	v_lshl_add_u64 v[0:1], v[0:1], 3, s[18:19]
	v_mov_b32_e32 v8, v2
	v_mov_b32_e32 v9, v24
	global_store_dwordx2 v[0:1], v[8:9], off
.LBB75_22:
	s_or_b64 exec, exec, s[6:7]
	s_and_b64 vcc, exec, s[0:1]
	v_mov_b32_e32 v2, 1.0
	s_cbranch_vccnz .LBB75_24
; %bb.23:
	v_div_scale_f32 v0, s[6:7], v25, v25, 1.0
	v_rcp_f32_e32 v1, v0
	v_div_scale_f32 v2, vcc, 1.0, v25, 1.0
	v_fma_f32 v8, -v0, v1, 1.0
	v_fmac_f32_e32 v1, v8, v1
	v_mul_f32_e32 v8, v2, v1
	v_fma_f32 v9, -v0, v8, v2
	v_fmac_f32_e32 v8, v9, v1
	v_fma_f32 v0, -v0, v8, v2
	v_div_fmas_f32 v0, v0, v1, v8
	v_div_fixup_f32 v2, v0, v25, 1.0
.LBB75_24:
	s_add_i32 s9, s28, 3
	v_add_u32_e32 v0, s9, v12
	v_cvt_f32_f16_sdwa v11, v34 dst_sel:DWORD dst_unused:UNUSED_PAD src0_sel:WORD_1
	v_cvt_f32_f16_e32 v10, v34
	v_cvt_f32_f16_sdwa v13, v36 dst_sel:DWORD dst_unused:UNUSED_PAD src0_sel:WORD_1
	v_cvt_f32_f16_e32 v12, v36
	v_mul_lo_u32 v0, s2, v0
	v_add_u32_e32 v0, s3, v0
	v_lshl_add_u32 v8, v0, 7, v48
	v_mov_b32_e32 v9, 0
	v_lshl_add_u64 v[14:15], v[8:9], 2, s[16:17]
	v_pk_mul_f32 v[8:9], v[2:3], v[10:11] op_sel_hi:[0,1]
	v_pk_mul_f32 v[10:11], v[2:3], v[12:13] op_sel_hi:[0,1]
	global_store_dwordx4 v[14:15], v[8:11], off
	s_and_saveexec_b64 s[6:7], s[4:5]
	s_cbranch_execz .LBB75_26
; %bb.25:
	v_ashrrev_i32_e32 v1, 31, v0
	v_lshl_add_u64 v[0:1], v[0:1], 3, s[18:19]
	v_mov_b32_e32 v24, v3
	global_store_dwordx2 v[0:1], v[24:25], off
.LBB75_26:
	s_or_b64 exec, exec, s[6:7]
	v_cmp_gt_i32_e32 vcc, s22, v47
	s_and_b64 exec, exec, vcc
	s_cbranch_execz .LBB75_46
; %bb.27:
	s_and_b64 vcc, exec, s[0:1]
	v_mov_b32_e32 v2, 1.0
	s_cbranch_vccnz .LBB75_29
; %bb.28:
	v_div_scale_f32 v0, s[6:7], v22, v22, 1.0
	v_rcp_f32_e32 v1, v0
	v_div_scale_f32 v2, vcc, 1.0, v22, 1.0
	v_fma_f32 v3, -v0, v1, 1.0
	v_fmac_f32_e32 v1, v3, v1
	v_mul_f32_e32 v3, v2, v1
	v_fma_f32 v8, -v0, v3, v2
	v_fmac_f32_e32 v3, v8, v1
	v_fma_f32 v0, -v0, v3, v2
	v_div_fmas_f32 v0, v0, v1, v3
	v_div_fixup_f32 v2, v0, v22, 1.0
.LBB75_29:
	v_add_u32_e32 v0, s8, v46
	v_mul_lo_u32 v0, v0, s23
	v_add_u32_e32 v0, s28, v0
	v_cvt_f32_f16_sdwa v11, v35 dst_sel:DWORD dst_unused:UNUSED_PAD src0_sel:WORD_1
	v_cvt_f32_f16_e32 v10, v35
	v_cvt_f32_f16_sdwa v13, v37 dst_sel:DWORD dst_unused:UNUSED_PAD src0_sel:WORD_1
	v_cvt_f32_f16_e32 v12, v37
	v_mul_lo_u32 v0, s2, v0
	v_add_u32_e32 v0, s3, v0
	v_lshl_add_u32 v8, v0, 7, v48
	v_mov_b32_e32 v9, 0
	v_lshl_add_u64 v[14:15], v[8:9], 2, s[16:17]
	v_pk_mul_f32 v[8:9], v[2:3], v[10:11] op_sel_hi:[0,1]
	v_pk_mul_f32 v[10:11], v[2:3], v[12:13] op_sel_hi:[0,1]
	global_store_dwordx4 v[14:15], v[8:11], off
	s_and_saveexec_b64 s[6:7], s[4:5]
	s_cbranch_execz .LBB75_31
; %bb.30:
	v_ashrrev_i32_e32 v1, 31, v0
	v_lshl_add_u64 v[0:1], v[0:1], 3, s[18:19]
	v_mov_b32_e32 v2, v4
	v_mov_b32_e32 v3, v22
	global_store_dwordx2 v[0:1], v[2:3], off
.LBB75_31:
	s_or_b64 exec, exec, s[6:7]
	v_cmp_gt_i32_e32 vcc, s22, v45
	s_and_b64 exec, exec, vcc
	s_cbranch_execz .LBB75_46
; %bb.32:
	s_and_b64 vcc, exec, s[0:1]
	v_mov_b32_e32 v2, 1.0
	s_cbranch_vccnz .LBB75_34
; %bb.33:
	v_div_scale_f32 v0, s[6:7], v23, v23, 1.0
	v_rcp_f32_e32 v1, v0
	v_div_scale_f32 v2, vcc, 1.0, v23, 1.0
	v_fma_f32 v3, -v0, v1, 1.0
	v_fmac_f32_e32 v1, v3, v1
	v_mul_f32_e32 v3, v2, v1
	v_fma_f32 v4, -v0, v3, v2
	v_fmac_f32_e32 v3, v4, v1
	v_fma_f32 v0, -v0, v3, v2
	v_div_fmas_f32 v0, v0, v1, v3
	v_div_fixup_f32 v2, v0, v23, 1.0
.LBB75_34:
	v_add_u32_e32 v0, s8, v43
	v_mul_lo_u32 v0, v0, s23
	v_add_u32_e32 v0, s11, v0
	v_cvt_f32_f16_sdwa v11, v66 dst_sel:DWORD dst_unused:UNUSED_PAD src0_sel:WORD_1
	v_cvt_f32_f16_e32 v10, v66
	v_cvt_f32_f16_sdwa v13, v67 dst_sel:DWORD dst_unused:UNUSED_PAD src0_sel:WORD_1
	v_cvt_f32_f16_e32 v12, v67
	v_mul_lo_u32 v0, s2, v0
	v_add_u32_e32 v0, s3, v0
	v_lshl_add_u32 v8, v0, 7, v48
	v_mov_b32_e32 v9, 0
	v_lshl_add_u64 v[14:15], v[8:9], 2, s[16:17]
	v_pk_mul_f32 v[8:9], v[2:3], v[10:11] op_sel_hi:[0,1]
	v_pk_mul_f32 v[10:11], v[2:3], v[12:13] op_sel_hi:[0,1]
	global_store_dwordx4 v[14:15], v[8:11], off
	s_and_saveexec_b64 s[6:7], s[4:5]
	s_cbranch_execz .LBB75_36
; %bb.35:
	v_ashrrev_i32_e32 v1, 31, v0
	v_lshl_add_u64 v[0:1], v[0:1], 3, s[18:19]
	v_mov_b32_e32 v22, v5
	global_store_dwordx2 v[0:1], v[22:23], off
.LBB75_36:
	s_or_b64 exec, exec, s[6:7]
	v_cmp_gt_i32_e32 vcc, s22, v44
	s_and_b64 exec, exec, vcc
	s_cbranch_execz .LBB75_46
; %bb.37:
	s_and_b64 vcc, exec, s[0:1]
	v_mov_b32_e32 v2, 1.0
	s_cbranch_vccnz .LBB75_39
; %bb.38:
	v_div_scale_f32 v0, s[6:7], v18, v18, 1.0
	v_rcp_f32_e32 v1, v0
	v_div_scale_f32 v2, vcc, 1.0, v18, 1.0
	v_fma_f32 v3, -v0, v1, 1.0
	v_fmac_f32_e32 v1, v3, v1
	v_mul_f32_e32 v3, v2, v1
	v_fma_f32 v4, -v0, v3, v2
	v_fmac_f32_e32 v3, v4, v1
	v_fma_f32 v0, -v0, v3, v2
	v_div_fmas_f32 v0, v0, v1, v3
	v_div_fixup_f32 v2, v0, v18, 1.0
.LBB75_39:
	v_add_u32_e32 v0, s8, v42
	v_mul_lo_u32 v0, v0, s23
	v_add_u32_e32 v0, s10, v0
	v_cvt_f32_f16_sdwa v9, v64 dst_sel:DWORD dst_unused:UNUSED_PAD src0_sel:WORD_1
	v_cvt_f32_f16_e32 v8, v64
	v_cvt_f32_f16_sdwa v11, v65 dst_sel:DWORD dst_unused:UNUSED_PAD src0_sel:WORD_1
	v_cvt_f32_f16_e32 v10, v65
	v_mul_lo_u32 v0, s2, v0
	v_add_u32_e32 v0, s3, v0
	v_lshl_add_u32 v4, v0, 7, v48
	v_mov_b32_e32 v5, 0
	v_lshl_add_u64 v[4:5], v[4:5], 2, s[16:17]
	v_pk_mul_f32 v[8:9], v[2:3], v[8:9] op_sel_hi:[0,1]
	v_pk_mul_f32 v[10:11], v[2:3], v[10:11] op_sel_hi:[0,1]
	global_store_dwordx4 v[4:5], v[8:11], off
	s_and_saveexec_b64 s[6:7], s[4:5]
	s_cbranch_execz .LBB75_41
; %bb.40:
	v_ashrrev_i32_e32 v1, 31, v0
	v_lshl_add_u64 v[0:1], v[0:1], 3, s[18:19]
	v_mov_b32_e32 v2, v6
	v_mov_b32_e32 v3, v18
	global_store_dwordx2 v[0:1], v[2:3], off
.LBB75_41:
	s_or_b64 exec, exec, s[6:7]
	v_cmp_gt_i32_e32 vcc, s22, v41
	s_and_b64 exec, exec, vcc
	s_cbranch_execz .LBB75_46
; %bb.42:
	s_and_b64 vcc, exec, s[0:1]
	v_mov_b32_e32 v2, 1.0
	s_cbranch_vccnz .LBB75_44
; %bb.43:
	v_div_scale_f32 v0, s[0:1], v19, v19, 1.0
	v_rcp_f32_e32 v1, v0
	v_div_scale_f32 v2, vcc, 1.0, v19, 1.0
	v_fma_f32 v3, -v0, v1, 1.0
	v_fmac_f32_e32 v1, v3, v1
	v_mul_f32_e32 v3, v2, v1
	v_fma_f32 v4, -v0, v3, v2
	v_fmac_f32_e32 v3, v4, v1
	v_fma_f32 v0, -v0, v3, v2
	v_div_fmas_f32 v0, v0, v1, v3
	v_div_fixup_f32 v2, v0, v19, 1.0
.LBB75_44:
	v_add_u32_e32 v0, s8, v40
	v_mul_lo_u32 v0, v0, s23
	v_add_u32_e32 v0, s9, v0
	v_cvt_f32_f16_sdwa v9, v63 dst_sel:DWORD dst_unused:UNUSED_PAD src0_sel:WORD_1
	v_cvt_f32_f16_e32 v8, v63
	v_cvt_f32_f16_sdwa v11, v21 dst_sel:DWORD dst_unused:UNUSED_PAD src0_sel:WORD_1
	v_cvt_f32_f16_e32 v10, v21
	v_mul_lo_u32 v0, s2, v0
	v_add_u32_e32 v0, s3, v0
	v_lshl_add_u32 v4, v0, 7, v48
	v_mov_b32_e32 v5, 0
	v_lshl_add_u64 v[4:5], v[4:5], 2, s[16:17]
	v_pk_mul_f32 v[8:9], v[2:3], v[8:9] op_sel_hi:[0,1]
	v_pk_mul_f32 v[10:11], v[2:3], v[10:11] op_sel_hi:[0,1]
	global_store_dwordx4 v[4:5], v[8:11], off
	s_and_b64 exec, exec, s[4:5]
	s_cbranch_execz .LBB75_46
; %bb.45:
	v_ashrrev_i32_e32 v1, 31, v0
	v_lshl_add_u64 v[0:1], v[0:1], 3, s[18:19]
	v_mov_b32_e32 v18, v7
	global_store_dwordx2 v[0:1], v[18:19], off
.LBB75_46:
	s_endpgm
.LBB75_47:
                                        ; implicit-def: $vgpr20
                                        ; implicit-def: $vgpr80
                                        ; implicit-def: $vgpr82
                                        ; implicit-def: $vgpr85
                                        ; implicit-def: $vgpr84
                                        ; implicit-def: $vgpr83
                                        ; implicit-def: $vgpr81
	v_lshlrev_b32_e32 v48, 2, v50
.LBB75_48:
	s_sub_i32 s4, 0, s29
	s_mul_i32 s4, s4, s39
	s_mul_hi_u32 s4, s39, s4
	s_add_i32 s39, s39, s4
	s_load_dwordx4 s[24:27], s[0:1], 0x98
	s_load_dword s10, s[0:1], 0x54
	s_load_dwordx2 s[4:5], s[0:1], 0x8c
	s_abs_i32 s15, s28
	s_mul_hi_u32 s36, s15, s39
	s_waitcnt lgkmcnt(0)
	s_ashr_i32 s11, s26, 2
	s_ashr_i32 s26, s37, 1
	;; [unrolled: 1-line block ×4, first 2 shown]
	s_mul_hi_u32 s4, s24, s33
	s_mul_i32 s42, s24, s37
	s_add_i32 s4, s4, s42
	s_mul_i32 s25, s25, s33
	s_ashr_i32 s40, s28, 31
	s_ashr_i32 s41, s38, 31
	s_add_i32 s4, s4, s25
	s_mul_i32 s24, s24, s33
	s_add_u32 s6, s6, s24
	s_mul_i32 s24, s36, s29
	s_addc_u32 s7, s7, s4
	s_sub_i32 s15, s15, s24
	s_xor_b32 s4, s40, s41
	s_add_i32 s24, s36, 1
	s_sub_i32 s25, s15, s29
	s_cmp_ge_u32 s15, s29
	s_cselect_b32 s24, s24, s36
	s_cselect_b32 s15, s25, s15
	s_add_i32 s25, s24, 1
	s_cmp_ge_u32 s15, s29
	s_cselect_b32 s15, s25, s24
	s_load_dwordx2 s[38:39], s[0:1], 0xa8
	s_xor_b32 s15, s15, s4
	s_sub_i32 s15, s15, s4
	s_mul_i32 s4, s15, s5
	s_ashr_i32 s5, s4, 31
	s_add_u32 s4, s6, s4
	s_addc_u32 s5, s7, s5
	s_waitcnt lgkmcnt(0)
	s_mul_hi_u32 s6, s38, s33
	s_mul_i32 s7, s38, s37
	s_add_i32 s6, s6, s7
	s_mul_i32 s7, s39, s33
	s_add_i32 s6, s6, s7
	s_mul_i32 s7, s38, s33
	s_add_u32 s7, s8, s7
	s_mul_i32 s15, s15, s27
	s_addc_u32 s8, s9, s6
	s_ashr_i32 s9, s15, 31
	v_lshrrev_b32_e32 v6, 2, v50
	s_add_u32 s6, s7, s15
	v_add_u32_e32 v5, v6, v5
	v_and_b32_e32 v6, 12, v48
	s_addc_u32 s7, s8, s9
	s_movk_i32 s8, 0x50
	v_mul_u32_u24_e32 v7, 0x50, v5
	v_lshlrev_b32_e32 v20, 2, v6
	v_mul_lo_u32 v6, s14, v5
	v_mov_b32_e32 v5, 0x6000
	v_mul_lo_u32 v55, v4, s26
	v_add3_u32 v4, s31, v49, 1
	v_mad_u32_u24 v54, v50, s8, v5
	v_mul_hi_u32 v5, s20, v4
	v_add_u32_e32 v5, v4, v5
	v_lshrrev_b32_e32 v5, s21, v5
	v_mul_lo_u32 v5, v5, s22
	s_movk_i32 s9, 0x6000
	v_sub_u32_e32 v4, v4, v5
	v_add3_u32 v53, v7, v20, s9
	v_ashrrev_i32_e32 v7, 31, v6
	v_mul_lo_u32 v56, v4, s26
	v_mov_b32_e32 v4, 0x4000
	v_lshl_add_u64 v[6:7], v[6:7], 2, s[4:5]
	v_mov_b32_e32 v21, 0
	v_lshl_add_u32 v57, v2, 10, v4
	v_lshrrev_b32_e32 v2, 4, v50
	v_and_b32_e32 v4, 60, v48
	v_lshl_add_u64 v[16:17], v[6:7], 0, v[20:21]
	v_add_u32_e32 v2, v2, v49
	v_lshlrev_b32_e32 v20, 2, v4
	v_lshl_or_b32 v4, v2, 8, v20
	v_add_u32_e32 v58, 0x6000, v4
	v_mul_lo_u32 v4, s11, v2
	v_ashrrev_i32_e32 v5, 31, v4
	v_lshl_add_u64 v[4:5], v[4:5], 2, s[6:7]
	s_add_u32 s4, s0, 0xd0
	v_lshl_add_u64 v[18:19], v[4:5], 0, v[20:21]
	v_or_b32_e32 v59, 0x6000, v3
	s_addc_u32 s5, s1, 0
	v_mov_b32_e32 v22, 0xfeffffff
	s_mov_b32 s8, 0x3f200000
	s_mov_b32 s9, 0x3fb8aa3b
	;; [unrolled: 1-line block ×4, first 2 shown]
	v_mov_b32_e32 v60, 0x3ca908c9
	s_brev_b32 s21, -2
	s_mov_b32 s24, 0x10001
	v_add_u32_e32 v61, v57, v0
	v_mov_b32_e32 v62, 0x7f800000
	v_mbcnt_hi_u32_b32 v20, -1, v1
	v_mov_b32_e32 v63, v21
	v_mov_b32_e32 v65, v21
	;; [unrolled: 1-line block ×30, first 2 shown]
                                        ; implicit-def: $vgpr2
                                        ; implicit-def: $vgpr2
	;; [unrolled: 1-line block ×3, first 2 shown]
.LBB75_49:                              ; =>This Inner Loop Header: Depth=1
	s_mul_hi_i32 s7, s2, s14
	s_mul_i32 s6, s2, s14
	v_lshl_add_u64 v[4:5], s[6:7], 2, v[16:17]
	global_load_dwordx4 v[0:3], v[4:5], off
	v_mov_b32_e32 v80, 0
	v_mov_b32_e32 v77, 0
	;; [unrolled: 1-line block ×16, first 2 shown]
	s_waitcnt vmcnt(0)
	ds_write_b128 v53, v[0:3]
	s_waitcnt lgkmcnt(0)
	s_barrier
	ds_read_b128 v[0:3], v54
	ds_read_b128 v[82:85], v54 offset:2560
	ds_read_b128 v[86:89], v52
	ds_read_b128 v[90:93], v52 offset:256
	ds_read_b128 v[94:97], v52 offset:512
	;; [unrolled: 1-line block ×7, first 2 shown]
	s_waitcnt lgkmcnt(7)
	;;#ASMSTART
	v_dot2_f32_f16 v80, v0, v86, v80
	;;#ASMEND
	s_nop 0
	;;#ASMSTART
	v_dot2_f32_f16 v80, v1, v87, v80
	;;#ASMEND
	s_nop 0
	;;#ASMSTART
	v_dot2_f32_f16 v80, v2, v88, v80
	;;#ASMEND
	s_nop 0
	;;#ASMSTART
	v_dot2_f32_f16 v80, v3, v89, v80
	;;#ASMEND
	s_waitcnt lgkmcnt(6)
	;;#ASMSTART
	v_dot2_f32_f16 v77, v0, v90, v77
	;;#ASMEND
	s_nop 0
	;;#ASMSTART
	v_dot2_f32_f16 v77, v1, v91, v77
	;;#ASMEND
	s_nop 0
	;;#ASMSTART
	v_dot2_f32_f16 v77, v2, v92, v77
	;;#ASMEND
	s_nop 0
	;;#ASMSTART
	v_dot2_f32_f16 v77, v3, v93, v77
	;;#ASMEND
	;; [unrolled: 16-line block ×8, first 2 shown]
	;;#ASMSTART
	v_dot2_f32_f16 v81, v82, v86, v81
	;;#ASMEND
	s_nop 0
	;;#ASMSTART
	v_dot2_f32_f16 v81, v83, v87, v81
	;;#ASMEND
	s_nop 0
	;;#ASMSTART
	v_dot2_f32_f16 v81, v84, v88, v81
	;;#ASMEND
	s_nop 0
	;;#ASMSTART
	v_dot2_f32_f16 v81, v85, v89, v81
	;;#ASMEND
	;;#ASMSTART
	v_dot2_f32_f16 v79, v82, v90, v79
	;;#ASMEND
	s_nop 0
	;;#ASMSTART
	v_dot2_f32_f16 v79, v83, v91, v79
	;;#ASMEND
	s_nop 0
	;;#ASMSTART
	v_dot2_f32_f16 v79, v84, v92, v79
	;;#ASMEND
	s_nop 0
	;;#ASMSTART
	v_dot2_f32_f16 v79, v85, v93, v79
	;;#ASMEND
	;; [unrolled: 15-line block ×8, first 2 shown]
	ds_read_b128 v[82:85], v54 offset:16
	ds_read_b128 v[0:3], v54 offset:2576
	;; [unrolled: 1-line block ×10, first 2 shown]
	s_waitcnt lgkmcnt(7)
	;;#ASMSTART
	v_dot2_f32_f16 v80, v82, v86, v80
	;;#ASMEND
	s_nop 0
	;;#ASMSTART
	v_dot2_f32_f16 v80, v83, v87, v80
	;;#ASMEND
	s_nop 0
	;;#ASMSTART
	v_dot2_f32_f16 v80, v84, v88, v80
	;;#ASMEND
	s_nop 0
	;;#ASMSTART
	v_dot2_f32_f16 v80, v85, v89, v80
	;;#ASMEND
	s_waitcnt lgkmcnt(6)
	;;#ASMSTART
	v_dot2_f32_f16 v77, v82, v90, v77
	;;#ASMEND
	s_nop 0
	;;#ASMSTART
	v_dot2_f32_f16 v77, v83, v91, v77
	;;#ASMEND
	s_nop 0
	;;#ASMSTART
	v_dot2_f32_f16 v77, v84, v92, v77
	;;#ASMEND
	s_nop 0
	;;#ASMSTART
	v_dot2_f32_f16 v77, v85, v93, v77
	;;#ASMEND
	;; [unrolled: 16-line block ×8, first 2 shown]
	;;#ASMSTART
	v_dot2_f32_f16 v81, v0, v86, v81
	;;#ASMEND
	s_nop 0
	;;#ASMSTART
	v_dot2_f32_f16 v81, v1, v87, v81
	;;#ASMEND
	s_nop 0
	;;#ASMSTART
	v_dot2_f32_f16 v81, v2, v88, v81
	;;#ASMEND
	s_nop 0
	;;#ASMSTART
	v_dot2_f32_f16 v81, v3, v89, v81
	;;#ASMEND
	;;#ASMSTART
	v_dot2_f32_f16 v79, v0, v90, v79
	;;#ASMEND
	s_nop 0
	;;#ASMSTART
	v_dot2_f32_f16 v79, v1, v91, v79
	;;#ASMEND
	s_nop 0
	;;#ASMSTART
	v_dot2_f32_f16 v79, v2, v92, v79
	;;#ASMEND
	s_nop 0
	;;#ASMSTART
	v_dot2_f32_f16 v79, v3, v93, v79
	;;#ASMEND
	;; [unrolled: 15-line block ×8, first 2 shown]
	ds_read_b128 v[82:85], v54 offset:32
	ds_read_b128 v[0:3], v54 offset:2592
	;; [unrolled: 1-line block ×10, first 2 shown]
	s_waitcnt lgkmcnt(7)
	;;#ASMSTART
	v_dot2_f32_f16 v80, v82, v86, v80
	;;#ASMEND
	s_nop 0
	;;#ASMSTART
	v_dot2_f32_f16 v80, v83, v87, v80
	;;#ASMEND
	s_nop 0
	;;#ASMSTART
	v_dot2_f32_f16 v80, v84, v88, v80
	;;#ASMEND
	s_nop 0
	;;#ASMSTART
	v_dot2_f32_f16 v80, v85, v89, v80
	;;#ASMEND
	s_waitcnt lgkmcnt(6)
	;;#ASMSTART
	v_dot2_f32_f16 v77, v82, v90, v77
	;;#ASMEND
	s_nop 0
	;;#ASMSTART
	v_dot2_f32_f16 v77, v83, v91, v77
	;;#ASMEND
	s_nop 0
	;;#ASMSTART
	v_dot2_f32_f16 v77, v84, v92, v77
	;;#ASMEND
	s_nop 0
	;;#ASMSTART
	v_dot2_f32_f16 v77, v85, v93, v77
	;;#ASMEND
	;; [unrolled: 16-line block ×8, first 2 shown]
	;;#ASMSTART
	v_dot2_f32_f16 v81, v0, v86, v81
	;;#ASMEND
	s_nop 0
	;;#ASMSTART
	v_dot2_f32_f16 v81, v1, v87, v81
	;;#ASMEND
	s_nop 0
	;;#ASMSTART
	v_dot2_f32_f16 v81, v2, v88, v81
	;;#ASMEND
	s_nop 0
	;;#ASMSTART
	v_dot2_f32_f16 v81, v3, v89, v81
	;;#ASMEND
	;;#ASMSTART
	v_dot2_f32_f16 v79, v0, v90, v79
	;;#ASMEND
	s_nop 0
	;;#ASMSTART
	v_dot2_f32_f16 v79, v1, v91, v79
	;;#ASMEND
	s_nop 0
	;;#ASMSTART
	v_dot2_f32_f16 v79, v2, v92, v79
	;;#ASMEND
	s_nop 0
	;;#ASMSTART
	v_dot2_f32_f16 v79, v3, v93, v79
	;;#ASMEND
	;; [unrolled: 15-line block ×8, first 2 shown]
	ds_read_b128 v[82:85], v54 offset:48
	ds_read_b128 v[0:3], v54 offset:2608
	;; [unrolled: 1-line block ×10, first 2 shown]
	s_waitcnt lgkmcnt(7)
	;;#ASMSTART
	v_dot2_f32_f16 v80, v82, v86, v80
	;;#ASMEND
	s_nop 0
	;;#ASMSTART
	v_dot2_f32_f16 v80, v83, v87, v80
	;;#ASMEND
	s_nop 0
	;;#ASMSTART
	v_dot2_f32_f16 v80, v84, v88, v80
	;;#ASMEND
	s_nop 0
	;;#ASMSTART
	v_dot2_f32_f16 v80, v85, v89, v80
	;;#ASMEND
	s_waitcnt lgkmcnt(6)
	;;#ASMSTART
	v_dot2_f32_f16 v77, v82, v90, v77
	;;#ASMEND
	s_nop 0
	;;#ASMSTART
	v_dot2_f32_f16 v77, v83, v91, v77
	;;#ASMEND
	s_nop 0
	;;#ASMSTART
	v_dot2_f32_f16 v77, v84, v92, v77
	;;#ASMEND
	s_nop 0
	;;#ASMSTART
	v_dot2_f32_f16 v77, v85, v93, v77
	;;#ASMEND
	s_waitcnt lgkmcnt(5)
	;;#ASMSTART
	v_dot2_f32_f16 v75, v82, v94, v75
	;;#ASMEND
	s_nop 0
	;;#ASMSTART
	v_dot2_f32_f16 v75, v83, v95, v75
	;;#ASMEND
	s_nop 0
	;;#ASMSTART
	v_dot2_f32_f16 v75, v84, v96, v75
	;;#ASMEND
	s_nop 0
	;;#ASMSTART
	v_dot2_f32_f16 v75, v85, v97, v75
	;;#ASMEND
	s_waitcnt lgkmcnt(4)
	;;#ASMSTART
	v_dot2_f32_f16 v74, v82, v98, v74
	;;#ASMEND
	s_nop 0
	;;#ASMSTART
	v_dot2_f32_f16 v74, v83, v99, v74
	;;#ASMEND
	s_nop 0
	;;#ASMSTART
	v_dot2_f32_f16 v74, v84, v100, v74
	;;#ASMEND
	s_nop 0
	;;#ASMSTART
	v_dot2_f32_f16 v74, v85, v101, v74
	;;#ASMEND
	s_waitcnt lgkmcnt(3)
	;;#ASMSTART
	v_dot2_f32_f16 v72, v82, v102, v72
	;;#ASMEND
	s_nop 0
	;;#ASMSTART
	v_dot2_f32_f16 v72, v83, v103, v72
	;;#ASMEND
	s_nop 0
	;;#ASMSTART
	v_dot2_f32_f16 v72, v84, v104, v72
	;;#ASMEND
	s_nop 0
	;;#ASMSTART
	v_dot2_f32_f16 v72, v85, v105, v72
	;;#ASMEND
	s_waitcnt lgkmcnt(2)
	;;#ASMSTART
	v_dot2_f32_f16 v26, v82, v106, v26
	;;#ASMEND
	s_nop 0
	;;#ASMSTART
	v_dot2_f32_f16 v26, v83, v107, v26
	;;#ASMEND
	s_nop 0
	;;#ASMSTART
	v_dot2_f32_f16 v26, v84, v108, v26
	;;#ASMEND
	s_nop 0
	;;#ASMSTART
	v_dot2_f32_f16 v26, v85, v109, v26
	;;#ASMEND
	s_waitcnt lgkmcnt(1)
	;;#ASMSTART
	v_dot2_f32_f16 v24, v82, v110, v24
	;;#ASMEND
	s_nop 0
	;;#ASMSTART
	v_dot2_f32_f16 v24, v83, v111, v24
	;;#ASMEND
	s_nop 0
	;;#ASMSTART
	v_dot2_f32_f16 v24, v84, v112, v24
	;;#ASMEND
	s_nop 0
	;;#ASMSTART
	v_dot2_f32_f16 v24, v85, v113, v24
	;;#ASMEND
	s_waitcnt lgkmcnt(0)
	;;#ASMSTART
	v_dot2_f32_f16 v6, v82, v114, v6
	;;#ASMEND
	s_nop 0
	;;#ASMSTART
	v_dot2_f32_f16 v6, v83, v115, v6
	;;#ASMEND
	s_nop 0
	;;#ASMSTART
	v_dot2_f32_f16 v6, v84, v116, v6
	;;#ASMEND
	s_nop 0
	;;#ASMSTART
	v_dot2_f32_f16 v6, v85, v117, v6
	;;#ASMEND
	;;#ASMSTART
	v_dot2_f32_f16 v81, v0, v86, v81
	;;#ASMEND
	s_nop 0
	;;#ASMSTART
	v_dot2_f32_f16 v81, v1, v87, v81
	;;#ASMEND
	s_nop 0
	;;#ASMSTART
	v_dot2_f32_f16 v81, v2, v88, v81
	;;#ASMEND
	s_nop 0
	;;#ASMSTART
	v_dot2_f32_f16 v81, v3, v89, v81
	;;#ASMEND
	;;#ASMSTART
	v_dot2_f32_f16 v79, v0, v90, v79
	;;#ASMEND
	s_nop 0
	;;#ASMSTART
	v_dot2_f32_f16 v79, v1, v91, v79
	;;#ASMEND
	s_nop 0
	;;#ASMSTART
	v_dot2_f32_f16 v79, v2, v92, v79
	;;#ASMEND
	s_nop 0
	;;#ASMSTART
	v_dot2_f32_f16 v79, v3, v93, v79
	;;#ASMEND
	;; [unrolled: 15-line block ×8, first 2 shown]
	s_barrier
	global_load_dwordx4 v[0:3], v[4:5], off offset:64
	s_waitcnt vmcnt(0)
	ds_write_b128 v53, v[0:3]
	s_waitcnt lgkmcnt(0)
	s_barrier
	ds_read_b128 v[82:85], v54
	ds_read_b128 v[0:3], v54 offset:2560
	ds_read_b128 v[86:89], v52 offset:64
	;; [unrolled: 1-line block ×9, first 2 shown]
	s_waitcnt lgkmcnt(7)
	;;#ASMSTART
	v_dot2_f32_f16 v80, v82, v86, v80
	;;#ASMEND
	s_nop 0
	;;#ASMSTART
	v_dot2_f32_f16 v80, v83, v87, v80
	;;#ASMEND
	s_nop 0
	;;#ASMSTART
	v_dot2_f32_f16 v80, v84, v88, v80
	;;#ASMEND
	s_nop 0
	;;#ASMSTART
	v_dot2_f32_f16 v80, v85, v89, v80
	;;#ASMEND
	s_waitcnt lgkmcnt(6)
	;;#ASMSTART
	v_dot2_f32_f16 v77, v82, v90, v77
	;;#ASMEND
	s_nop 0
	;;#ASMSTART
	v_dot2_f32_f16 v77, v83, v91, v77
	;;#ASMEND
	s_nop 0
	;;#ASMSTART
	v_dot2_f32_f16 v77, v84, v92, v77
	;;#ASMEND
	s_nop 0
	;;#ASMSTART
	v_dot2_f32_f16 v77, v85, v93, v77
	;;#ASMEND
	;; [unrolled: 16-line block ×8, first 2 shown]
	;;#ASMSTART
	v_dot2_f32_f16 v81, v0, v86, v81
	;;#ASMEND
	s_nop 0
	;;#ASMSTART
	v_dot2_f32_f16 v81, v1, v87, v81
	;;#ASMEND
	s_nop 0
	;;#ASMSTART
	v_dot2_f32_f16 v81, v2, v88, v81
	;;#ASMEND
	s_nop 0
	;;#ASMSTART
	v_dot2_f32_f16 v81, v3, v89, v81
	;;#ASMEND
	;;#ASMSTART
	v_dot2_f32_f16 v79, v0, v90, v79
	;;#ASMEND
	s_nop 0
	;;#ASMSTART
	v_dot2_f32_f16 v79, v1, v91, v79
	;;#ASMEND
	s_nop 0
	;;#ASMSTART
	v_dot2_f32_f16 v79, v2, v92, v79
	;;#ASMEND
	s_nop 0
	;;#ASMSTART
	v_dot2_f32_f16 v79, v3, v93, v79
	;;#ASMEND
	;; [unrolled: 15-line block ×8, first 2 shown]
	ds_read_b128 v[82:85], v54 offset:16
	ds_read_b128 v[0:3], v54 offset:2576
	;; [unrolled: 1-line block ×10, first 2 shown]
	s_waitcnt lgkmcnt(7)
	;;#ASMSTART
	v_dot2_f32_f16 v80, v82, v86, v80
	;;#ASMEND
	s_nop 0
	;;#ASMSTART
	v_dot2_f32_f16 v80, v83, v87, v80
	;;#ASMEND
	s_nop 0
	;;#ASMSTART
	v_dot2_f32_f16 v80, v84, v88, v80
	;;#ASMEND
	s_nop 0
	;;#ASMSTART
	v_dot2_f32_f16 v80, v85, v89, v80
	;;#ASMEND
	s_waitcnt lgkmcnt(6)
	;;#ASMSTART
	v_dot2_f32_f16 v77, v82, v90, v77
	;;#ASMEND
	s_nop 0
	;;#ASMSTART
	v_dot2_f32_f16 v77, v83, v91, v77
	;;#ASMEND
	s_nop 0
	;;#ASMSTART
	v_dot2_f32_f16 v77, v84, v92, v77
	;;#ASMEND
	s_nop 0
	;;#ASMSTART
	v_dot2_f32_f16 v77, v85, v93, v77
	;;#ASMEND
	;; [unrolled: 16-line block ×8, first 2 shown]
	;;#ASMSTART
	v_dot2_f32_f16 v81, v0, v86, v81
	;;#ASMEND
	s_nop 0
	;;#ASMSTART
	v_dot2_f32_f16 v81, v1, v87, v81
	;;#ASMEND
	s_nop 0
	;;#ASMSTART
	v_dot2_f32_f16 v81, v2, v88, v81
	;;#ASMEND
	s_nop 0
	;;#ASMSTART
	v_dot2_f32_f16 v81, v3, v89, v81
	;;#ASMEND
	;;#ASMSTART
	v_dot2_f32_f16 v79, v0, v90, v79
	;;#ASMEND
	s_nop 0
	;;#ASMSTART
	v_dot2_f32_f16 v79, v1, v91, v79
	;;#ASMEND
	s_nop 0
	;;#ASMSTART
	v_dot2_f32_f16 v79, v2, v92, v79
	;;#ASMEND
	s_nop 0
	;;#ASMSTART
	v_dot2_f32_f16 v79, v3, v93, v79
	;;#ASMEND
	;;#ASMSTART
	v_dot2_f32_f16 v78, v0, v94, v78
	;;#ASMEND
	s_nop 0
	;;#ASMSTART
	v_dot2_f32_f16 v78, v1, v95, v78
	;;#ASMEND
	s_nop 0
	;;#ASMSTART
	v_dot2_f32_f16 v78, v2, v96, v78
	;;#ASMEND
	s_nop 0
	;;#ASMSTART
	v_dot2_f32_f16 v78, v3, v97, v78
	;;#ASMEND
	;;#ASMSTART
	v_dot2_f32_f16 v76, v0, v98, v76
	;;#ASMEND
	s_nop 0
	;;#ASMSTART
	v_dot2_f32_f16 v76, v1, v99, v76
	;;#ASMEND
	s_nop 0
	;;#ASMSTART
	v_dot2_f32_f16 v76, v2, v100, v76
	;;#ASMEND
	s_nop 0
	;;#ASMSTART
	v_dot2_f32_f16 v76, v3, v101, v76
	;;#ASMEND
	;;#ASMSTART
	v_dot2_f32_f16 v73, v0, v102, v73
	;;#ASMEND
	s_nop 0
	;;#ASMSTART
	v_dot2_f32_f16 v73, v1, v103, v73
	;;#ASMEND
	s_nop 0
	;;#ASMSTART
	v_dot2_f32_f16 v73, v2, v104, v73
	;;#ASMEND
	s_nop 0
	;;#ASMSTART
	v_dot2_f32_f16 v73, v3, v105, v73
	;;#ASMEND
	;;#ASMSTART
	v_dot2_f32_f16 v27, v0, v106, v27
	;;#ASMEND
	s_nop 0
	;;#ASMSTART
	v_dot2_f32_f16 v27, v1, v107, v27
	;;#ASMEND
	s_nop 0
	;;#ASMSTART
	v_dot2_f32_f16 v27, v2, v108, v27
	;;#ASMEND
	s_nop 0
	;;#ASMSTART
	v_dot2_f32_f16 v27, v3, v109, v27
	;;#ASMEND
	;;#ASMSTART
	v_dot2_f32_f16 v25, v0, v110, v25
	;;#ASMEND
	s_nop 0
	;;#ASMSTART
	v_dot2_f32_f16 v25, v1, v111, v25
	;;#ASMEND
	s_nop 0
	;;#ASMSTART
	v_dot2_f32_f16 v25, v2, v112, v25
	;;#ASMEND
	s_nop 0
	;;#ASMSTART
	v_dot2_f32_f16 v25, v3, v113, v25
	;;#ASMEND
	;;#ASMSTART
	v_dot2_f32_f16 v7, v0, v114, v7
	;;#ASMEND
	s_nop 0
	;;#ASMSTART
	v_dot2_f32_f16 v7, v1, v115, v7
	;;#ASMEND
	s_nop 0
	;;#ASMSTART
	v_dot2_f32_f16 v7, v2, v116, v7
	;;#ASMEND
	s_nop 0
	;;#ASMSTART
	v_dot2_f32_f16 v7, v3, v117, v7
	;;#ASMEND
	ds_read_b128 v[82:85], v54 offset:32
	ds_read_b128 v[0:3], v54 offset:2592
	;; [unrolled: 1-line block ×10, first 2 shown]
	s_waitcnt lgkmcnt(7)
	;;#ASMSTART
	v_dot2_f32_f16 v80, v82, v86, v80
	;;#ASMEND
	s_nop 0
	;;#ASMSTART
	v_dot2_f32_f16 v80, v83, v87, v80
	;;#ASMEND
	s_nop 0
	;;#ASMSTART
	v_dot2_f32_f16 v80, v84, v88, v80
	;;#ASMEND
	s_nop 0
	;;#ASMSTART
	v_dot2_f32_f16 v80, v85, v89, v80
	;;#ASMEND
	s_waitcnt lgkmcnt(6)
	;;#ASMSTART
	v_dot2_f32_f16 v77, v82, v90, v77
	;;#ASMEND
	s_nop 0
	;;#ASMSTART
	v_dot2_f32_f16 v77, v83, v91, v77
	;;#ASMEND
	s_nop 0
	;;#ASMSTART
	v_dot2_f32_f16 v77, v84, v92, v77
	;;#ASMEND
	s_nop 0
	;;#ASMSTART
	v_dot2_f32_f16 v77, v85, v93, v77
	;;#ASMEND
	s_waitcnt lgkmcnt(5)
	;;#ASMSTART
	v_dot2_f32_f16 v75, v82, v94, v75
	;;#ASMEND
	s_nop 0
	;;#ASMSTART
	v_dot2_f32_f16 v75, v83, v95, v75
	;;#ASMEND
	s_nop 0
	;;#ASMSTART
	v_dot2_f32_f16 v75, v84, v96, v75
	;;#ASMEND
	s_nop 0
	;;#ASMSTART
	v_dot2_f32_f16 v75, v85, v97, v75
	;;#ASMEND
	s_waitcnt lgkmcnt(4)
	;;#ASMSTART
	v_dot2_f32_f16 v74, v82, v98, v74
	;;#ASMEND
	s_nop 0
	;;#ASMSTART
	v_dot2_f32_f16 v74, v83, v99, v74
	;;#ASMEND
	s_nop 0
	;;#ASMSTART
	v_dot2_f32_f16 v74, v84, v100, v74
	;;#ASMEND
	s_nop 0
	;;#ASMSTART
	v_dot2_f32_f16 v74, v85, v101, v74
	;;#ASMEND
	s_waitcnt lgkmcnt(3)
	;;#ASMSTART
	v_dot2_f32_f16 v72, v82, v102, v72
	;;#ASMEND
	s_nop 0
	;;#ASMSTART
	v_dot2_f32_f16 v72, v83, v103, v72
	;;#ASMEND
	s_nop 0
	;;#ASMSTART
	v_dot2_f32_f16 v72, v84, v104, v72
	;;#ASMEND
	s_nop 0
	;;#ASMSTART
	v_dot2_f32_f16 v72, v85, v105, v72
	;;#ASMEND
	s_waitcnt lgkmcnt(2)
	;;#ASMSTART
	v_dot2_f32_f16 v26, v82, v106, v26
	;;#ASMEND
	s_nop 0
	;;#ASMSTART
	v_dot2_f32_f16 v26, v83, v107, v26
	;;#ASMEND
	s_nop 0
	;;#ASMSTART
	v_dot2_f32_f16 v26, v84, v108, v26
	;;#ASMEND
	s_nop 0
	;;#ASMSTART
	v_dot2_f32_f16 v26, v85, v109, v26
	;;#ASMEND
	s_waitcnt lgkmcnt(1)
	;;#ASMSTART
	v_dot2_f32_f16 v24, v82, v110, v24
	;;#ASMEND
	s_nop 0
	;;#ASMSTART
	v_dot2_f32_f16 v24, v83, v111, v24
	;;#ASMEND
	s_nop 0
	;;#ASMSTART
	v_dot2_f32_f16 v24, v84, v112, v24
	;;#ASMEND
	s_nop 0
	;;#ASMSTART
	v_dot2_f32_f16 v24, v85, v113, v24
	;;#ASMEND
	s_waitcnt lgkmcnt(0)
	;;#ASMSTART
	v_dot2_f32_f16 v6, v82, v114, v6
	;;#ASMEND
	s_nop 0
	;;#ASMSTART
	v_dot2_f32_f16 v6, v83, v115, v6
	;;#ASMEND
	s_nop 0
	;;#ASMSTART
	v_dot2_f32_f16 v6, v84, v116, v6
	;;#ASMEND
	s_nop 0
	;;#ASMSTART
	v_dot2_f32_f16 v6, v85, v117, v6
	;;#ASMEND
	;;#ASMSTART
	v_dot2_f32_f16 v81, v0, v86, v81
	;;#ASMEND
	s_nop 0
	;;#ASMSTART
	v_dot2_f32_f16 v81, v1, v87, v81
	;;#ASMEND
	s_nop 0
	;;#ASMSTART
	v_dot2_f32_f16 v81, v2, v88, v81
	;;#ASMEND
	s_nop 0
	;;#ASMSTART
	v_dot2_f32_f16 v81, v3, v89, v81
	;;#ASMEND
	;;#ASMSTART
	v_dot2_f32_f16 v79, v0, v90, v79
	;;#ASMEND
	s_nop 0
	;;#ASMSTART
	v_dot2_f32_f16 v79, v1, v91, v79
	;;#ASMEND
	s_nop 0
	;;#ASMSTART
	v_dot2_f32_f16 v79, v2, v92, v79
	;;#ASMEND
	s_nop 0
	;;#ASMSTART
	v_dot2_f32_f16 v79, v3, v93, v79
	;;#ASMEND
	;; [unrolled: 15-line block ×8, first 2 shown]
	ds_read_b128 v[82:85], v54 offset:48
	ds_read_b128 v[0:3], v54 offset:2608
	;; [unrolled: 1-line block ×10, first 2 shown]
	s_waitcnt lgkmcnt(7)
	;;#ASMSTART
	v_dot2_f32_f16 v80, v82, v86, v80
	;;#ASMEND
	s_nop 0
	;;#ASMSTART
	v_dot2_f32_f16 v80, v83, v87, v80
	;;#ASMEND
	s_nop 0
	;;#ASMSTART
	v_dot2_f32_f16 v80, v84, v88, v80
	;;#ASMEND
	s_nop 0
	;;#ASMSTART
	v_dot2_f32_f16 v80, v85, v89, v80
	;;#ASMEND
	s_waitcnt lgkmcnt(6)
	;;#ASMSTART
	v_dot2_f32_f16 v77, v82, v90, v77
	;;#ASMEND
	s_nop 0
	;;#ASMSTART
	v_dot2_f32_f16 v77, v83, v91, v77
	;;#ASMEND
	s_nop 0
	;;#ASMSTART
	v_dot2_f32_f16 v77, v84, v92, v77
	;;#ASMEND
	s_nop 0
	;;#ASMSTART
	v_dot2_f32_f16 v77, v85, v93, v77
	;;#ASMEND
	s_waitcnt lgkmcnt(5)
	;;#ASMSTART
	v_dot2_f32_f16 v75, v82, v94, v75
	;;#ASMEND
	s_nop 0
	;;#ASMSTART
	v_dot2_f32_f16 v75, v83, v95, v75
	;;#ASMEND
	s_nop 0
	;;#ASMSTART
	v_dot2_f32_f16 v75, v84, v96, v75
	;;#ASMEND
	s_nop 0
	;;#ASMSTART
	v_dot2_f32_f16 v75, v85, v97, v75
	;;#ASMEND
	s_waitcnt lgkmcnt(4)
	;;#ASMSTART
	v_dot2_f32_f16 v74, v82, v98, v74
	;;#ASMEND
	s_nop 0
	;;#ASMSTART
	v_dot2_f32_f16 v74, v83, v99, v74
	;;#ASMEND
	s_nop 0
	;;#ASMSTART
	v_dot2_f32_f16 v74, v84, v100, v74
	;;#ASMEND
	s_nop 0
	;;#ASMSTART
	v_dot2_f32_f16 v74, v85, v101, v74
	;;#ASMEND
	s_waitcnt lgkmcnt(3)
	;;#ASMSTART
	v_dot2_f32_f16 v72, v82, v102, v72
	;;#ASMEND
	s_nop 0
	;;#ASMSTART
	v_dot2_f32_f16 v72, v83, v103, v72
	;;#ASMEND
	s_nop 0
	;;#ASMSTART
	v_dot2_f32_f16 v72, v84, v104, v72
	;;#ASMEND
	s_nop 0
	;;#ASMSTART
	v_dot2_f32_f16 v72, v85, v105, v72
	;;#ASMEND
	s_waitcnt lgkmcnt(2)
	;;#ASMSTART
	v_dot2_f32_f16 v26, v82, v106, v26
	;;#ASMEND
	s_nop 0
	;;#ASMSTART
	v_dot2_f32_f16 v26, v83, v107, v26
	;;#ASMEND
	s_nop 0
	;;#ASMSTART
	v_dot2_f32_f16 v26, v84, v108, v26
	;;#ASMEND
	s_nop 0
	;;#ASMSTART
	v_dot2_f32_f16 v26, v85, v109, v26
	;;#ASMEND
	s_waitcnt lgkmcnt(1)
	;;#ASMSTART
	v_dot2_f32_f16 v24, v82, v110, v24
	;;#ASMEND
	s_nop 0
	;;#ASMSTART
	v_dot2_f32_f16 v24, v83, v111, v24
	;;#ASMEND
	s_nop 0
	;;#ASMSTART
	v_dot2_f32_f16 v24, v84, v112, v24
	;;#ASMEND
	s_nop 0
	;;#ASMSTART
	v_dot2_f32_f16 v24, v85, v113, v24
	;;#ASMEND
	s_waitcnt lgkmcnt(0)
	;;#ASMSTART
	v_dot2_f32_f16 v6, v82, v114, v6
	;;#ASMEND
	s_nop 0
	;;#ASMSTART
	v_dot2_f32_f16 v6, v83, v115, v6
	;;#ASMEND
	s_nop 0
	;;#ASMSTART
	v_dot2_f32_f16 v6, v84, v116, v6
	;;#ASMEND
	s_nop 0
	;;#ASMSTART
	v_dot2_f32_f16 v6, v85, v117, v6
	;;#ASMEND
	;;#ASMSTART
	v_dot2_f32_f16 v81, v0, v86, v81
	;;#ASMEND
	s_nop 0
	;;#ASMSTART
	v_dot2_f32_f16 v81, v1, v87, v81
	;;#ASMEND
	s_nop 0
	;;#ASMSTART
	v_dot2_f32_f16 v81, v2, v88, v81
	;;#ASMEND
	s_nop 0
	;;#ASMSTART
	v_dot2_f32_f16 v81, v3, v89, v81
	;;#ASMEND
	;;#ASMSTART
	v_dot2_f32_f16 v79, v0, v90, v79
	;;#ASMEND
	s_nop 0
	;;#ASMSTART
	v_dot2_f32_f16 v79, v1, v91, v79
	;;#ASMEND
	s_nop 0
	;;#ASMSTART
	v_dot2_f32_f16 v79, v2, v92, v79
	;;#ASMEND
	s_nop 0
	;;#ASMSTART
	v_dot2_f32_f16 v79, v3, v93, v79
	;;#ASMEND
	;; [unrolled: 15-line block ×8, first 2 shown]
	s_barrier
	global_load_dwordx4 v[0:3], v[4:5], off offset:128
	s_waitcnt vmcnt(0)
	ds_write_b128 v53, v[0:3]
	s_waitcnt lgkmcnt(0)
	s_barrier
	ds_read_b128 v[82:85], v54
	ds_read_b128 v[0:3], v54 offset:2560
	ds_read_b128 v[86:89], v52 offset:128
	;; [unrolled: 1-line block ×9, first 2 shown]
	s_waitcnt lgkmcnt(7)
	;;#ASMSTART
	v_dot2_f32_f16 v80, v82, v86, v80
	;;#ASMEND
	s_nop 0
	;;#ASMSTART
	v_dot2_f32_f16 v80, v83, v87, v80
	;;#ASMEND
	s_nop 0
	;;#ASMSTART
	v_dot2_f32_f16 v80, v84, v88, v80
	;;#ASMEND
	s_nop 0
	;;#ASMSTART
	v_dot2_f32_f16 v80, v85, v89, v80
	;;#ASMEND
	s_waitcnt lgkmcnt(6)
	;;#ASMSTART
	v_dot2_f32_f16 v77, v82, v90, v77
	;;#ASMEND
	s_nop 0
	;;#ASMSTART
	v_dot2_f32_f16 v77, v83, v91, v77
	;;#ASMEND
	s_nop 0
	;;#ASMSTART
	v_dot2_f32_f16 v77, v84, v92, v77
	;;#ASMEND
	s_nop 0
	;;#ASMSTART
	v_dot2_f32_f16 v77, v85, v93, v77
	;;#ASMEND
	;; [unrolled: 16-line block ×8, first 2 shown]
	;;#ASMSTART
	v_dot2_f32_f16 v81, v0, v86, v81
	;;#ASMEND
	s_nop 0
	;;#ASMSTART
	v_dot2_f32_f16 v81, v1, v87, v81
	;;#ASMEND
	s_nop 0
	;;#ASMSTART
	v_dot2_f32_f16 v81, v2, v88, v81
	;;#ASMEND
	s_nop 0
	;;#ASMSTART
	v_dot2_f32_f16 v81, v3, v89, v81
	;;#ASMEND
	;;#ASMSTART
	v_dot2_f32_f16 v79, v0, v90, v79
	;;#ASMEND
	s_nop 0
	;;#ASMSTART
	v_dot2_f32_f16 v79, v1, v91, v79
	;;#ASMEND
	s_nop 0
	;;#ASMSTART
	v_dot2_f32_f16 v79, v2, v92, v79
	;;#ASMEND
	s_nop 0
	;;#ASMSTART
	v_dot2_f32_f16 v79, v3, v93, v79
	;;#ASMEND
	;; [unrolled: 15-line block ×8, first 2 shown]
	ds_read_b128 v[82:85], v54 offset:16
	ds_read_b128 v[0:3], v54 offset:2576
	;; [unrolled: 1-line block ×10, first 2 shown]
	s_waitcnt lgkmcnt(7)
	;;#ASMSTART
	v_dot2_f32_f16 v80, v82, v86, v80
	;;#ASMEND
	s_nop 0
	;;#ASMSTART
	v_dot2_f32_f16 v80, v83, v87, v80
	;;#ASMEND
	s_nop 0
	;;#ASMSTART
	v_dot2_f32_f16 v80, v84, v88, v80
	;;#ASMEND
	s_nop 0
	;;#ASMSTART
	v_dot2_f32_f16 v80, v85, v89, v80
	;;#ASMEND
	s_waitcnt lgkmcnt(6)
	;;#ASMSTART
	v_dot2_f32_f16 v77, v82, v90, v77
	;;#ASMEND
	s_nop 0
	;;#ASMSTART
	v_dot2_f32_f16 v77, v83, v91, v77
	;;#ASMEND
	s_nop 0
	;;#ASMSTART
	v_dot2_f32_f16 v77, v84, v92, v77
	;;#ASMEND
	s_nop 0
	;;#ASMSTART
	v_dot2_f32_f16 v77, v85, v93, v77
	;;#ASMEND
	;; [unrolled: 16-line block ×8, first 2 shown]
	;;#ASMSTART
	v_dot2_f32_f16 v81, v0, v86, v81
	;;#ASMEND
	s_nop 0
	;;#ASMSTART
	v_dot2_f32_f16 v81, v1, v87, v81
	;;#ASMEND
	s_nop 0
	;;#ASMSTART
	v_dot2_f32_f16 v81, v2, v88, v81
	;;#ASMEND
	s_nop 0
	;;#ASMSTART
	v_dot2_f32_f16 v81, v3, v89, v81
	;;#ASMEND
	;;#ASMSTART
	v_dot2_f32_f16 v79, v0, v90, v79
	;;#ASMEND
	s_nop 0
	;;#ASMSTART
	v_dot2_f32_f16 v79, v1, v91, v79
	;;#ASMEND
	s_nop 0
	;;#ASMSTART
	v_dot2_f32_f16 v79, v2, v92, v79
	;;#ASMEND
	s_nop 0
	;;#ASMSTART
	v_dot2_f32_f16 v79, v3, v93, v79
	;;#ASMEND
	;;#ASMSTART
	v_dot2_f32_f16 v78, v0, v94, v78
	;;#ASMEND
	s_nop 0
	;;#ASMSTART
	v_dot2_f32_f16 v78, v1, v95, v78
	;;#ASMEND
	s_nop 0
	;;#ASMSTART
	v_dot2_f32_f16 v78, v2, v96, v78
	;;#ASMEND
	s_nop 0
	;;#ASMSTART
	v_dot2_f32_f16 v78, v3, v97, v78
	;;#ASMEND
	;;#ASMSTART
	v_dot2_f32_f16 v76, v0, v98, v76
	;;#ASMEND
	s_nop 0
	;;#ASMSTART
	v_dot2_f32_f16 v76, v1, v99, v76
	;;#ASMEND
	s_nop 0
	;;#ASMSTART
	v_dot2_f32_f16 v76, v2, v100, v76
	;;#ASMEND
	s_nop 0
	;;#ASMSTART
	v_dot2_f32_f16 v76, v3, v101, v76
	;;#ASMEND
	;;#ASMSTART
	v_dot2_f32_f16 v73, v0, v102, v73
	;;#ASMEND
	s_nop 0
	;;#ASMSTART
	v_dot2_f32_f16 v73, v1, v103, v73
	;;#ASMEND
	s_nop 0
	;;#ASMSTART
	v_dot2_f32_f16 v73, v2, v104, v73
	;;#ASMEND
	s_nop 0
	;;#ASMSTART
	v_dot2_f32_f16 v73, v3, v105, v73
	;;#ASMEND
	;;#ASMSTART
	v_dot2_f32_f16 v27, v0, v106, v27
	;;#ASMEND
	s_nop 0
	;;#ASMSTART
	v_dot2_f32_f16 v27, v1, v107, v27
	;;#ASMEND
	s_nop 0
	;;#ASMSTART
	v_dot2_f32_f16 v27, v2, v108, v27
	;;#ASMEND
	s_nop 0
	;;#ASMSTART
	v_dot2_f32_f16 v27, v3, v109, v27
	;;#ASMEND
	;;#ASMSTART
	v_dot2_f32_f16 v25, v0, v110, v25
	;;#ASMEND
	s_nop 0
	;;#ASMSTART
	v_dot2_f32_f16 v25, v1, v111, v25
	;;#ASMEND
	s_nop 0
	;;#ASMSTART
	v_dot2_f32_f16 v25, v2, v112, v25
	;;#ASMEND
	s_nop 0
	;;#ASMSTART
	v_dot2_f32_f16 v25, v3, v113, v25
	;;#ASMEND
	;;#ASMSTART
	v_dot2_f32_f16 v7, v0, v114, v7
	;;#ASMEND
	s_nop 0
	;;#ASMSTART
	v_dot2_f32_f16 v7, v1, v115, v7
	;;#ASMEND
	s_nop 0
	;;#ASMSTART
	v_dot2_f32_f16 v7, v2, v116, v7
	;;#ASMEND
	s_nop 0
	;;#ASMSTART
	v_dot2_f32_f16 v7, v3, v117, v7
	;;#ASMEND
	ds_read_b128 v[82:85], v54 offset:32
	ds_read_b128 v[0:3], v54 offset:2592
	;; [unrolled: 1-line block ×10, first 2 shown]
	s_waitcnt lgkmcnt(7)
	;;#ASMSTART
	v_dot2_f32_f16 v80, v82, v86, v80
	;;#ASMEND
	s_nop 0
	;;#ASMSTART
	v_dot2_f32_f16 v80, v83, v87, v80
	;;#ASMEND
	s_nop 0
	;;#ASMSTART
	v_dot2_f32_f16 v80, v84, v88, v80
	;;#ASMEND
	s_nop 0
	;;#ASMSTART
	v_dot2_f32_f16 v80, v85, v89, v80
	;;#ASMEND
	s_waitcnt lgkmcnt(6)
	;;#ASMSTART
	v_dot2_f32_f16 v77, v82, v90, v77
	;;#ASMEND
	s_nop 0
	;;#ASMSTART
	v_dot2_f32_f16 v77, v83, v91, v77
	;;#ASMEND
	s_nop 0
	;;#ASMSTART
	v_dot2_f32_f16 v77, v84, v92, v77
	;;#ASMEND
	s_nop 0
	;;#ASMSTART
	v_dot2_f32_f16 v77, v85, v93, v77
	;;#ASMEND
	;; [unrolled: 16-line block ×8, first 2 shown]
	;;#ASMSTART
	v_dot2_f32_f16 v81, v0, v86, v81
	;;#ASMEND
	s_nop 0
	;;#ASMSTART
	v_dot2_f32_f16 v81, v1, v87, v81
	;;#ASMEND
	s_nop 0
	;;#ASMSTART
	v_dot2_f32_f16 v81, v2, v88, v81
	;;#ASMEND
	s_nop 0
	;;#ASMSTART
	v_dot2_f32_f16 v81, v3, v89, v81
	;;#ASMEND
	;;#ASMSTART
	v_dot2_f32_f16 v79, v0, v90, v79
	;;#ASMEND
	s_nop 0
	;;#ASMSTART
	v_dot2_f32_f16 v79, v1, v91, v79
	;;#ASMEND
	s_nop 0
	;;#ASMSTART
	v_dot2_f32_f16 v79, v2, v92, v79
	;;#ASMEND
	s_nop 0
	;;#ASMSTART
	v_dot2_f32_f16 v79, v3, v93, v79
	;;#ASMEND
	;; [unrolled: 15-line block ×8, first 2 shown]
	ds_read_b128 v[82:85], v54 offset:48
	ds_read_b128 v[0:3], v54 offset:2608
	;; [unrolled: 1-line block ×10, first 2 shown]
	s_waitcnt lgkmcnt(7)
	;;#ASMSTART
	v_dot2_f32_f16 v80, v82, v86, v80
	;;#ASMEND
	s_nop 0
	;;#ASMSTART
	v_dot2_f32_f16 v80, v83, v87, v80
	;;#ASMEND
	s_nop 0
	;;#ASMSTART
	v_dot2_f32_f16 v80, v84, v88, v80
	;;#ASMEND
	s_nop 0
	;;#ASMSTART
	v_dot2_f32_f16 v80, v85, v89, v80
	;;#ASMEND
	s_waitcnt lgkmcnt(6)
	;;#ASMSTART
	v_dot2_f32_f16 v77, v82, v90, v77
	;;#ASMEND
	s_nop 0
	;;#ASMSTART
	v_dot2_f32_f16 v77, v83, v91, v77
	;;#ASMEND
	s_nop 0
	;;#ASMSTART
	v_dot2_f32_f16 v77, v84, v92, v77
	;;#ASMEND
	s_nop 0
	;;#ASMSTART
	v_dot2_f32_f16 v77, v85, v93, v77
	;;#ASMEND
	s_waitcnt lgkmcnt(5)
	;;#ASMSTART
	v_dot2_f32_f16 v75, v82, v94, v75
	;;#ASMEND
	s_nop 0
	;;#ASMSTART
	v_dot2_f32_f16 v75, v83, v95, v75
	;;#ASMEND
	s_nop 0
	;;#ASMSTART
	v_dot2_f32_f16 v75, v84, v96, v75
	;;#ASMEND
	s_nop 0
	;;#ASMSTART
	v_dot2_f32_f16 v75, v85, v97, v75
	;;#ASMEND
	s_waitcnt lgkmcnt(4)
	;;#ASMSTART
	v_dot2_f32_f16 v74, v82, v98, v74
	;;#ASMEND
	s_nop 0
	;;#ASMSTART
	v_dot2_f32_f16 v74, v83, v99, v74
	;;#ASMEND
	s_nop 0
	;;#ASMSTART
	v_dot2_f32_f16 v74, v84, v100, v74
	;;#ASMEND
	s_nop 0
	;;#ASMSTART
	v_dot2_f32_f16 v74, v85, v101, v74
	;;#ASMEND
	s_waitcnt lgkmcnt(3)
	;;#ASMSTART
	v_dot2_f32_f16 v72, v82, v102, v72
	;;#ASMEND
	s_nop 0
	;;#ASMSTART
	v_dot2_f32_f16 v72, v83, v103, v72
	;;#ASMEND
	s_nop 0
	;;#ASMSTART
	v_dot2_f32_f16 v72, v84, v104, v72
	;;#ASMEND
	s_nop 0
	;;#ASMSTART
	v_dot2_f32_f16 v72, v85, v105, v72
	;;#ASMEND
	s_waitcnt lgkmcnt(2)
	;;#ASMSTART
	v_dot2_f32_f16 v26, v82, v106, v26
	;;#ASMEND
	s_nop 0
	;;#ASMSTART
	v_dot2_f32_f16 v26, v83, v107, v26
	;;#ASMEND
	s_nop 0
	;;#ASMSTART
	v_dot2_f32_f16 v26, v84, v108, v26
	;;#ASMEND
	s_nop 0
	;;#ASMSTART
	v_dot2_f32_f16 v26, v85, v109, v26
	;;#ASMEND
	s_waitcnt lgkmcnt(1)
	;;#ASMSTART
	v_dot2_f32_f16 v24, v82, v110, v24
	;;#ASMEND
	s_nop 0
	;;#ASMSTART
	v_dot2_f32_f16 v24, v83, v111, v24
	;;#ASMEND
	s_nop 0
	;;#ASMSTART
	v_dot2_f32_f16 v24, v84, v112, v24
	;;#ASMEND
	s_nop 0
	;;#ASMSTART
	v_dot2_f32_f16 v24, v85, v113, v24
	;;#ASMEND
	s_waitcnt lgkmcnt(0)
	;;#ASMSTART
	v_dot2_f32_f16 v6, v82, v114, v6
	;;#ASMEND
	s_nop 0
	;;#ASMSTART
	v_dot2_f32_f16 v6, v83, v115, v6
	;;#ASMEND
	s_nop 0
	;;#ASMSTART
	v_dot2_f32_f16 v6, v84, v116, v6
	;;#ASMEND
	s_nop 0
	;;#ASMSTART
	v_dot2_f32_f16 v6, v85, v117, v6
	;;#ASMEND
	;;#ASMSTART
	v_dot2_f32_f16 v81, v0, v86, v81
	;;#ASMEND
	s_nop 0
	;;#ASMSTART
	v_dot2_f32_f16 v81, v1, v87, v81
	;;#ASMEND
	s_nop 0
	;;#ASMSTART
	v_dot2_f32_f16 v81, v2, v88, v81
	;;#ASMEND
	s_nop 0
	;;#ASMSTART
	v_dot2_f32_f16 v81, v3, v89, v81
	;;#ASMEND
	;;#ASMSTART
	v_dot2_f32_f16 v79, v0, v90, v79
	;;#ASMEND
	s_nop 0
	;;#ASMSTART
	v_dot2_f32_f16 v79, v1, v91, v79
	;;#ASMEND
	s_nop 0
	;;#ASMSTART
	v_dot2_f32_f16 v79, v2, v92, v79
	;;#ASMEND
	s_nop 0
	;;#ASMSTART
	v_dot2_f32_f16 v79, v3, v93, v79
	;;#ASMEND
	;;#ASMSTART
	v_dot2_f32_f16 v78, v0, v94, v78
	;;#ASMEND
	s_nop 0
	;;#ASMSTART
	v_dot2_f32_f16 v78, v1, v95, v78
	;;#ASMEND
	s_nop 0
	;;#ASMSTART
	v_dot2_f32_f16 v78, v2, v96, v78
	;;#ASMEND
	s_nop 0
	;;#ASMSTART
	v_dot2_f32_f16 v78, v3, v97, v78
	;;#ASMEND
	;;#ASMSTART
	v_dot2_f32_f16 v76, v0, v98, v76
	;;#ASMEND
	s_nop 0
	;;#ASMSTART
	v_dot2_f32_f16 v76, v1, v99, v76
	;;#ASMEND
	s_nop 0
	;;#ASMSTART
	v_dot2_f32_f16 v76, v2, v100, v76
	;;#ASMEND
	s_nop 0
	;;#ASMSTART
	v_dot2_f32_f16 v76, v3, v101, v76
	;;#ASMEND
	;;#ASMSTART
	v_dot2_f32_f16 v73, v0, v102, v73
	;;#ASMEND
	s_nop 0
	;;#ASMSTART
	v_dot2_f32_f16 v73, v1, v103, v73
	;;#ASMEND
	s_nop 0
	;;#ASMSTART
	v_dot2_f32_f16 v73, v2, v104, v73
	;;#ASMEND
	s_nop 0
	;;#ASMSTART
	v_dot2_f32_f16 v73, v3, v105, v73
	;;#ASMEND
	;;#ASMSTART
	v_dot2_f32_f16 v27, v0, v106, v27
	;;#ASMEND
	s_nop 0
	;;#ASMSTART
	v_dot2_f32_f16 v27, v1, v107, v27
	;;#ASMEND
	s_nop 0
	;;#ASMSTART
	v_dot2_f32_f16 v27, v2, v108, v27
	;;#ASMEND
	s_nop 0
	;;#ASMSTART
	v_dot2_f32_f16 v27, v3, v109, v27
	;;#ASMEND
	;;#ASMSTART
	v_dot2_f32_f16 v25, v0, v110, v25
	;;#ASMEND
	s_nop 0
	;;#ASMSTART
	v_dot2_f32_f16 v25, v1, v111, v25
	;;#ASMEND
	s_nop 0
	;;#ASMSTART
	v_dot2_f32_f16 v25, v2, v112, v25
	;;#ASMEND
	s_nop 0
	;;#ASMSTART
	v_dot2_f32_f16 v25, v3, v113, v25
	;;#ASMEND
	;;#ASMSTART
	v_dot2_f32_f16 v7, v0, v114, v7
	;;#ASMEND
	s_nop 0
	;;#ASMSTART
	v_dot2_f32_f16 v7, v1, v115, v7
	;;#ASMEND
	s_nop 0
	;;#ASMSTART
	v_dot2_f32_f16 v7, v2, v116, v7
	;;#ASMEND
	s_nop 0
	;;#ASMSTART
	v_dot2_f32_f16 v7, v3, v117, v7
	;;#ASMEND
	s_barrier
	global_load_dwordx4 v[0:3], v[4:5], off offset:192
	s_waitcnt vmcnt(0)
	ds_write_b128 v53, v[0:3]
	s_waitcnt lgkmcnt(0)
	s_barrier
	ds_read_b128 v[82:85], v54
	ds_read_b128 v[0:3], v54 offset:2560
	ds_read_b128 v[86:89], v52 offset:192
	;; [unrolled: 1-line block ×9, first 2 shown]
	s_waitcnt lgkmcnt(7)
	;;#ASMSTART
	v_dot2_f32_f16 v80, v82, v86, v80
	;;#ASMEND
	s_nop 0
	;;#ASMSTART
	v_dot2_f32_f16 v80, v83, v87, v80
	;;#ASMEND
	s_nop 0
	;;#ASMSTART
	v_dot2_f32_f16 v80, v84, v88, v80
	;;#ASMEND
	s_nop 0
	;;#ASMSTART
	v_dot2_f32_f16 v80, v85, v89, v80
	;;#ASMEND
	s_waitcnt lgkmcnt(6)
	;;#ASMSTART
	v_dot2_f32_f16 v77, v82, v90, v77
	;;#ASMEND
	s_nop 0
	;;#ASMSTART
	v_dot2_f32_f16 v77, v83, v91, v77
	;;#ASMEND
	s_nop 0
	;;#ASMSTART
	v_dot2_f32_f16 v77, v84, v92, v77
	;;#ASMEND
	s_nop 0
	;;#ASMSTART
	v_dot2_f32_f16 v77, v85, v93, v77
	;;#ASMEND
	;; [unrolled: 16-line block ×8, first 2 shown]
	;;#ASMSTART
	v_dot2_f32_f16 v81, v0, v86, v81
	;;#ASMEND
	s_nop 0
	;;#ASMSTART
	v_dot2_f32_f16 v81, v1, v87, v81
	;;#ASMEND
	s_nop 0
	;;#ASMSTART
	v_dot2_f32_f16 v81, v2, v88, v81
	;;#ASMEND
	s_nop 0
	;;#ASMSTART
	v_dot2_f32_f16 v81, v3, v89, v81
	;;#ASMEND
	;;#ASMSTART
	v_dot2_f32_f16 v79, v0, v90, v79
	;;#ASMEND
	s_nop 0
	;;#ASMSTART
	v_dot2_f32_f16 v79, v1, v91, v79
	;;#ASMEND
	s_nop 0
	;;#ASMSTART
	v_dot2_f32_f16 v79, v2, v92, v79
	;;#ASMEND
	s_nop 0
	;;#ASMSTART
	v_dot2_f32_f16 v79, v3, v93, v79
	;;#ASMEND
	;; [unrolled: 15-line block ×8, first 2 shown]
	ds_read_b128 v[82:85], v54 offset:16
	ds_read_b128 v[0:3], v54 offset:2576
	ds_read_b128 v[86:89], v52 offset:208
	ds_read_b128 v[90:93], v52 offset:464
	ds_read_b128 v[94:97], v52 offset:720
	ds_read_b128 v[98:101], v52 offset:976
	ds_read_b128 v[102:105], v52 offset:1232
	ds_read_b128 v[106:109], v52 offset:1488
	ds_read_b128 v[110:113], v52 offset:1744
	ds_read_b128 v[114:117], v52 offset:2000
	s_waitcnt lgkmcnt(7)
	;;#ASMSTART
	v_dot2_f32_f16 v80, v82, v86, v80
	;;#ASMEND
	s_nop 0
	;;#ASMSTART
	v_dot2_f32_f16 v80, v83, v87, v80
	;;#ASMEND
	s_nop 0
	;;#ASMSTART
	v_dot2_f32_f16 v80, v84, v88, v80
	;;#ASMEND
	s_nop 0
	;;#ASMSTART
	v_dot2_f32_f16 v80, v85, v89, v80
	;;#ASMEND
	s_waitcnt lgkmcnt(6)
	;;#ASMSTART
	v_dot2_f32_f16 v77, v82, v90, v77
	;;#ASMEND
	s_nop 0
	;;#ASMSTART
	v_dot2_f32_f16 v77, v83, v91, v77
	;;#ASMEND
	s_nop 0
	;;#ASMSTART
	v_dot2_f32_f16 v77, v84, v92, v77
	;;#ASMEND
	s_nop 0
	;;#ASMSTART
	v_dot2_f32_f16 v77, v85, v93, v77
	;;#ASMEND
	;; [unrolled: 16-line block ×8, first 2 shown]
	;;#ASMSTART
	v_dot2_f32_f16 v81, v0, v86, v81
	;;#ASMEND
	s_nop 0
	;;#ASMSTART
	v_dot2_f32_f16 v81, v1, v87, v81
	;;#ASMEND
	s_nop 0
	;;#ASMSTART
	v_dot2_f32_f16 v81, v2, v88, v81
	;;#ASMEND
	s_nop 0
	;;#ASMSTART
	v_dot2_f32_f16 v81, v3, v89, v81
	;;#ASMEND
	;;#ASMSTART
	v_dot2_f32_f16 v79, v0, v90, v79
	;;#ASMEND
	s_nop 0
	;;#ASMSTART
	v_dot2_f32_f16 v79, v1, v91, v79
	;;#ASMEND
	s_nop 0
	;;#ASMSTART
	v_dot2_f32_f16 v79, v2, v92, v79
	;;#ASMEND
	s_nop 0
	;;#ASMSTART
	v_dot2_f32_f16 v79, v3, v93, v79
	;;#ASMEND
	;; [unrolled: 15-line block ×8, first 2 shown]
	ds_read_b128 v[82:85], v54 offset:32
	ds_read_b128 v[0:3], v54 offset:2592
	;; [unrolled: 1-line block ×10, first 2 shown]
	s_waitcnt lgkmcnt(7)
	;;#ASMSTART
	v_dot2_f32_f16 v80, v82, v86, v80
	;;#ASMEND
	s_nop 0
	;;#ASMSTART
	v_dot2_f32_f16 v80, v83, v87, v80
	;;#ASMEND
	s_nop 0
	;;#ASMSTART
	v_dot2_f32_f16 v80, v84, v88, v80
	;;#ASMEND
	s_nop 0
	;;#ASMSTART
	v_dot2_f32_f16 v80, v85, v89, v80
	;;#ASMEND
	s_waitcnt lgkmcnt(6)
	;;#ASMSTART
	v_dot2_f32_f16 v77, v82, v90, v77
	;;#ASMEND
	s_nop 0
	;;#ASMSTART
	v_dot2_f32_f16 v77, v83, v91, v77
	;;#ASMEND
	s_nop 0
	;;#ASMSTART
	v_dot2_f32_f16 v77, v84, v92, v77
	;;#ASMEND
	s_nop 0
	;;#ASMSTART
	v_dot2_f32_f16 v77, v85, v93, v77
	;;#ASMEND
	;; [unrolled: 16-line block ×8, first 2 shown]
	;;#ASMSTART
	v_dot2_f32_f16 v81, v0, v86, v81
	;;#ASMEND
	s_nop 0
	;;#ASMSTART
	v_dot2_f32_f16 v81, v1, v87, v81
	;;#ASMEND
	s_nop 0
	;;#ASMSTART
	v_dot2_f32_f16 v81, v2, v88, v81
	;;#ASMEND
	s_nop 0
	;;#ASMSTART
	v_dot2_f32_f16 v81, v3, v89, v81
	;;#ASMEND
	;;#ASMSTART
	v_dot2_f32_f16 v79, v0, v90, v79
	;;#ASMEND
	s_nop 0
	;;#ASMSTART
	v_dot2_f32_f16 v79, v1, v91, v79
	;;#ASMEND
	s_nop 0
	;;#ASMSTART
	v_dot2_f32_f16 v79, v2, v92, v79
	;;#ASMEND
	s_nop 0
	;;#ASMSTART
	v_dot2_f32_f16 v79, v3, v93, v79
	;;#ASMEND
	;; [unrolled: 15-line block ×8, first 2 shown]
	ds_read_b128 v[82:85], v54 offset:48
	ds_read_b128 v[0:3], v54 offset:2608
	;; [unrolled: 1-line block ×10, first 2 shown]
	s_waitcnt lgkmcnt(7)
	;;#ASMSTART
	v_dot2_f32_f16 v80, v82, v86, v80
	;;#ASMEND
	s_nop 0
	;;#ASMSTART
	v_dot2_f32_f16 v80, v83, v87, v80
	;;#ASMEND
	s_nop 0
	;; [unrolled: 4-line block ×3, first 2 shown]
	;;#ASMSTART
	v_dot2_f32_f16 v80, v85, v89, v80
	;;#ASMEND
	s_waitcnt lgkmcnt(6)
	;;#ASMSTART
	v_dot2_f32_f16 v77, v82, v90, v77
	;;#ASMEND
	s_nop 0
	;;#ASMSTART
	v_dot2_f32_f16 v77, v83, v91, v77
	;;#ASMEND
	v_cmp_nlt_f32_e64 s[6:7], |v80|, s8
	;;#ASMSTART
	v_dot2_f32_f16 v77, v84, v92, v77
	;;#ASMEND
	s_nop 0
	;;#ASMSTART
	v_dot2_f32_f16 v77, v85, v93, v77
	;;#ASMEND
	s_waitcnt lgkmcnt(5)
	;;#ASMSTART
	v_dot2_f32_f16 v75, v82, v94, v75
	;;#ASMEND
	s_nop 0
	;;#ASMSTART
	v_dot2_f32_f16 v75, v83, v95, v75
	;;#ASMEND
	s_nop 0
	;;#ASMSTART
	v_dot2_f32_f16 v75, v84, v96, v75
	;;#ASMEND
	s_nop 0
	;;#ASMSTART
	v_dot2_f32_f16 v75, v85, v97, v75
	;;#ASMEND
	s_waitcnt lgkmcnt(4)
	;;#ASMSTART
	v_dot2_f32_f16 v74, v82, v98, v74
	;;#ASMEND
	s_nop 0
	;;#ASMSTART
	v_dot2_f32_f16 v74, v83, v99, v74
	;;#ASMEND
	s_nop 0
	;; [unrolled: 16-line block ×6, first 2 shown]
	;;#ASMSTART
	v_dot2_f32_f16 v6, v84, v116, v6
	;;#ASMEND
	s_nop 0
	;;#ASMSTART
	v_dot2_f32_f16 v6, v85, v117, v6
	;;#ASMEND
	;;#ASMSTART
	v_dot2_f32_f16 v81, v0, v86, v81
	;;#ASMEND
	s_nop 0
	;;#ASMSTART
	v_dot2_f32_f16 v81, v1, v87, v81
	;;#ASMEND
	s_nop 0
	;;#ASMSTART
	v_dot2_f32_f16 v81, v2, v88, v81
	;;#ASMEND
	s_nop 0
	;;#ASMSTART
	v_dot2_f32_f16 v81, v3, v89, v81
	;;#ASMEND
	;;#ASMSTART
	v_dot2_f32_f16 v79, v0, v90, v79
	;;#ASMEND
	s_nop 0
	;;#ASMSTART
	v_dot2_f32_f16 v79, v1, v91, v79
	;;#ASMEND
	s_nop 0
	;; [unrolled: 15-line block ×8, first 2 shown]
	;;#ASMSTART
	v_dot2_f32_f16 v7, v2, v116, v7
	;;#ASMEND
                                        ; implicit-def: $vgpr2
	s_nop 0
	;;#ASMSTART
	v_dot2_f32_f16 v7, v3, v117, v7
	;;#ASMEND
	s_and_saveexec_b64 s[26:27], s[6:7]
	s_xor_b64 s[6:7], exec, s[26:27]
	s_cbranch_execz .LBB75_51
; %bb.50:                               ;   in Loop: Header=BB75_49 Depth=1
	v_add_f32_e64 v0, |v80|, |v80|
	v_mul_f32_e32 v1, 0x3fb8aa3b, v0
	v_rndne_f32_e32 v2, v1
	v_sub_f32_e32 v3, v1, v2
	v_fma_f32 v1, v0, s9, -v1
	v_fmac_f32_e32 v1, 0x32a5705f, v0
	v_add_f32_e32 v1, v3, v1
	v_cvt_i32_f32_e32 v2, v2
	v_exp_f32_e32 v1, v1
	v_cmp_ngt_f32_e32 vcc, s15, v0
	v_ldexp_f32 v1, v1, v2
	s_nop 0
	v_cndmask_b32_e32 v1, 0, v1, vcc
	v_cmp_nlt_f32_e32 vcc, s20, v0
	s_nop 1
	v_cndmask_b32_e32 v0, v62, v1, vcc
	v_add_f32_e32 v0, 1.0, v0
	v_rcp_f32_e32 v0, v0
	s_nop 0
	v_fma_f32 v2, v0, -2.0, 1.0
.LBB75_51:                              ;   in Loop: Header=BB75_49 Depth=1
	s_andn2_saveexec_b64 s[6:7], s[6:7]
; %bb.52:                               ;   in Loop: Header=BB75_49 Depth=1
	v_mul_f32_e32 v0, v80, v80
	v_fmamk_f32 v1, v0, 0xbbbac73d, v60
	v_fmaak_f32 v1, v0, v1, 0xbd5c1c4e
	v_fmaak_f32 v1, v0, v1, 0x3e088382
	v_fmaak_f32 v1, v0, v1, 0xbeaaaa99
	v_mul_f32_e64 v1, |v80|, v1
	v_fma_f32 v2, v0, v1, |v80|
; %bb.53:                               ;   in Loop: Header=BB75_49 Depth=1
	s_or_b64 exec, exec, s[6:7]
	v_add_u32_e32 v4, s2, v50
	v_add_u32_e32 v0, v4, v55
	v_ashrrev_i32_e32 v1, 31, v0
	v_lshl_add_u64 v[0:1], v[0:1], 1, s[34:35]
	global_load_ushort v5, v[0:1], off
	v_cmp_nlt_f32_e64 s[6:7], |v81|, s8
                                        ; implicit-def: $vgpr3
	s_and_saveexec_b64 s[26:27], s[6:7]
	s_xor_b64 s[6:7], exec, s[26:27]
	s_cbranch_execz .LBB75_55
; %bb.54:                               ;   in Loop: Header=BB75_49 Depth=1
	v_add_f32_e64 v3, |v81|, |v81|
	v_mul_f32_e32 v82, 0x3fb8aa3b, v3
	v_rndne_f32_e32 v83, v82
	v_sub_f32_e32 v84, v82, v83
	v_fma_f32 v82, v3, s9, -v82
	v_fmac_f32_e32 v82, 0x32a5705f, v3
	v_add_f32_e32 v82, v84, v82
	v_cvt_i32_f32_e32 v83, v83
	v_exp_f32_e32 v82, v82
	v_cmp_ngt_f32_e32 vcc, s15, v3
	v_ldexp_f32 v82, v82, v83
	s_nop 0
	v_cndmask_b32_e32 v82, 0, v82, vcc
	v_cmp_nlt_f32_e32 vcc, s20, v3
	s_nop 1
	v_cndmask_b32_e32 v3, v62, v82, vcc
	v_add_f32_e32 v3, 1.0, v3
	v_rcp_f32_e32 v3, v3
	s_nop 0
	v_fma_f32 v3, v3, -2.0, 1.0
.LBB75_55:                              ;   in Loop: Header=BB75_49 Depth=1
	s_andn2_saveexec_b64 s[6:7], s[6:7]
; %bb.56:                               ;   in Loop: Header=BB75_49 Depth=1
	v_mul_f32_e32 v3, v81, v81
	v_fmamk_f32 v82, v3, 0xbbbac73d, v60
	v_fmaak_f32 v82, v3, v82, 0xbd5c1c4e
	v_fmaak_f32 v82, v3, v82, 0x3e088382
	;; [unrolled: 1-line block ×3, first 2 shown]
	v_mul_f32_e64 v82, |v81|, v82
	v_fma_f32 v3, v3, v82, |v81|
; %bb.57:                               ;   in Loop: Header=BB75_49 Depth=1
	s_or_b64 exec, exec, s[6:7]
	global_load_ushort v0, v[0:1], off offset:64
	v_bfi_b32 v1, s21, v2, v80
	v_and_b32_e32 v2, 0x60, v20
	v_add_u32_e32 v80, 32, v2
	v_xor_b32_e32 v82, 16, v20
	v_bfi_b32 v3, s21, v3, v81
	s_waitcnt vmcnt(1)
	v_fma_mix_f32 v89, s10, v1, v5 op_sel_hi:[0,0,1]
	v_cmp_lt_i32_e32 vcc, v82, v80
	v_add_f32_e32 v1, 0x40051340, v89
	v_xor_b32_e32 v85, 8, v20
	v_cndmask_b32_e32 v2, v20, v82, vcc
	v_lshlrev_b32_e32 v2, 2, v2
	v_cmp_lt_i32_e32 vcc, v85, v80
	v_xor_b32_e32 v84, 4, v20
	v_cmp_nlt_f32_e64 s[6:7], |v77|, s8
	s_waitcnt vmcnt(0)
	v_fma_mix_f32 v88, s10, v3, v0 op_sel_hi:[0,0,1]
	v_add_f32_e32 v3, 0x40051340, v88
	v_max3_f32 v1, v22, v1, v3
	ds_bpermute_b32 v81, v2, v1
	v_cndmask_b32_e32 v3, v20, v85, vcc
	v_lshlrev_b32_e32 v3, 2, v3
	v_cmp_lt_i32_e32 vcc, v84, v80
	s_waitcnt lgkmcnt(0)
	v_max_f32_e32 v81, v81, v81
	v_max_f32_e32 v1, v1, v81
	ds_bpermute_b32 v81, v3, v1
	v_cndmask_b32_e32 v83, v20, v84, vcc
	v_lshlrev_b32_e32 v91, 2, v83
	v_xor_b32_e32 v83, 2, v20
	v_cmp_lt_i32_e32 vcc, v83, v80
	s_waitcnt lgkmcnt(0)
	v_max_f32_e32 v81, v81, v81
	v_max_f32_e32 v1, v1, v81
	ds_bpermute_b32 v81, v91, v1
	v_cndmask_b32_e32 v86, v20, v83, vcc
	v_lshlrev_b32_e32 v92, 2, v86
	s_waitcnt lgkmcnt(0)
	v_max_f32_e32 v81, v81, v81
	v_max_f32_e32 v1, v1, v81
	ds_bpermute_b32 v86, v92, v1
	v_xor_b32_e32 v81, 1, v20
	v_cmp_lt_i32_e32 vcc, v81, v80
	s_waitcnt lgkmcnt(0)
	v_max_f32_e32 v86, v86, v86
	v_cndmask_b32_e32 v87, v20, v81, vcc
	v_lshlrev_b32_e32 v93, 2, v87
	v_max_f32_e32 v90, v1, v86
	ds_bpermute_b32 v94, v93, v90
                                        ; implicit-def: $vgpr1
	s_and_saveexec_b64 s[26:27], s[6:7]
	s_xor_b64 s[6:7], exec, s[26:27]
	s_cbranch_execz .LBB75_59
; %bb.58:                               ;   in Loop: Header=BB75_49 Depth=1
	v_add_f32_e64 v1, |v77|, |v77|
	v_mul_f32_e32 v86, 0x3fb8aa3b, v1
	v_rndne_f32_e32 v87, v86
	v_sub_f32_e32 v95, v86, v87
	v_fma_f32 v86, v1, s9, -v86
	v_fmac_f32_e32 v86, 0x32a5705f, v1
	v_add_f32_e32 v86, v95, v86
	v_cvt_i32_f32_e32 v87, v87
	v_exp_f32_e32 v86, v86
	v_cmp_ngt_f32_e32 vcc, s15, v1
	v_ldexp_f32 v86, v86, v87
	s_nop 0
	v_cndmask_b32_e32 v86, 0, v86, vcc
	v_cmp_nlt_f32_e32 vcc, s20, v1
	s_nop 1
	v_cndmask_b32_e32 v1, v62, v86, vcc
	v_add_f32_e32 v1, 1.0, v1
	v_rcp_f32_e32 v1, v1
	s_nop 0
	v_fma_f32 v1, v1, -2.0, 1.0
.LBB75_59:                              ;   in Loop: Header=BB75_49 Depth=1
	s_andn2_saveexec_b64 s[6:7], s[6:7]
; %bb.60:                               ;   in Loop: Header=BB75_49 Depth=1
	v_mul_f32_e32 v1, v77, v77
	v_fmamk_f32 v86, v1, 0xbbbac73d, v60
	v_fmaak_f32 v86, v1, v86, 0xbd5c1c4e
	v_fmaak_f32 v86, v1, v86, 0x3e088382
	v_fmaak_f32 v86, v1, v86, 0xbeaaaa99
	v_mul_f32_e64 v86, |v77|, v86
	v_fma_f32 v1, v1, v86, |v77|
; %bb.61:                               ;   in Loop: Header=BB75_49 Depth=1
	s_or_b64 exec, exec, s[6:7]
	v_cmp_nlt_f32_e64 s[6:7], |v79|, s8
                                        ; implicit-def: $vgpr95
	s_and_saveexec_b64 s[26:27], s[6:7]
	s_xor_b64 s[6:7], exec, s[26:27]
	s_cbranch_execz .LBB75_63
; %bb.62:                               ;   in Loop: Header=BB75_49 Depth=1
	v_add_f32_e64 v86, |v79|, |v79|
	v_mul_f32_e32 v87, 0x3fb8aa3b, v86
	v_rndne_f32_e32 v95, v87
	v_sub_f32_e32 v96, v87, v95
	v_fma_f32 v87, v86, s9, -v87
	v_fmac_f32_e32 v87, 0x32a5705f, v86
	v_add_f32_e32 v87, v96, v87
	v_cvt_i32_f32_e32 v95, v95
	v_exp_f32_e32 v87, v87
	v_cmp_ngt_f32_e32 vcc, s15, v86
	v_ldexp_f32 v87, v87, v95
	s_nop 0
	v_cndmask_b32_e32 v87, 0, v87, vcc
	v_cmp_nlt_f32_e32 vcc, s20, v86
	s_nop 1
	v_cndmask_b32_e32 v86, v62, v87, vcc
	v_add_f32_e32 v86, 1.0, v86
	v_rcp_f32_e32 v86, v86
	s_nop 0
	v_fma_f32 v95, v86, -2.0, 1.0
.LBB75_63:                              ;   in Loop: Header=BB75_49 Depth=1
	s_andn2_saveexec_b64 s[6:7], s[6:7]
; %bb.64:                               ;   in Loop: Header=BB75_49 Depth=1
	v_mul_f32_e32 v86, v79, v79
	v_fmamk_f32 v87, v86, 0xbbbac73d, v60
	v_fmaak_f32 v87, v86, v87, 0xbd5c1c4e
	v_fmaak_f32 v87, v86, v87, 0x3e088382
	;; [unrolled: 1-line block ×3, first 2 shown]
	v_mul_f32_e64 v87, |v79|, v87
	v_fma_f32 v95, v86, v87, |v79|
; %bb.65:                               ;   in Loop: Header=BB75_49 Depth=1
	s_or_b64 exec, exec, s[6:7]
	v_cvt_f32_f16_e32 v87, v5
	v_cvt_f32_f16_e32 v86, v0
	v_bfi_b32 v0, s21, v1, v77
	v_bfi_b32 v1, s21, v95, v79
	v_fma_f32 v79, s10, v0, v87
	v_fma_f32 v77, s10, v1, v86
	v_add_f32_e32 v0, 0x40051340, v79
	v_add_f32_e32 v1, 0x40051340, v77
	v_max3_f32 v0, v23, v0, v1
	ds_bpermute_b32 v1, v2, v0
	v_cmp_nlt_f32_e64 s[6:7], |v75|, s8
	s_waitcnt lgkmcnt(0)
	v_max_f32_e32 v1, v1, v1
	v_max_f32_e32 v0, v0, v1
	ds_bpermute_b32 v1, v3, v0
	s_waitcnt lgkmcnt(0)
	v_max_f32_e32 v1, v1, v1
	v_max_f32_e32 v0, v0, v1
	ds_bpermute_b32 v1, v91, v0
	;; [unrolled: 4-line block ×4, first 2 shown]
                                        ; implicit-def: $vgpr0
	s_and_saveexec_b64 s[26:27], s[6:7]
	s_xor_b64 s[6:7], exec, s[26:27]
	s_cbranch_execz .LBB75_67
; %bb.66:                               ;   in Loop: Header=BB75_49 Depth=1
	v_add_f32_e64 v0, |v75|, |v75|
	v_mul_f32_e32 v1, 0x3fb8aa3b, v0
	v_rndne_f32_e32 v5, v1
	v_sub_f32_e32 v95, v1, v5
	v_fma_f32 v1, v0, s9, -v1
	v_fmac_f32_e32 v1, 0x32a5705f, v0
	v_add_f32_e32 v1, v95, v1
	v_cvt_i32_f32_e32 v5, v5
	v_exp_f32_e32 v1, v1
	v_cmp_ngt_f32_e32 vcc, s15, v0
	v_ldexp_f32 v1, v1, v5
	s_nop 0
	v_cndmask_b32_e32 v1, 0, v1, vcc
	v_cmp_nlt_f32_e32 vcc, s20, v0
	s_nop 1
	v_cndmask_b32_e32 v0, v62, v1, vcc
	v_add_f32_e32 v0, 1.0, v0
	v_rcp_f32_e32 v0, v0
	s_nop 0
	v_fma_f32 v0, v0, -2.0, 1.0
.LBB75_67:                              ;   in Loop: Header=BB75_49 Depth=1
	s_andn2_saveexec_b64 s[6:7], s[6:7]
; %bb.68:                               ;   in Loop: Header=BB75_49 Depth=1
	v_mul_f32_e32 v0, v75, v75
	v_fmamk_f32 v1, v0, 0xbbbac73d, v60
	v_fmaak_f32 v1, v0, v1, 0xbd5c1c4e
	v_fmaak_f32 v1, v0, v1, 0x3e088382
	;; [unrolled: 1-line block ×3, first 2 shown]
	v_mul_f32_e64 v1, |v75|, v1
	v_fma_f32 v0, v0, v1, |v75|
; %bb.69:                               ;   in Loop: Header=BB75_49 Depth=1
	s_or_b64 exec, exec, s[6:7]
	v_cmp_nlt_f32_e64 s[6:7], |v78|, s8
                                        ; implicit-def: $vgpr1
	s_and_saveexec_b64 s[26:27], s[6:7]
	s_xor_b64 s[6:7], exec, s[26:27]
	s_cbranch_execz .LBB75_71
; %bb.70:                               ;   in Loop: Header=BB75_49 Depth=1
	v_add_f32_e64 v1, |v78|, |v78|
	v_mul_f32_e32 v5, 0x3fb8aa3b, v1
	v_rndne_f32_e32 v95, v5
	v_sub_f32_e32 v98, v5, v95
	v_fma_f32 v5, v1, s9, -v5
	v_fmac_f32_e32 v5, 0x32a5705f, v1
	v_add_f32_e32 v5, v98, v5
	v_cvt_i32_f32_e32 v95, v95
	v_exp_f32_e32 v5, v5
	v_cmp_ngt_f32_e32 vcc, s15, v1
	v_ldexp_f32 v5, v5, v95
	s_nop 0
	v_cndmask_b32_e32 v5, 0, v5, vcc
	v_cmp_nlt_f32_e32 vcc, s20, v1
	s_nop 1
	v_cndmask_b32_e32 v1, v62, v5, vcc
	v_add_f32_e32 v1, 1.0, v1
	v_rcp_f32_e32 v1, v1
	s_nop 0
	v_fma_f32 v1, v1, -2.0, 1.0
.LBB75_71:                              ;   in Loop: Header=BB75_49 Depth=1
	s_andn2_saveexec_b64 s[6:7], s[6:7]
; %bb.72:                               ;   in Loop: Header=BB75_49 Depth=1
	v_mul_f32_e32 v1, v78, v78
	v_fmamk_f32 v5, v1, 0xbbbac73d, v60
	v_fmaak_f32 v5, v1, v5, 0xbd5c1c4e
	v_fmaak_f32 v5, v1, v5, 0x3e088382
	;; [unrolled: 1-line block ×3, first 2 shown]
	v_mul_f32_e64 v5, |v78|, v5
	v_fma_f32 v1, v1, v5, |v78|
; %bb.73:                               ;   in Loop: Header=BB75_49 Depth=1
	s_or_b64 exec, exec, s[6:7]
	v_bfi_b32 v0, s21, v0, v75
	v_bfi_b32 v1, s21, v1, v78
	v_fma_f32 v95, s10, v0, v87
	v_fma_f32 v75, s10, v1, v86
	v_add_f32_e32 v0, 0x40051340, v95
	v_add_f32_e32 v1, 0x40051340, v75
	v_max3_f32 v0, v28, v0, v1
	ds_bpermute_b32 v1, v2, v0
	v_cmp_nlt_f32_e64 s[6:7], |v74|, s8
	s_waitcnt lgkmcnt(0)
	v_max_f32_e32 v1, v1, v1
	v_max_f32_e32 v0, v0, v1
	ds_bpermute_b32 v1, v3, v0
	s_waitcnt lgkmcnt(0)
	v_max_f32_e32 v1, v1, v1
	v_max_f32_e32 v0, v0, v1
	ds_bpermute_b32 v1, v91, v0
	;; [unrolled: 4-line block ×4, first 2 shown]
                                        ; implicit-def: $vgpr0
	s_and_saveexec_b64 s[26:27], s[6:7]
	s_xor_b64 s[6:7], exec, s[26:27]
	s_cbranch_execz .LBB75_75
; %bb.74:                               ;   in Loop: Header=BB75_49 Depth=1
	v_add_f32_e64 v0, |v74|, |v74|
	v_mul_f32_e32 v1, 0x3fb8aa3b, v0
	v_rndne_f32_e32 v5, v1
	v_sub_f32_e32 v99, v1, v5
	v_fma_f32 v1, v0, s9, -v1
	v_fmac_f32_e32 v1, 0x32a5705f, v0
	v_add_f32_e32 v1, v99, v1
	v_cvt_i32_f32_e32 v5, v5
	v_exp_f32_e32 v1, v1
	v_cmp_ngt_f32_e32 vcc, s15, v0
	v_ldexp_f32 v1, v1, v5
	s_nop 0
	v_cndmask_b32_e32 v1, 0, v1, vcc
	v_cmp_nlt_f32_e32 vcc, s20, v0
	s_nop 1
	v_cndmask_b32_e32 v0, v62, v1, vcc
	v_add_f32_e32 v0, 1.0, v0
	v_rcp_f32_e32 v0, v0
	s_nop 0
	v_fma_f32 v0, v0, -2.0, 1.0
.LBB75_75:                              ;   in Loop: Header=BB75_49 Depth=1
	s_andn2_saveexec_b64 s[6:7], s[6:7]
; %bb.76:                               ;   in Loop: Header=BB75_49 Depth=1
	v_mul_f32_e32 v0, v74, v74
	v_fmamk_f32 v1, v0, 0xbbbac73d, v60
	v_fmaak_f32 v1, v0, v1, 0xbd5c1c4e
	v_fmaak_f32 v1, v0, v1, 0x3e088382
	;; [unrolled: 1-line block ×3, first 2 shown]
	v_mul_f32_e64 v1, |v74|, v1
	v_fma_f32 v0, v0, v1, |v74|
; %bb.77:                               ;   in Loop: Header=BB75_49 Depth=1
	s_or_b64 exec, exec, s[6:7]
	v_cmp_nlt_f32_e64 s[6:7], |v76|, s8
                                        ; implicit-def: $vgpr1
	s_and_saveexec_b64 s[26:27], s[6:7]
	s_xor_b64 s[6:7], exec, s[26:27]
	s_cbranch_execz .LBB75_79
; %bb.78:                               ;   in Loop: Header=BB75_49 Depth=1
	v_add_f32_e64 v1, |v76|, |v76|
	v_mul_f32_e32 v5, 0x3fb8aa3b, v1
	v_rndne_f32_e32 v99, v5
	v_sub_f32_e32 v100, v5, v99
	v_fma_f32 v5, v1, s9, -v5
	v_fmac_f32_e32 v5, 0x32a5705f, v1
	v_add_f32_e32 v5, v100, v5
	v_cvt_i32_f32_e32 v99, v99
	v_exp_f32_e32 v5, v5
	v_cmp_ngt_f32_e32 vcc, s15, v1
	v_ldexp_f32 v5, v5, v99
	s_nop 0
	v_cndmask_b32_e32 v5, 0, v5, vcc
	v_cmp_nlt_f32_e32 vcc, s20, v1
	s_nop 1
	v_cndmask_b32_e32 v1, v62, v5, vcc
	v_add_f32_e32 v1, 1.0, v1
	v_rcp_f32_e32 v1, v1
	s_nop 0
	v_fma_f32 v1, v1, -2.0, 1.0
.LBB75_79:                              ;   in Loop: Header=BB75_49 Depth=1
	s_andn2_saveexec_b64 s[6:7], s[6:7]
; %bb.80:                               ;   in Loop: Header=BB75_49 Depth=1
	v_mul_f32_e32 v1, v76, v76
	v_fmamk_f32 v5, v1, 0xbbbac73d, v60
	v_fmaak_f32 v5, v1, v5, 0xbd5c1c4e
	v_fmaak_f32 v5, v1, v5, 0x3e088382
	;; [unrolled: 1-line block ×3, first 2 shown]
	v_mul_f32_e64 v5, |v76|, v5
	v_fma_f32 v1, v1, v5, |v76|
; %bb.81:                               ;   in Loop: Header=BB75_49 Depth=1
	s_or_b64 exec, exec, s[6:7]
	v_bfi_b32 v0, s21, v0, v74
	v_bfi_b32 v1, s21, v1, v76
	v_fmac_f32_e32 v87, s10, v0
	v_fmac_f32_e32 v86, s10, v1
	v_add_f32_e32 v0, 0x40051340, v87
	v_add_f32_e32 v1, 0x40051340, v86
	v_max3_f32 v0, v29, v0, v1
	ds_bpermute_b32 v1, v2, v0
	v_cmp_nlt_f32_e64 s[6:7], |v72|, s8
                                        ; implicit-def: $vgpr74
	s_waitcnt lgkmcnt(0)
	v_max_f32_e32 v1, v1, v1
	v_max_f32_e32 v0, v0, v1
	ds_bpermute_b32 v1, v3, v0
	s_waitcnt lgkmcnt(0)
	v_max_f32_e32 v1, v1, v1
	v_max_f32_e32 v0, v0, v1
	ds_bpermute_b32 v1, v91, v0
	;; [unrolled: 4-line block ×4, first 2 shown]
	s_and_saveexec_b64 s[26:27], s[6:7]
	s_xor_b64 s[6:7], exec, s[26:27]
	s_cbranch_execz .LBB75_83
; %bb.82:                               ;   in Loop: Header=BB75_49 Depth=1
	v_add_f32_e64 v0, |v72|, |v72|
	v_mul_f32_e32 v1, 0x3fb8aa3b, v0
	v_rndne_f32_e32 v5, v1
	v_sub_f32_e32 v74, v1, v5
	v_fma_f32 v1, v0, s9, -v1
	v_fmac_f32_e32 v1, 0x32a5705f, v0
	v_add_f32_e32 v1, v74, v1
	v_cvt_i32_f32_e32 v5, v5
	v_exp_f32_e32 v1, v1
	v_cmp_ngt_f32_e32 vcc, s15, v0
	v_ldexp_f32 v1, v1, v5
	s_nop 0
	v_cndmask_b32_e32 v1, 0, v1, vcc
	v_cmp_nlt_f32_e32 vcc, s20, v0
	s_nop 1
	v_cndmask_b32_e32 v0, v62, v1, vcc
	v_add_f32_e32 v0, 1.0, v0
	v_rcp_f32_e32 v0, v0
	s_nop 0
	v_fma_f32 v74, v0, -2.0, 1.0
.LBB75_83:                              ;   in Loop: Header=BB75_49 Depth=1
	s_andn2_saveexec_b64 s[6:7], s[6:7]
; %bb.84:                               ;   in Loop: Header=BB75_49 Depth=1
	v_mul_f32_e32 v0, v72, v72
	v_fmamk_f32 v1, v0, 0xbbbac73d, v60
	v_fmaak_f32 v1, v0, v1, 0xbd5c1c4e
	v_fmaak_f32 v1, v0, v1, 0x3e088382
	;; [unrolled: 1-line block ×3, first 2 shown]
	v_mul_f32_e64 v1, |v72|, v1
	v_fma_f32 v74, v0, v1, |v72|
; %bb.85:                               ;   in Loop: Header=BB75_49 Depth=1
	s_or_b64 exec, exec, s[6:7]
	v_add_u32_e32 v0, v4, v56
	v_ashrrev_i32_e32 v1, 31, v0
	v_lshl_add_u64 v[0:1], v[0:1], 1, s[34:35]
	global_load_ushort v4, v[0:1], off
	v_cmp_nlt_f32_e64 s[6:7], |v73|, s8
                                        ; implicit-def: $vgpr99
	s_and_saveexec_b64 s[26:27], s[6:7]
	s_xor_b64 s[6:7], exec, s[26:27]
	s_cbranch_execz .LBB75_87
; %bb.86:                               ;   in Loop: Header=BB75_49 Depth=1
	v_add_f32_e64 v5, |v73|, |v73|
	v_mul_f32_e32 v76, 0x3fb8aa3b, v5
	v_rndne_f32_e32 v99, v76
	v_sub_f32_e32 v100, v76, v99
	v_fma_f32 v76, v5, s9, -v76
	v_fmac_f32_e32 v76, 0x32a5705f, v5
	v_add_f32_e32 v76, v100, v76
	v_cvt_i32_f32_e32 v99, v99
	v_exp_f32_e32 v76, v76
	v_cmp_ngt_f32_e32 vcc, s15, v5
	v_ldexp_f32 v76, v76, v99
	s_nop 0
	v_cndmask_b32_e32 v76, 0, v76, vcc
	v_cmp_nlt_f32_e32 vcc, s20, v5
	s_nop 1
	v_cndmask_b32_e32 v5, v62, v76, vcc
	v_add_f32_e32 v5, 1.0, v5
	v_rcp_f32_e32 v5, v5
	s_nop 0
	v_fma_f32 v99, v5, -2.0, 1.0
.LBB75_87:                              ;   in Loop: Header=BB75_49 Depth=1
	s_andn2_saveexec_b64 s[6:7], s[6:7]
; %bb.88:                               ;   in Loop: Header=BB75_49 Depth=1
	v_mul_f32_e32 v5, v73, v73
	v_fmamk_f32 v76, v5, 0xbbbac73d, v60
	v_fmaak_f32 v76, v5, v76, 0xbd5c1c4e
	v_fmaak_f32 v76, v5, v76, 0x3e088382
	;; [unrolled: 1-line block ×3, first 2 shown]
	v_mul_f32_e64 v76, |v73|, v76
	v_fma_f32 v99, v5, v76, |v73|
; %bb.89:                               ;   in Loop: Header=BB75_49 Depth=1
	s_or_b64 exec, exec, s[6:7]
	global_load_ushort v5, v[0:1], off offset:64
	v_bfi_b32 v0, s21, v74, v72
	v_bfi_b32 v1, s21, v99, v73
	s_waitcnt vmcnt(1)
	v_fma_mix_f32 v76, s10, v0, v4 op_sel_hi:[0,0,1]
	v_add_f32_e32 v0, 0x40051340, v76
	v_cmp_nlt_f32_e64 s[6:7], |v26|, s8
                                        ; implicit-def: $vgpr99
	s_waitcnt vmcnt(0)
	v_fma_mix_f32 v74, s10, v1, v5 op_sel_hi:[0,0,1]
	v_add_f32_e32 v1, 0x40051340, v74
	v_max3_f32 v0, v71, v0, v1
	ds_bpermute_b32 v1, v2, v0
	s_waitcnt lgkmcnt(0)
	v_max_f32_e32 v1, v1, v1
	v_max_f32_e32 v0, v0, v1
	ds_bpermute_b32 v1, v3, v0
	s_waitcnt lgkmcnt(0)
	v_max_f32_e32 v1, v1, v1
	v_max_f32_e32 v0, v0, v1
	;; [unrolled: 4-line block ×4, first 2 shown]
	ds_bpermute_b32 v1, v93, v0
	s_and_saveexec_b64 s[26:27], s[6:7]
	s_xor_b64 s[6:7], exec, s[26:27]
	s_cbranch_execz .LBB75_91
; %bb.90:                               ;   in Loop: Header=BB75_49 Depth=1
	v_add_f32_e64 v72, |v26|, |v26|
	v_mul_f32_e32 v73, 0x3fb8aa3b, v72
	v_rndne_f32_e32 v99, v73
	v_sub_f32_e32 v100, v73, v99
	v_fma_f32 v73, v72, s9, -v73
	v_fmac_f32_e32 v73, 0x32a5705f, v72
	v_add_f32_e32 v73, v100, v73
	v_cvt_i32_f32_e32 v99, v99
	v_exp_f32_e32 v73, v73
	v_cmp_ngt_f32_e32 vcc, s15, v72
	v_ldexp_f32 v73, v73, v99
	s_nop 0
	v_cndmask_b32_e32 v73, 0, v73, vcc
	v_cmp_nlt_f32_e32 vcc, s20, v72
	s_nop 1
	v_cndmask_b32_e32 v72, v62, v73, vcc
	v_add_f32_e32 v72, 1.0, v72
	v_rcp_f32_e32 v72, v72
	s_nop 0
	v_fma_f32 v99, v72, -2.0, 1.0
.LBB75_91:                              ;   in Loop: Header=BB75_49 Depth=1
	s_andn2_saveexec_b64 s[6:7], s[6:7]
; %bb.92:                               ;   in Loop: Header=BB75_49 Depth=1
	v_mul_f32_e32 v72, v26, v26
	v_fmamk_f32 v73, v72, 0xbbbac73d, v60
	v_fmaak_f32 v73, v72, v73, 0xbd5c1c4e
	v_fmaak_f32 v73, v72, v73, 0x3e088382
	;; [unrolled: 1-line block ×3, first 2 shown]
	v_mul_f32_e64 v73, |v26|, v73
	v_fma_f32 v99, v72, v73, |v26|
; %bb.93:                               ;   in Loop: Header=BB75_49 Depth=1
	s_or_b64 exec, exec, s[6:7]
	v_cmp_nlt_f32_e64 s[6:7], |v27|, s8
                                        ; implicit-def: $vgpr100
	s_and_saveexec_b64 s[26:27], s[6:7]
	s_xor_b64 s[6:7], exec, s[26:27]
	s_cbranch_execz .LBB75_95
; %bb.94:                               ;   in Loop: Header=BB75_49 Depth=1
	v_add_f32_e64 v72, |v27|, |v27|
	v_mul_f32_e32 v73, 0x3fb8aa3b, v72
	v_rndne_f32_e32 v100, v73
	v_sub_f32_e32 v101, v73, v100
	v_fma_f32 v73, v72, s9, -v73
	v_fmac_f32_e32 v73, 0x32a5705f, v72
	v_add_f32_e32 v73, v101, v73
	v_cvt_i32_f32_e32 v100, v100
	v_exp_f32_e32 v73, v73
	v_cmp_ngt_f32_e32 vcc, s15, v72
	v_ldexp_f32 v73, v73, v100
	s_nop 0
	v_cndmask_b32_e32 v73, 0, v73, vcc
	v_cmp_nlt_f32_e32 vcc, s20, v72
	s_nop 1
	v_cndmask_b32_e32 v72, v62, v73, vcc
	v_add_f32_e32 v72, 1.0, v72
	v_rcp_f32_e32 v72, v72
	s_nop 0
	v_fma_f32 v100, v72, -2.0, 1.0
.LBB75_95:                              ;   in Loop: Header=BB75_49 Depth=1
	s_andn2_saveexec_b64 s[6:7], s[6:7]
; %bb.96:                               ;   in Loop: Header=BB75_49 Depth=1
	v_mul_f32_e32 v72, v27, v27
	v_fmamk_f32 v73, v72, 0xbbbac73d, v60
	v_fmaak_f32 v73, v72, v73, 0xbd5c1c4e
	v_fmaak_f32 v73, v72, v73, 0x3e088382
	;; [unrolled: 1-line block ×3, first 2 shown]
	v_mul_f32_e64 v73, |v27|, v73
	v_fma_f32 v100, v72, v73, |v27|
; %bb.97:                               ;   in Loop: Header=BB75_49 Depth=1
	s_or_b64 exec, exec, s[6:7]
	v_cvt_f32_f16_e32 v73, v4
	v_cvt_f32_f16_e32 v72, v5
	v_bfi_b32 v4, s21, v99, v26
	v_bfi_b32 v5, s21, v100, v27
	v_fma_f32 v100, s10, v4, v73
	v_fma_f32 v99, s10, v5, v72
	v_add_f32_e32 v4, 0x40051340, v100
	v_add_f32_e32 v5, 0x40051340, v99
	v_max3_f32 v4, v70, v4, v5
	ds_bpermute_b32 v5, v2, v4
	v_cmp_nlt_f32_e64 s[6:7], |v24|, s8
                                        ; implicit-def: $vgpr26
	s_waitcnt lgkmcnt(0)
	v_max_f32_e32 v5, v5, v5
	v_max_f32_e32 v4, v4, v5
	ds_bpermute_b32 v5, v3, v4
	s_waitcnt lgkmcnt(0)
	v_max_f32_e32 v5, v5, v5
	v_max_f32_e32 v4, v4, v5
	ds_bpermute_b32 v5, v91, v4
	;; [unrolled: 4-line block ×4, first 2 shown]
	s_and_saveexec_b64 s[26:27], s[6:7]
	s_xor_b64 s[6:7], exec, s[26:27]
	s_cbranch_execz .LBB75_99
; %bb.98:                               ;   in Loop: Header=BB75_49 Depth=1
	v_add_f32_e64 v26, |v24|, |v24|
	v_mul_f32_e32 v27, 0x3fb8aa3b, v26
	v_rndne_f32_e32 v101, v27
	v_sub_f32_e32 v102, v27, v101
	v_fma_f32 v27, v26, s9, -v27
	v_fmac_f32_e32 v27, 0x32a5705f, v26
	v_add_f32_e32 v27, v102, v27
	v_cvt_i32_f32_e32 v101, v101
	v_exp_f32_e32 v27, v27
	v_cmp_ngt_f32_e32 vcc, s15, v26
	v_ldexp_f32 v27, v27, v101
	s_nop 0
	v_cndmask_b32_e32 v27, 0, v27, vcc
	v_cmp_nlt_f32_e32 vcc, s20, v26
	s_nop 1
	v_cndmask_b32_e32 v26, v62, v27, vcc
	v_add_f32_e32 v26, 1.0, v26
	v_rcp_f32_e32 v26, v26
	s_nop 0
	v_fma_f32 v26, v26, -2.0, 1.0
.LBB75_99:                              ;   in Loop: Header=BB75_49 Depth=1
	s_andn2_saveexec_b64 s[6:7], s[6:7]
; %bb.100:                              ;   in Loop: Header=BB75_49 Depth=1
	v_mul_f32_e32 v26, v24, v24
	v_fmamk_f32 v27, v26, 0xbbbac73d, v60
	v_fmaak_f32 v27, v26, v27, 0xbd5c1c4e
	v_fmaak_f32 v27, v26, v27, 0x3e088382
	v_fmaak_f32 v27, v26, v27, 0xbeaaaa99
	v_mul_f32_e64 v27, |v24|, v27
	v_fma_f32 v26, v26, v27, |v24|
; %bb.101:                              ;   in Loop: Header=BB75_49 Depth=1
	s_or_b64 exec, exec, s[6:7]
	v_cmp_nlt_f32_e64 s[6:7], |v25|, s8
                                        ; implicit-def: $vgpr27
	s_and_saveexec_b64 s[26:27], s[6:7]
	s_xor_b64 s[6:7], exec, s[26:27]
	s_cbranch_execz .LBB75_103
; %bb.102:                              ;   in Loop: Header=BB75_49 Depth=1
	v_add_f32_e64 v27, |v25|, |v25|
	v_mul_f32_e32 v101, 0x3fb8aa3b, v27
	v_rndne_f32_e32 v102, v101
	v_sub_f32_e32 v105, v101, v102
	v_fma_f32 v101, v27, s9, -v101
	v_fmac_f32_e32 v101, 0x32a5705f, v27
	v_add_f32_e32 v101, v105, v101
	v_cvt_i32_f32_e32 v102, v102
	v_exp_f32_e32 v101, v101
	v_cmp_ngt_f32_e32 vcc, s15, v27
	v_ldexp_f32 v101, v101, v102
	s_nop 0
	v_cndmask_b32_e32 v101, 0, v101, vcc
	v_cmp_nlt_f32_e32 vcc, s20, v27
	s_nop 1
	v_cndmask_b32_e32 v27, v62, v101, vcc
	v_add_f32_e32 v27, 1.0, v27
	v_rcp_f32_e32 v27, v27
	s_nop 0
	v_fma_f32 v27, v27, -2.0, 1.0
.LBB75_103:                             ;   in Loop: Header=BB75_49 Depth=1
	s_andn2_saveexec_b64 s[6:7], s[6:7]
; %bb.104:                              ;   in Loop: Header=BB75_49 Depth=1
	v_mul_f32_e32 v27, v25, v25
	v_fmamk_f32 v101, v27, 0xbbbac73d, v60
	v_fmaak_f32 v101, v27, v101, 0xbd5c1c4e
	v_fmaak_f32 v101, v27, v101, 0x3e088382
	;; [unrolled: 1-line block ×3, first 2 shown]
	v_mul_f32_e64 v101, |v25|, v101
	v_fma_f32 v27, v27, v101, |v25|
; %bb.105:                              ;   in Loop: Header=BB75_49 Depth=1
	s_or_b64 exec, exec, s[6:7]
	v_bfi_b32 v24, s21, v26, v24
	v_bfi_b32 v25, s21, v27, v25
	v_fma_f32 v102, s10, v24, v73
	v_fma_f32 v101, s10, v25, v72
	v_add_f32_e32 v24, 0x40051340, v102
	v_add_f32_e32 v25, 0x40051340, v101
	v_max3_f32 v24, v69, v24, v25
	ds_bpermute_b32 v25, v2, v24
	v_cmp_nlt_f32_e64 s[6:7], |v6|, s8
                                        ; implicit-def: $vgpr26
	s_waitcnt lgkmcnt(0)
	v_max_f32_e32 v25, v25, v25
	v_max_f32_e32 v24, v24, v25
	ds_bpermute_b32 v25, v3, v24
	s_waitcnt lgkmcnt(0)
	v_max_f32_e32 v25, v25, v25
	v_max_f32_e32 v24, v24, v25
	ds_bpermute_b32 v25, v91, v24
	;; [unrolled: 4-line block ×4, first 2 shown]
	s_and_saveexec_b64 s[26:27], s[6:7]
	s_xor_b64 s[6:7], exec, s[26:27]
	s_cbranch_execz .LBB75_107
; %bb.106:                              ;   in Loop: Header=BB75_49 Depth=1
	v_add_f32_e64 v26, |v6|, |v6|
	v_mul_f32_e32 v27, 0x3fb8aa3b, v26
	v_rndne_f32_e32 v105, v27
	v_sub_f32_e32 v106, v27, v105
	v_fma_f32 v27, v26, s9, -v27
	v_fmac_f32_e32 v27, 0x32a5705f, v26
	v_add_f32_e32 v27, v106, v27
	v_cvt_i32_f32_e32 v105, v105
	v_exp_f32_e32 v27, v27
	v_cmp_ngt_f32_e32 vcc, s15, v26
	v_ldexp_f32 v27, v27, v105
	s_nop 0
	v_cndmask_b32_e32 v27, 0, v27, vcc
	v_cmp_nlt_f32_e32 vcc, s20, v26
	s_nop 1
	v_cndmask_b32_e32 v26, v62, v27, vcc
	v_add_f32_e32 v26, 1.0, v26
	v_rcp_f32_e32 v26, v26
	s_nop 0
	v_fma_f32 v26, v26, -2.0, 1.0
.LBB75_107:                             ;   in Loop: Header=BB75_49 Depth=1
	s_andn2_saveexec_b64 s[6:7], s[6:7]
; %bb.108:                              ;   in Loop: Header=BB75_49 Depth=1
	v_mul_f32_e32 v26, v6, v6
	v_fmamk_f32 v27, v26, 0xbbbac73d, v60
	v_fmaak_f32 v27, v26, v27, 0xbd5c1c4e
	v_fmaak_f32 v27, v26, v27, 0x3e088382
	;; [unrolled: 1-line block ×3, first 2 shown]
	v_mul_f32_e64 v27, |v6|, v27
	v_fma_f32 v26, v26, v27, |v6|
; %bb.109:                              ;   in Loop: Header=BB75_49 Depth=1
	s_or_b64 exec, exec, s[6:7]
	v_cmp_nlt_f32_e64 s[6:7], |v7|, s8
                                        ; implicit-def: $vgpr27
	s_and_saveexec_b64 s[26:27], s[6:7]
	s_xor_b64 s[6:7], exec, s[26:27]
	s_cbranch_execz .LBB75_111
; %bb.110:                              ;   in Loop: Header=BB75_49 Depth=1
	v_add_f32_e64 v27, |v7|, |v7|
	v_mul_f32_e32 v105, 0x3fb8aa3b, v27
	v_rndne_f32_e32 v106, v105
	v_sub_f32_e32 v107, v105, v106
	v_fma_f32 v105, v27, s9, -v105
	v_fmac_f32_e32 v105, 0x32a5705f, v27
	v_add_f32_e32 v105, v107, v105
	v_cvt_i32_f32_e32 v106, v106
	v_exp_f32_e32 v105, v105
	v_cmp_ngt_f32_e32 vcc, s15, v27
	v_ldexp_f32 v105, v105, v106
	s_nop 0
	v_cndmask_b32_e32 v105, 0, v105, vcc
	v_cmp_nlt_f32_e32 vcc, s20, v27
	s_nop 1
	v_cndmask_b32_e32 v27, v62, v105, vcc
	v_add_f32_e32 v27, 1.0, v27
	v_rcp_f32_e32 v27, v27
	s_nop 0
	v_fma_f32 v27, v27, -2.0, 1.0
.LBB75_111:                             ;   in Loop: Header=BB75_49 Depth=1
	s_andn2_saveexec_b64 s[6:7], s[6:7]
; %bb.112:                              ;   in Loop: Header=BB75_49 Depth=1
	v_mul_f32_e32 v27, v7, v7
	v_fmamk_f32 v105, v27, 0xbbbac73d, v60
	v_fmaak_f32 v105, v27, v105, 0xbd5c1c4e
	v_fmaak_f32 v105, v27, v105, 0x3e088382
	;; [unrolled: 1-line block ×3, first 2 shown]
	v_mul_f32_e64 v105, |v7|, v105
	v_fma_f32 v27, v27, v105, |v7|
; %bb.113:                              ;   in Loop: Header=BB75_49 Depth=1
	s_or_b64 exec, exec, s[6:7]
	v_bfi_b32 v6, s21, v26, v6
	v_bfi_b32 v7, s21, v27, v7
	v_fmac_f32_e32 v73, s10, v6
	v_fmac_f32_e32 v72, s10, v7
	v_add_f32_e32 v6, 0x40051340, v73
	v_add_f32_e32 v7, 0x40051340, v72
	v_max3_f32 v7, v68, v6, v7
	ds_bpermute_b32 v2, v2, v7
	v_max_f32_e32 v5, v5, v5
	v_max_f32_e32 v4, v4, v4
	v_max_f32_e32 v1, v1, v1
	v_max_f32_e32 v0, v0, v0
	s_waitcnt lgkmcnt(0)
	v_max_f32_e32 v2, v2, v2
	v_max_f32_e32 v2, v7, v2
	ds_bpermute_b32 v3, v3, v2
	v_max_f32_e32 v5, v4, v5
	v_max_f32_e32 v4, v0, v1
	v_max_f32_e32 v25, v25, v25
	v_max_f32_e32 v6, v24, v24
	s_waitcnt lgkmcnt(0)
	v_max_f32_e32 v0, v3, v3
	v_max_f32_e32 v0, v2, v0
	;; [unrolled: 8-line block ×4, first 2 shown]
	ds_bpermute_b32 v26, v93, v25
	v_max_f32_e32 v24, v96, v96
	v_max_f32_e32 v1, v24, v7
	;; [unrolled: 1-line block ×5, first 2 shown]
	s_waitcnt lgkmcnt(0)
	v_max_f32_e32 v7, v26, v26
	v_sub_f32_e32 v24, v89, v0
	v_max_f32_e32 v7, v25, v7
	v_mul_f32_e32 v25, 0x3fb8aa3b, v24
	v_fma_f32 v26, v24, s9, -v25
	v_rndne_f32_e32 v27, v25
	v_fmac_f32_e32 v26, 0x32a5705f, v24
	v_sub_f32_e32 v25, v25, v27
	v_add_f32_e32 v25, v25, v26
	v_exp_f32_e32 v25, v25
	v_cvt_i32_f32_e32 v26, v27
	v_sub_f32_e32 v27, v22, v0
	v_cmp_ngt_f32_e32 vcc, s15, v24
	v_sub_f32_e32 v69, v69, v6
	v_ldexp_f32 v22, v25, v26
	v_sub_f32_e32 v25, v88, v0
	v_mul_f32_e32 v26, 0x3fb8aa3b, v25
	v_fma_f32 v78, v25, s9, -v26
	v_rndne_f32_e32 v88, v26
	v_fmac_f32_e32 v78, 0x32a5705f, v25
	v_sub_f32_e32 v26, v26, v88
	v_add_f32_e32 v26, v26, v78
	v_cvt_i32_f32_e32 v78, v88
	v_mul_f32_e32 v88, 0x3fb8aa3b, v27
	v_fma_f32 v89, v27, s9, -v88
	v_rndne_f32_e32 v90, v88
	v_fmac_f32_e32 v89, 0x32a5705f, v27
	v_sub_f32_e32 v88, v88, v90
	v_add_f32_e32 v88, v88, v89
	v_exp_f32_e32 v26, v26
	v_exp_f32_e32 v88, v88
	v_cvt_i32_f32_e32 v89, v90
	v_cndmask_b32_e32 v22, 0, v22, vcc
	v_cmp_nlt_f32_e32 vcc, s20, v24
	v_ldexp_f32 v24, v26, v78
	v_ldexp_f32 v26, v88, v89
	v_cndmask_b32_e32 v22, v62, v22, vcc
	v_cmp_ngt_f32_e32 vcc, s15, v27
	s_mul_hi_i32 s7, s2, s11
	s_mul_i32 s6, s2, s11
	v_cndmask_b32_e32 v26, 0, v26, vcc
	v_cmp_nlt_f32_e32 vcc, s20, v27
	s_barrier
	s_nop 0
	v_cndmask_b32_e32 v26, v62, v26, vcc
	v_cvt_f16_f32_e32 v27, v26
	v_cmp_ngt_f32_e32 vcc, s15, v25
	s_nop 1
	v_cndmask_b32_e32 v24, 0, v24, vcc
	v_cmp_nlt_f32_e32 vcc, s20, v25
	v_mul_u32_u24_e32 v25, 0x10001, v27
	v_sub_f32_e32 v27, v79, v1
	v_mul_f32_e32 v78, 0x3fb8aa3b, v27
	v_fma_f32 v79, v27, s9, -v78
	v_rndne_f32_e32 v88, v78
	v_fmac_f32_e32 v79, 0x32a5705f, v27
	v_sub_f32_e32 v78, v78, v88
	v_add_f32_e32 v78, v78, v79
	v_exp_f32_e32 v89, v78
	v_cvt_i32_f32_e32 v88, v88
	v_pk_mul_f16 v79, v38, v25
	v_sub_f32_e32 v38, v77, v1
	v_pk_mul_f16 v78, v39, v25
	v_mul_f32_e32 v39, 0x3fb8aa3b, v38
	v_sub_f32_e32 v25, v23, v1
	v_ldexp_f32 v23, v89, v88
	v_fma_f32 v77, v38, s9, -v39
	v_rndne_f32_e32 v88, v39
	v_fmac_f32_e32 v77, 0x32a5705f, v38
	v_sub_f32_e32 v39, v39, v88
	v_add_f32_e32 v39, v39, v77
	v_cvt_i32_f32_e32 v77, v88
	v_mul_f32_e32 v88, 0x3fb8aa3b, v25
	v_fma_f32 v89, v25, s9, -v88
	v_rndne_f32_e32 v90, v88
	v_fmac_f32_e32 v89, 0x32a5705f, v25
	v_sub_f32_e32 v88, v88, v90
	v_add_f32_e32 v88, v88, v89
	v_exp_f32_e32 v88, v88
	v_cvt_i32_f32_e32 v89, v90
	v_cndmask_b32_e32 v24, v62, v24, vcc
	v_cmp_ngt_f32_e32 vcc, s15, v27
	v_exp_f32_e32 v39, v39
	s_nop 0
	v_cndmask_b32_e32 v23, 0, v23, vcc
	v_cmp_nlt_f32_e32 vcc, s20, v27
	v_ldexp_f32 v27, v88, v89
	v_ldexp_f32 v39, v39, v77
	v_cndmask_b32_e32 v23, v62, v23, vcc
	v_cmp_ngt_f32_e32 vcc, s15, v25
	s_nop 1
	v_cndmask_b32_e32 v27, 0, v27, vcc
	v_cmp_nlt_f32_e32 vcc, s20, v25
	s_nop 1
	v_cndmask_b32_e32 v27, v62, v27, vcc
	v_cvt_f16_f32_e32 v77, v27
	v_cmp_ngt_f32_e32 vcc, s15, v38
	s_nop 1
	v_cndmask_b32_e32 v25, 0, v39, vcc
	v_sub_f32_e32 v39, v95, v2
	v_cmp_nlt_f32_e32 vcc, s20, v38
	v_mul_u32_u24_e32 v38, 0x10001, v77
	v_mul_f32_e32 v77, 0x3fb8aa3b, v39
	v_fma_f32 v88, v39, s9, -v77
	v_rndne_f32_e32 v89, v77
	v_fmac_f32_e32 v88, 0x32a5705f, v39
	v_sub_f32_e32 v77, v77, v89
	v_add_f32_e32 v77, v77, v88
	v_exp_f32_e32 v77, v77
	v_cvt_i32_f32_e32 v88, v89
	v_pk_mul_f16 v90, v30, v38
	v_pk_mul_f16 v91, v32, v38
	v_sub_f32_e32 v38, v75, v2
	v_mul_f32_e32 v32, 0x3fb8aa3b, v38
	v_sub_f32_e32 v30, v28, v2
	v_ldexp_f32 v28, v77, v88
	v_fma_f32 v75, v38, s9, -v32
	v_rndne_f32_e32 v77, v32
	v_fmac_f32_e32 v75, 0x32a5705f, v38
	v_sub_f32_e32 v32, v32, v77
	v_add_f32_e32 v32, v32, v75
	v_cvt_i32_f32_e32 v75, v77
	v_mul_f32_e32 v77, 0x3fb8aa3b, v30
	v_fma_f32 v88, v30, s9, -v77
	v_rndne_f32_e32 v89, v77
	v_fmac_f32_e32 v88, 0x32a5705f, v30
	v_sub_f32_e32 v77, v77, v89
	v_add_f32_e32 v77, v77, v88
	v_exp_f32_e32 v32, v32
	v_exp_f32_e32 v77, v77
	v_cvt_i32_f32_e32 v88, v89
	v_cndmask_b32_e32 v25, v62, v25, vcc
	v_cmp_ngt_f32_e32 vcc, s15, v39
	s_nop 1
	v_cndmask_b32_e32 v28, 0, v28, vcc
	v_cmp_nlt_f32_e32 vcc, s20, v39
	v_ldexp_f32 v39, v32, v75
	v_ldexp_f32 v32, v77, v88
	v_cndmask_b32_e32 v28, v62, v28, vcc
	v_cmp_ngt_f32_e32 vcc, s15, v30
	s_nop 1
	v_cndmask_b32_e32 v32, 0, v32, vcc
	v_cmp_nlt_f32_e32 vcc, s20, v30
	s_nop 1
	v_cndmask_b32_e32 v32, v62, v32, vcc
	v_cvt_f16_f32_e32 v75, v32
	v_cmp_ngt_f32_e32 vcc, s15, v38
	s_nop 1
	v_cndmask_b32_e32 v30, 0, v39, vcc
	v_sub_f32_e32 v39, v87, v3
	v_cmp_nlt_f32_e32 vcc, s20, v38
	v_mul_u32_u24_e32 v38, 0x10001, v75
	v_mul_f32_e32 v75, 0x3fb8aa3b, v39
	v_fma_f32 v77, v39, s9, -v75
	v_rndne_f32_e32 v87, v75
	v_fmac_f32_e32 v77, 0x32a5705f, v39
	v_sub_f32_e32 v75, v75, v87
	v_add_f32_e32 v75, v75, v77
	v_exp_f32_e32 v75, v75
	v_cvt_i32_f32_e32 v77, v87
	v_pk_mul_f16 v92, v31, v38
	v_pk_mul_f16 v93, v33, v38
	v_sub_f32_e32 v38, v86, v3
	v_mul_f32_e32 v33, 0x3fb8aa3b, v38
	v_sub_f32_e32 v31, v29, v3
	v_ldexp_f32 v29, v75, v77
	v_fma_f32 v75, v38, s9, -v33
	v_rndne_f32_e32 v77, v33
	v_fmac_f32_e32 v75, 0x32a5705f, v38
	v_sub_f32_e32 v33, v33, v77
	v_add_f32_e32 v33, v33, v75
	v_cvt_i32_f32_e32 v75, v77
	v_mul_f32_e32 v77, 0x3fb8aa3b, v31
	v_fma_f32 v86, v31, s9, -v77
	v_rndne_f32_e32 v87, v77
	v_fmac_f32_e32 v86, 0x32a5705f, v31
	v_sub_f32_e32 v77, v77, v87
	v_add_f32_e32 v77, v77, v86
	v_exp_f32_e32 v33, v33
	v_exp_f32_e32 v77, v77
	v_cvt_i32_f32_e32 v86, v87
	v_cndmask_b32_e32 v30, v62, v30, vcc
	v_cmp_ngt_f32_e32 vcc, s15, v39
	s_nop 1
	v_cndmask_b32_e32 v29, 0, v29, vcc
	v_cmp_nlt_f32_e32 vcc, s20, v39
	v_ldexp_f32 v39, v33, v75
	v_ldexp_f32 v33, v77, v86
	v_cndmask_b32_e32 v29, v62, v29, vcc
	v_cmp_ngt_f32_e32 vcc, s15, v31
	v_sub_f32_e32 v86, v101, v6
	s_nop 0
	v_cndmask_b32_e32 v33, 0, v33, vcc
	v_cmp_nlt_f32_e32 vcc, s20, v31
	s_nop 1
	v_cndmask_b32_e32 v33, v62, v33, vcc
	v_cvt_f16_f32_e32 v75, v33
	v_cmp_ngt_f32_e32 vcc, s15, v38
	s_nop 1
	v_cndmask_b32_e32 v31, 0, v39, vcc
	v_sub_f32_e32 v39, v76, v4
	v_cmp_nlt_f32_e32 vcc, s20, v38
	v_mul_u32_u24_e32 v38, 0x10001, v75
	v_mul_f32_e32 v75, 0x3fb8aa3b, v39
	v_fma_f32 v76, v39, s9, -v75
	v_rndne_f32_e32 v77, v75
	v_fmac_f32_e32 v76, 0x32a5705f, v39
	v_sub_f32_e32 v75, v75, v77
	v_add_f32_e32 v75, v75, v76
	v_exp_f32_e32 v75, v75
	v_cvt_i32_f32_e32 v76, v77
	v_pk_mul_f16 v95, v36, v38
	v_sub_f32_e32 v36, v71, v4
	v_sub_f32_e32 v71, v74, v4
	v_pk_mul_f16 v94, v34, v38
	v_mul_f32_e32 v38, 0x3fb8aa3b, v71
	v_ldexp_f32 v34, v75, v76
	v_fma_f32 v74, v71, s9, -v38
	v_rndne_f32_e32 v75, v38
	v_fmac_f32_e32 v74, 0x32a5705f, v71
	v_sub_f32_e32 v38, v38, v75
	v_add_f32_e32 v38, v38, v74
	v_cvt_i32_f32_e32 v74, v75
	v_mul_f32_e32 v75, 0x3fb8aa3b, v36
	v_fma_f32 v76, v36, s9, -v75
	v_rndne_f32_e32 v77, v75
	v_fmac_f32_e32 v76, 0x32a5705f, v36
	v_sub_f32_e32 v75, v75, v77
	v_add_f32_e32 v75, v75, v76
	v_exp_f32_e32 v38, v38
	v_exp_f32_e32 v75, v75
	v_cvt_i32_f32_e32 v76, v77
	v_cndmask_b32_e32 v31, v62, v31, vcc
	v_cmp_ngt_f32_e32 vcc, s15, v39
	s_nop 1
	v_cndmask_b32_e32 v34, 0, v34, vcc
	v_cmp_nlt_f32_e32 vcc, s20, v39
	v_ldexp_f32 v39, v38, v74
	v_ldexp_f32 v38, v75, v76
	v_cndmask_b32_e32 v34, v62, v34, vcc
	v_cmp_ngt_f32_e32 vcc, s15, v36
	s_nop 1
	v_cndmask_b32_e32 v38, 0, v38, vcc
	v_cmp_nlt_f32_e32 vcc, s20, v36
	s_nop 1
	v_cndmask_b32_e32 v38, v62, v38, vcc
	v_cvt_f16_f32_e32 v74, v38
	v_cmp_ngt_f32_e32 vcc, s15, v71
	s_nop 1
	v_cndmask_b32_e32 v36, 0, v39, vcc
	v_cmp_nlt_f32_e32 vcc, s20, v71
	v_sub_f32_e32 v71, v100, v5
	v_mul_u32_u24_e32 v39, 0x10001, v74
	v_mul_f32_e32 v74, 0x3fb8aa3b, v71
	v_fma_f32 v75, v71, s9, -v74
	v_rndne_f32_e32 v76, v74
	v_fmac_f32_e32 v75, 0x32a5705f, v71
	v_sub_f32_e32 v74, v74, v76
	v_add_f32_e32 v74, v74, v75
	v_exp_f32_e32 v74, v74
	v_cvt_i32_f32_e32 v75, v76
	v_pk_mul_f16 v97, v37, v39
	v_sub_f32_e32 v37, v70, v5
	v_sub_f32_e32 v70, v99, v5
	v_pk_mul_f16 v96, v35, v39
	v_mul_f32_e32 v39, 0x3fb8aa3b, v70
	v_ldexp_f32 v35, v74, v75
	v_fma_f32 v74, v70, s9, -v39
	v_rndne_f32_e32 v75, v39
	v_fmac_f32_e32 v74, 0x32a5705f, v70
	v_sub_f32_e32 v39, v39, v75
	v_add_f32_e32 v39, v39, v74
	v_cvt_i32_f32_e32 v74, v75
	v_mul_f32_e32 v75, 0x3fb8aa3b, v37
	v_fma_f32 v76, v37, s9, -v75
	v_rndne_f32_e32 v77, v75
	v_fmac_f32_e32 v76, 0x32a5705f, v37
	v_sub_f32_e32 v75, v75, v77
	v_add_f32_e32 v75, v75, v76
	v_exp_f32_e32 v39, v39
	v_exp_f32_e32 v75, v75
	v_cvt_i32_f32_e32 v76, v77
	v_cndmask_b32_e32 v36, v62, v36, vcc
	v_cmp_ngt_f32_e32 vcc, s15, v71
	s_nop 1
	v_cndmask_b32_e32 v35, 0, v35, vcc
	v_cmp_nlt_f32_e32 vcc, s20, v71
	v_ldexp_f32 v71, v39, v74
	v_ldexp_f32 v39, v75, v76
	v_cndmask_b32_e32 v35, v62, v35, vcc
	v_cmp_ngt_f32_e32 vcc, s15, v37
	s_nop 1
	v_cndmask_b32_e32 v39, 0, v39, vcc
	v_cmp_nlt_f32_e32 vcc, s20, v37
	s_nop 1
	v_cndmask_b32_e32 v39, v62, v39, vcc
	v_cvt_f16_f32_e32 v74, v39
	v_cmp_ngt_f32_e32 vcc, s15, v70
	s_nop 1
	v_cndmask_b32_e32 v37, 0, v71, vcc
	v_sub_f32_e32 v71, v102, v6
	v_cmp_nlt_f32_e32 vcc, s20, v70
	v_mul_u32_u24_e32 v70, 0x10001, v74
	v_mul_f32_e32 v74, 0x3fb8aa3b, v71
	v_fma_f32 v75, v71, s9, -v74
	v_rndne_f32_e32 v76, v74
	v_fmac_f32_e32 v75, 0x32a5705f, v71
	v_sub_f32_e32 v74, v74, v76
	v_add_f32_e32 v74, v74, v75
	v_exp_f32_e32 v74, v74
	v_cvt_i32_f32_e32 v75, v76
	v_cndmask_b32_e32 v37, v62, v37, vcc
	v_pk_mul_f16 v98, v66, v70
	v_cmp_ngt_f32_e32 vcc, s15, v71
	v_ldexp_f32 v66, v74, v75
	v_pk_mul_f16 v99, v67, v70
	v_cndmask_b32_e32 v70, 0, v66, vcc
	v_mul_f32_e32 v66, 0x3fb8aa3b, v86
	v_fma_f32 v67, v86, s9, -v66
	v_rndne_f32_e32 v74, v66
	v_fmac_f32_e32 v67, 0x32a5705f, v86
	v_sub_f32_e32 v66, v66, v74
	v_add_f32_e32 v66, v66, v67
	v_exp_f32_e32 v87, v66
	v_mul_f32_e32 v66, 0x3fb8aa3b, v69
	v_cvt_i32_f32_e32 v88, v74
	v_fma_f32 v67, v69, s9, -v66
	v_rndne_f32_e32 v74, v66
	v_fmac_f32_e32 v67, 0x32a5705f, v69
	v_sub_f32_e32 v66, v66, v74
	v_add_f32_e32 v66, v66, v67
	v_exp_f32_e32 v89, v66
	v_lshl_add_u64 v[66:67], s[6:7], 2, v[18:19]
	v_cvt_i32_f32_e32 v100, v74
	global_load_dwordx4 v[74:77], v[66:67], off
	v_cmp_nlt_f32_e32 vcc, s20, v71
	v_ldexp_f32 v67, v87, v88
	s_or_b32 s6, s2, 16
	v_cndmask_b32_e32 v66, v62, v70, vcc
	v_ldexp_f32 v70, v89, v100
	v_cmp_ngt_f32_e32 vcc, s15, v69
	s_mul_hi_i32 s7, s6, s11
	s_mul_i32 s6, s6, s11
	v_cndmask_b32_e32 v70, 0, v70, vcc
	v_cmp_nlt_f32_e32 vcc, s20, v69
	s_nop 1
	v_cndmask_b32_e32 v70, v62, v70, vcc
	v_cvt_f16_f32_e32 v69, v70
	v_cmp_ngt_f32_e32 vcc, s15, v86
	s_nop 1
	v_cndmask_b32_e32 v67, 0, v67, vcc
	v_cmp_nlt_f32_e32 vcc, s20, v86
	s_nop 1
	v_cndmask_b32_e32 v86, v62, v67, vcc
	v_mul_u32_u24_e32 v67, 0x10001, v69
	v_sub_f32_e32 v69, v73, v7
	v_mul_f32_e32 v71, 0x3fb8aa3b, v69
	v_fma_f32 v73, v69, s9, -v71
	v_rndne_f32_e32 v87, v71
	v_fmac_f32_e32 v73, 0x32a5705f, v69
	v_sub_f32_e32 v71, v71, v87
	v_add_f32_e32 v71, v71, v73
	v_exp_f32_e32 v71, v71
	v_cvt_i32_f32_e32 v73, v87
	v_pk_mul_f16 v100, v64, v67
	v_sub_f32_e32 v64, v68, v7
	v_sub_f32_e32 v68, v72, v7
	v_pk_mul_f16 v101, v65, v67
	v_mul_f32_e32 v67, 0x3fb8aa3b, v68
	v_ldexp_f32 v65, v71, v73
	v_fma_f32 v71, v68, s9, -v67
	v_rndne_f32_e32 v72, v67
	v_fmac_f32_e32 v71, 0x32a5705f, v68
	v_sub_f32_e32 v67, v67, v72
	v_add_f32_e32 v67, v67, v71
	v_exp_f32_e32 v71, v67
	v_cvt_i32_f32_e32 v72, v72
	v_cmp_ngt_f32_e32 vcc, s15, v69
	s_nop 1
	v_cndmask_b32_e32 v65, 0, v65, vcc
	v_cmp_nlt_f32_e32 vcc, s20, v69
	v_mul_f32_e32 v69, 0x3fb8aa3b, v64
	s_nop 0
	v_cndmask_b32_e32 v67, v62, v65, vcc
	v_ldexp_f32 v65, v71, v72
	v_fma_f32 v71, v64, s9, -v69
	v_rndne_f32_e32 v72, v69
	v_fmac_f32_e32 v71, 0x32a5705f, v64
	v_sub_f32_e32 v69, v69, v72
	v_add_f32_e32 v69, v69, v71
	v_exp_f32_e32 v69, v69
	v_cvt_i32_f32_e32 v71, v72
	v_cmp_ngt_f32_e32 vcc, s15, v68
	v_pk_add_f32 v[72:73], v[34:35], v[36:37]
	s_nop 0
	v_cndmask_b32_e32 v65, 0, v65, vcc
	v_cmp_nlt_f32_e32 vcc, s20, v68
	v_pk_fma_f32 v[10:11], v[10:11], v[38:39], v[72:73]
	s_nop 0
	v_cndmask_b32_e32 v87, v62, v65, vcc
	v_ldexp_f32 v65, v69, v71
	v_cmp_ngt_f32_e32 vcc, s15, v64
	v_pk_add_f32 v[88:89], v[66:67], v[86:87]
	v_pk_add_f32 v[68:69], v[28:29], v[30:31]
	v_cndmask_b32_e32 v65, 0, v65, vcc
	v_cmp_nlt_f32_e32 vcc, s20, v64
	v_cvt_pk_f16_f32 v67, v66, v67
	v_cvt_pk_f16_f32 v66, v34, v35
	v_cndmask_b32_e32 v71, v62, v65, vcc
	v_pk_fma_f32 v[8:9], v[8:9], v[70:71], v[88:89]
	v_cvt_f16_f32_e32 v70, v71
	v_pk_add_f32 v[64:65], v[22:23], v[24:25]
	v_pk_fma_f32 v[12:13], v[12:13], v[32:33], v[68:69]
	v_pk_fma_f32 v[14:15], v[14:15], v[26:27], v[64:65]
	v_mul_u32_u24_e32 v26, 0x10001, v70
	v_pk_mul_f16 v38, v63, v26
	v_pk_mul_f16 v21, v21, v26
	v_cvt_pk_f16_f32 v65, v28, v29
	v_cvt_pk_f16_f32 v64, v22, v23
	;; [unrolled: 1-line block ×6, first 2 shown]
	ds_write_b128 v61, v[64:67]
	ds_write_b128 v61, v[26:29] offset:512
	s_waitcnt vmcnt(0)
	ds_write_b128 v58, v[74:77]
	s_waitcnt lgkmcnt(0)
	s_barrier
	ds_read_b128 v[22:25], v57
	ds_read2_b64 v[26:29], v59 offset1:32
	ds_read_b128 v[30:33], v57 offset:16
	ds_read_b128 v[34:37], v57 offset:32
	ds_read_b128 v[64:67], v57 offset:48
	s_waitcnt lgkmcnt(4)
	v_mul_u32_u24_sdwa v39, v22, s24 dst_sel:DWORD dst_unused:UNUSED_PAD src0_sel:WORD_0 src1_sel:DWORD
	v_mul_u32_u24_sdwa v22, v22, s24 dst_sel:DWORD dst_unused:UNUSED_PAD src0_sel:WORD_1 src1_sel:DWORD
	v_mul_u32_u24_sdwa v63, v23, s24 dst_sel:DWORD dst_unused:UNUSED_PAD src0_sel:WORD_0 src1_sel:DWORD
	v_mul_u32_u24_sdwa v23, v23, s24 dst_sel:DWORD dst_unused:UNUSED_PAD src0_sel:WORD_1 src1_sel:DWORD
	;; [unrolled: 2-line block ×4, first 2 shown]
	s_waitcnt lgkmcnt(3)
	v_pk_fma_f16 v70, v26, v39, v79
	v_pk_fma_f16 v71, v26, v22, v90
	;; [unrolled: 1-line block ×16, first 2 shown]
	s_waitcnt lgkmcnt(2)
	v_mul_u32_u24_sdwa v25, v30, s24 dst_sel:DWORD dst_unused:UNUSED_PAD src0_sel:WORD_0 src1_sel:DWORD
	v_mul_u32_u24_sdwa v27, v30, s24 dst_sel:DWORD dst_unused:UNUSED_PAD src0_sel:WORD_1 src1_sel:DWORD
	v_mul_u32_u24_sdwa v30, v31, s24 dst_sel:DWORD dst_unused:UNUSED_PAD src0_sel:WORD_0 src1_sel:DWORD
	v_mul_u32_u24_sdwa v31, v31, s24 dst_sel:DWORD dst_unused:UNUSED_PAD src0_sel:WORD_1 src1_sel:DWORD
	;; [unrolled: 2-line block ×4, first 2 shown]
	v_pk_fma_f16 v70, v28, v25, v70
	v_pk_fma_f16 v71, v28, v27, v71
	;; [unrolled: 1-line block ×12, first 2 shown]
	ds_read2_b64 v[22:25], v59 offset0:64 offset1:96
	v_pk_fma_f16 v30, v29, v30, v39
	v_pk_fma_f16 v38, v29, v69, v63
	;; [unrolled: 1-line block ×4, first 2 shown]
	s_waitcnt lgkmcnt(2)
	v_mul_u32_u24_sdwa v29, v34, s24 dst_sel:DWORD dst_unused:UNUSED_PAD src0_sel:WORD_0 src1_sel:DWORD
	v_mul_u32_u24_sdwa v33, v34, s24 dst_sel:DWORD dst_unused:UNUSED_PAD src0_sel:WORD_1 src1_sel:DWORD
	v_mul_u32_u24_sdwa v34, v35, s24 dst_sel:DWORD dst_unused:UNUSED_PAD src0_sel:WORD_0 src1_sel:DWORD
	v_mul_u32_u24_sdwa v35, v35, s24 dst_sel:DWORD dst_unused:UNUSED_PAD src0_sel:WORD_1 src1_sel:DWORD
	;; [unrolled: 2-line block ×4, first 2 shown]
	s_waitcnt lgkmcnt(0)
	v_pk_fma_f16 v69, v22, v29, v70
	v_pk_fma_f16 v70, v22, v33, v71
	;; [unrolled: 1-line block ×16, first 2 shown]
	v_mul_u32_u24_sdwa v23, v64, s24 dst_sel:DWORD dst_unused:UNUSED_PAD src0_sel:WORD_0 src1_sel:DWORD
	v_mul_u32_u24_sdwa v33, v64, s24 dst_sel:DWORD dst_unused:UNUSED_PAD src0_sel:WORD_1 src1_sel:DWORD
	v_mul_u32_u24_sdwa v34, v65, s24 dst_sel:DWORD dst_unused:UNUSED_PAD src0_sel:WORD_0 src1_sel:DWORD
	v_mul_u32_u24_sdwa v35, v65, s24 dst_sel:DWORD dst_unused:UNUSED_PAD src0_sel:WORD_1 src1_sel:DWORD
	;; [unrolled: 2-line block ×4, first 2 shown]
	v_pk_fma_f16 v65, v24, v34, v71
	v_pk_fma_f16 v66, v24, v35, v72
	v_pk_fma_f16 v71, v25, v23, v26
	v_pk_fma_f16 v72, v25, v33, v27
	v_pk_fma_f16 v34, v25, v34, v28
	v_pk_fma_f16 v35, v25, v35, v29
	ds_read_b128 v[26:29], v57 offset:64
	v_pk_fma_f16 v63, v24, v23, v69
	v_pk_fma_f16 v64, v24, v33, v70
	;; [unrolled: 1-line block ×10, first 2 shown]
	ds_read2_b64 v[22:25], v59 offset0:128 offset1:160
	ds_read_b128 v[30:33], v57 offset:80
	s_waitcnt lgkmcnt(2)
	v_mul_u32_u24_sdwa v39, v26, s24 dst_sel:DWORD dst_unused:UNUSED_PAD src0_sel:WORD_0 src1_sel:DWORD
	v_mul_u32_u24_sdwa v26, v26, s24 dst_sel:DWORD dst_unused:UNUSED_PAD src0_sel:WORD_1 src1_sel:DWORD
	v_mul_u32_u24_sdwa v73, v27, s24 dst_sel:DWORD dst_unused:UNUSED_PAD src0_sel:WORD_0 src1_sel:DWORD
	v_mul_u32_u24_sdwa v27, v27, s24 dst_sel:DWORD dst_unused:UNUSED_PAD src0_sel:WORD_1 src1_sel:DWORD
	;; [unrolled: 2-line block ×4, first 2 shown]
	s_waitcnt lgkmcnt(1)
	v_pk_fma_f16 v63, v22, v39, v63
	v_pk_fma_f16 v64, v22, v26, v64
	v_pk_fma_f16 v65, v22, v73, v65
	v_pk_fma_f16 v66, v22, v27, v66
	v_pk_fma_f16 v67, v22, v74, v67
	v_pk_fma_f16 v68, v22, v28, v68
	v_pk_fma_f16 v69, v22, v75, v69
	v_pk_fma_f16 v22, v22, v29, v70
	v_pk_fma_f16 v39, v23, v39, v71
	v_pk_fma_f16 v26, v23, v26, v72
	v_pk_fma_f16 v34, v23, v73, v34
	v_pk_fma_f16 v27, v23, v27, v35
	v_pk_fma_f16 v35, v23, v74, v36
	v_pk_fma_f16 v28, v23, v28, v37
	v_pk_fma_f16 v36, v23, v75, v38
	v_pk_fma_f16 v21, v23, v29, v21
	s_waitcnt lgkmcnt(0)
	v_mul_u32_u24_sdwa v23, v30, s24 dst_sel:DWORD dst_unused:UNUSED_PAD src0_sel:WORD_0 src1_sel:DWORD
	v_mul_u32_u24_sdwa v29, v30, s24 dst_sel:DWORD dst_unused:UNUSED_PAD src0_sel:WORD_1 src1_sel:DWORD
	v_mul_u32_u24_sdwa v30, v31, s24 dst_sel:DWORD dst_unused:UNUSED_PAD src0_sel:WORD_0 src1_sel:DWORD
	v_mul_u32_u24_sdwa v31, v31, s24 dst_sel:DWORD dst_unused:UNUSED_PAD src0_sel:WORD_1 src1_sel:DWORD
	;; [unrolled: 2-line block ×4, first 2 shown]
	v_pk_fma_f16 v64, v24, v29, v64
	v_pk_fma_f16 v67, v24, v37, v67
	;; [unrolled: 1-line block ×6, first 2 shown]
	ds_read_b128 v[26:29], v57 offset:96
	v_pk_fma_f16 v63, v24, v23, v63
	v_pk_fma_f16 v65, v24, v30, v65
	;; [unrolled: 1-line block ×10, first 2 shown]
	ds_read2_b64 v[22:25], v59 offset0:192 offset1:224
	ds_read_b128 v[30:33], v57 offset:112
	s_waitcnt lgkmcnt(2)
	v_mul_u32_u24_sdwa v38, v26, s24 dst_sel:DWORD dst_unused:UNUSED_PAD src0_sel:WORD_0 src1_sel:DWORD
	v_mul_u32_u24_sdwa v26, v26, s24 dst_sel:DWORD dst_unused:UNUSED_PAD src0_sel:WORD_1 src1_sel:DWORD
	v_mul_u32_u24_sdwa v73, v27, s24 dst_sel:DWORD dst_unused:UNUSED_PAD src0_sel:WORD_0 src1_sel:DWORD
	v_mul_u32_u24_sdwa v27, v27, s24 dst_sel:DWORD dst_unused:UNUSED_PAD src0_sel:WORD_1 src1_sel:DWORD
	;; [unrolled: 2-line block ×4, first 2 shown]
	s_waitcnt lgkmcnt(1)
	v_pk_fma_f16 v63, v22, v38, v63
	v_pk_fma_f16 v64, v22, v26, v64
	;; [unrolled: 1-line block ×16, first 2 shown]
	s_waitcnt lgkmcnt(0)
	v_mul_u32_u24_sdwa v23, v30, s24 dst_sel:DWORD dst_unused:UNUSED_PAD src0_sel:WORD_0 src1_sel:DWORD
	v_mul_u32_u24_sdwa v29, v30, s24 dst_sel:DWORD dst_unused:UNUSED_PAD src0_sel:WORD_1 src1_sel:DWORD
	v_mul_u32_u24_sdwa v30, v31, s24 dst_sel:DWORD dst_unused:UNUSED_PAD src0_sel:WORD_0 src1_sel:DWORD
	v_mul_u32_u24_sdwa v31, v31, s24 dst_sel:DWORD dst_unused:UNUSED_PAD src0_sel:WORD_1 src1_sel:DWORD
	;; [unrolled: 2-line block ×4, first 2 shown]
	v_pk_fma_f16 v64, v24, v29, v64
	v_pk_fma_f16 v67, v24, v37, v67
	;; [unrolled: 1-line block ×8, first 2 shown]
	ds_read_b128 v[26:29], v57 offset:128
	v_pk_fma_f16 v39, v25, v33, v21
	v_add_u32_e32 v21, 0x800, v59
	v_pk_fma_f16 v63, v24, v23, v63
	v_pk_fma_f16 v65, v24, v30, v65
	;; [unrolled: 1-line block ×7, first 2 shown]
	ds_read2_b64 v[22:25], v21 offset1:32
	ds_read_b128 v[30:33], v57 offset:144
	s_waitcnt lgkmcnt(2)
	v_mul_u32_u24_sdwa v73, v26, s24 dst_sel:DWORD dst_unused:UNUSED_PAD src0_sel:WORD_0 src1_sel:DWORD
	v_mul_u32_u24_sdwa v26, v26, s24 dst_sel:DWORD dst_unused:UNUSED_PAD src0_sel:WORD_1 src1_sel:DWORD
	v_mul_u32_u24_sdwa v74, v27, s24 dst_sel:DWORD dst_unused:UNUSED_PAD src0_sel:WORD_0 src1_sel:DWORD
	v_mul_u32_u24_sdwa v27, v27, s24 dst_sel:DWORD dst_unused:UNUSED_PAD src0_sel:WORD_1 src1_sel:DWORD
	;; [unrolled: 2-line block ×4, first 2 shown]
	s_waitcnt lgkmcnt(1)
	v_pk_fma_f16 v63, v22, v73, v63
	v_pk_fma_f16 v64, v22, v26, v64
	;; [unrolled: 1-line block ×16, first 2 shown]
	s_waitcnt lgkmcnt(0)
	v_mul_u32_u24_sdwa v29, v30, s24 dst_sel:DWORD dst_unused:UNUSED_PAD src0_sel:WORD_0 src1_sel:DWORD
	v_mul_u32_u24_sdwa v30, v30, s24 dst_sel:DWORD dst_unused:UNUSED_PAD src0_sel:WORD_1 src1_sel:DWORD
	v_mul_u32_u24_sdwa v37, v31, s24 dst_sel:DWORD dst_unused:UNUSED_PAD src0_sel:WORD_0 src1_sel:DWORD
	v_mul_u32_u24_sdwa v31, v31, s24 dst_sel:DWORD dst_unused:UNUSED_PAD src0_sel:WORD_1 src1_sel:DWORD
	;; [unrolled: 2-line block ×4, first 2 shown]
	v_pk_fma_f16 v63, v24, v29, v63
	v_pk_fma_f16 v65, v24, v37, v65
	;; [unrolled: 1-line block ×9, first 2 shown]
	ds_read_b128 v[26:29], v57 offset:160
	v_pk_fma_f16 v64, v24, v30, v64
	v_pk_fma_f16 v66, v24, v31, v66
	;; [unrolled: 1-line block ×7, first 2 shown]
	ds_read2_b64 v[22:25], v21 offset0:64 offset1:96
	ds_read_b128 v[30:33], v57 offset:176
	s_waitcnt lgkmcnt(2)
	v_mul_u32_u24_sdwa v73, v26, s24 dst_sel:DWORD dst_unused:UNUSED_PAD src0_sel:WORD_0 src1_sel:DWORD
	v_mul_u32_u24_sdwa v26, v26, s24 dst_sel:DWORD dst_unused:UNUSED_PAD src0_sel:WORD_1 src1_sel:DWORD
	v_mul_u32_u24_sdwa v74, v27, s24 dst_sel:DWORD dst_unused:UNUSED_PAD src0_sel:WORD_0 src1_sel:DWORD
	v_mul_u32_u24_sdwa v27, v27, s24 dst_sel:DWORD dst_unused:UNUSED_PAD src0_sel:WORD_1 src1_sel:DWORD
	;; [unrolled: 2-line block ×4, first 2 shown]
	s_waitcnt lgkmcnt(1)
	v_pk_fma_f16 v63, v22, v73, v63
	v_pk_fma_f16 v64, v22, v26, v64
	;; [unrolled: 1-line block ×16, first 2 shown]
	s_waitcnt lgkmcnt(0)
	v_mul_u32_u24_sdwa v29, v30, s24 dst_sel:DWORD dst_unused:UNUSED_PAD src0_sel:WORD_0 src1_sel:DWORD
	v_mul_u32_u24_sdwa v30, v30, s24 dst_sel:DWORD dst_unused:UNUSED_PAD src0_sel:WORD_1 src1_sel:DWORD
	v_mul_u32_u24_sdwa v37, v31, s24 dst_sel:DWORD dst_unused:UNUSED_PAD src0_sel:WORD_0 src1_sel:DWORD
	v_mul_u32_u24_sdwa v31, v31, s24 dst_sel:DWORD dst_unused:UNUSED_PAD src0_sel:WORD_1 src1_sel:DWORD
	;; [unrolled: 2-line block ×3, first 2 shown]
	v_pk_fma_f16 v63, v24, v29, v63
	v_pk_fma_f16 v38, v25, v29, v38
	;; [unrolled: 1-line block ×5, first 2 shown]
	ds_read_b128 v[26:29], v57 offset:192
	v_mul_u32_u24_sdwa v70, v33, s24 dst_sel:DWORD dst_unused:UNUSED_PAD src0_sel:WORD_0 src1_sel:DWORD
	v_mul_u32_u24_sdwa v33, v33, s24 dst_sel:DWORD dst_unused:UNUSED_PAD src0_sel:WORD_1 src1_sel:DWORD
	v_pk_fma_f16 v64, v24, v30, v64
	v_pk_fma_f16 v65, v24, v37, v65
	;; [unrolled: 1-line block ×11, first 2 shown]
	ds_read2_b64 v[22:25], v21 offset0:128 offset1:160
	ds_read_b128 v[30:33], v57 offset:208
	s_waitcnt lgkmcnt(2)
	v_mul_u32_u24_sdwa v34, v26, s24 dst_sel:DWORD dst_unused:UNUSED_PAD src0_sel:WORD_0 src1_sel:DWORD
	v_mul_u32_u24_sdwa v79, v26, s24 dst_sel:DWORD dst_unused:UNUSED_PAD src0_sel:WORD_1 src1_sel:DWORD
	v_mul_u32_u24_sdwa v86, v27, s24 dst_sel:DWORD dst_unused:UNUSED_PAD src0_sel:WORD_0 src1_sel:DWORD
	v_mul_u32_u24_sdwa v87, v27, s24 dst_sel:DWORD dst_unused:UNUSED_PAD src0_sel:WORD_1 src1_sel:DWORD
	;; [unrolled: 2-line block ×4, first 2 shown]
	s_waitcnt lgkmcnt(1)
	v_pk_fma_f16 v98, v23, v34, v38
	v_lshl_add_u64 v[38:39], s[6:7], 2, v[18:19]
	v_pk_fma_f16 v63, v22, v34, v63
	v_pk_fma_f16 v92, v22, v79, v64
	;; [unrolled: 1-line block ×8, first 2 shown]
	ds_read2_b64 v[26:29], v21 offset0:192 offset1:224
	ds_read_b128 v[34:37], v57 offset:224
	ds_read_b128 v[64:67], v57 offset:240
	s_waitcnt lgkmcnt(0)
	s_barrier
	global_load_dwordx4 v[68:71], v[38:39], off
	v_pk_fma_f16 v38, v23, v79, v72
	v_pk_fma_f16 v39, v23, v86, v73
	v_pk_fma_f16 v72, v23, v87, v74
	v_pk_fma_f16 v73, v23, v88, v75
	v_pk_fma_f16 v74, v23, v89, v76
	v_pk_fma_f16 v75, v23, v90, v77
	v_pk_fma_f16 v23, v23, v91, v78
	v_mul_u32_u24_sdwa v76, v30, s24 dst_sel:DWORD dst_unused:UNUSED_PAD src0_sel:WORD_0 src1_sel:DWORD
	v_mul_u32_u24_sdwa v30, v30, s24 dst_sel:DWORD dst_unused:UNUSED_PAD src0_sel:WORD_1 src1_sel:DWORD
	v_mul_u32_u24_sdwa v77, v31, s24 dst_sel:DWORD dst_unused:UNUSED_PAD src0_sel:WORD_0 src1_sel:DWORD
	v_mul_u32_u24_sdwa v31, v31, s24 dst_sel:DWORD dst_unused:UNUSED_PAD src0_sel:WORD_1 src1_sel:DWORD
	v_mul_u32_u24_sdwa v78, v32, s24 dst_sel:DWORD dst_unused:UNUSED_PAD src0_sel:WORD_0 src1_sel:DWORD
	v_mul_u32_u24_sdwa v32, v32, s24 dst_sel:DWORD dst_unused:UNUSED_PAD src0_sel:WORD_1 src1_sel:DWORD
	v_mul_u32_u24_sdwa v79, v33, s24 dst_sel:DWORD dst_unused:UNUSED_PAD src0_sel:WORD_0 src1_sel:DWORD
	v_mul_u32_u24_sdwa v33, v33, s24 dst_sel:DWORD dst_unused:UNUSED_PAD src0_sel:WORD_1 src1_sel:DWORD
	v_pk_fma_f16 v63, v24, v76, v63
	v_pk_fma_f16 v86, v24, v30, v92
	v_pk_fma_f16 v87, v24, v77, v93
	v_pk_fma_f16 v88, v24, v31, v94
	v_pk_fma_f16 v89, v24, v78, v95
	v_pk_fma_f16 v90, v24, v32, v96
	v_pk_fma_f16 v91, v24, v79, v97
	v_pk_fma_f16 v22, v24, v33, v22
	v_pk_fma_f16 v24, v25, v76, v98
	v_pk_fma_f16 v30, v25, v30, v38
	v_pk_fma_f16 v38, v25, v77, v39
	v_pk_fma_f16 v31, v25, v31, v72
	v_pk_fma_f16 v39, v25, v78, v73
	v_pk_fma_f16 v32, v25, v32, v74
	v_pk_fma_f16 v72, v25, v79, v75
	v_pk_fma_f16 v23, v25, v33, v23
	v_mul_u32_u24_sdwa v25, v34, s24 dst_sel:DWORD dst_unused:UNUSED_PAD src0_sel:WORD_0 src1_sel:DWORD
	v_mul_u32_u24_sdwa v33, v34, s24 dst_sel:DWORD dst_unused:UNUSED_PAD src0_sel:WORD_1 src1_sel:DWORD
	v_mul_u32_u24_sdwa v34, v35, s24 dst_sel:DWORD dst_unused:UNUSED_PAD src0_sel:WORD_0 src1_sel:DWORD
	v_mul_u32_u24_sdwa v35, v35, s24 dst_sel:DWORD dst_unused:UNUSED_PAD src0_sel:WORD_1 src1_sel:DWORD
	v_mul_u32_u24_sdwa v73, v36, s24 dst_sel:DWORD dst_unused:UNUSED_PAD src0_sel:WORD_0 src1_sel:DWORD
	v_mul_u32_u24_sdwa v36, v36, s24 dst_sel:DWORD dst_unused:UNUSED_PAD src0_sel:WORD_1 src1_sel:DWORD
	v_mul_u32_u24_sdwa v74, v37, s24 dst_sel:DWORD dst_unused:UNUSED_PAD src0_sel:WORD_0 src1_sel:DWORD
	v_mul_u32_u24_sdwa v37, v37, s24 dst_sel:DWORD dst_unused:UNUSED_PAD src0_sel:WORD_1 src1_sel:DWORD
	v_pk_fma_f16 v63, v26, v25, v63
	v_pk_fma_f16 v75, v26, v33, v86
	v_pk_fma_f16 v76, v26, v34, v87
	v_pk_fma_f16 v77, v26, v35, v88
	v_pk_fma_f16 v78, v26, v73, v89
	v_pk_fma_f16 v79, v26, v36, v90
	v_pk_fma_f16 v86, v26, v74, v91
	v_pk_fma_f16 v22, v26, v37, v22
	v_pk_fma_f16 v24, v27, v25, v24
	;; [unrolled: 24-line block ×3, first 2 shown]
	v_pk_fma_f16 v86, v29, v34, v25
	v_pk_fma_f16 v87, v29, v35, v26
	;; [unrolled: 1-line block ×7, first 2 shown]
	s_waitcnt vmcnt(0)
	ds_write_b128 v58, v[68:71]
	s_waitcnt lgkmcnt(0)
	s_barrier
	ds_read_b128 v[22:25], v57 offset:256
	ds_read2_b64 v[26:29], v59 offset1:32
	ds_read_b128 v[30:33], v57 offset:272
	ds_read_b128 v[34:37], v57 offset:288
	;; [unrolled: 1-line block ×3, first 2 shown]
	s_waitcnt lgkmcnt(4)
	v_mul_u32_u24_sdwa v68, v22, s24 dst_sel:DWORD dst_unused:UNUSED_PAD src0_sel:WORD_0 src1_sel:DWORD
	v_mul_u32_u24_sdwa v22, v22, s24 dst_sel:DWORD dst_unused:UNUSED_PAD src0_sel:WORD_1 src1_sel:DWORD
	v_mul_u32_u24_sdwa v69, v23, s24 dst_sel:DWORD dst_unused:UNUSED_PAD src0_sel:WORD_0 src1_sel:DWORD
	v_mul_u32_u24_sdwa v23, v23, s24 dst_sel:DWORD dst_unused:UNUSED_PAD src0_sel:WORD_1 src1_sel:DWORD
	;; [unrolled: 2-line block ×4, first 2 shown]
	s_waitcnt lgkmcnt(3)
	v_pk_fma_f16 v63, v26, v68, v63
	v_pk_fma_f16 v72, v26, v22, v72
	;; [unrolled: 1-line block ×16, first 2 shown]
	s_waitcnt lgkmcnt(2)
	v_mul_u32_u24_sdwa v27, v30, s24 dst_sel:DWORD dst_unused:UNUSED_PAD src0_sel:WORD_0 src1_sel:DWORD
	v_mul_u32_u24_sdwa v30, v30, s24 dst_sel:DWORD dst_unused:UNUSED_PAD src0_sel:WORD_1 src1_sel:DWORD
	v_mul_u32_u24_sdwa v39, v31, s24 dst_sel:DWORD dst_unused:UNUSED_PAD src0_sel:WORD_0 src1_sel:DWORD
	v_mul_u32_u24_sdwa v31, v31, s24 dst_sel:DWORD dst_unused:UNUSED_PAD src0_sel:WORD_1 src1_sel:DWORD
	v_mul_u32_u24_sdwa v71, v32, s24 dst_sel:DWORD dst_unused:UNUSED_PAD src0_sel:WORD_0 src1_sel:DWORD
	v_mul_u32_u24_sdwa v32, v32, s24 dst_sel:DWORD dst_unused:UNUSED_PAD src0_sel:WORD_1 src1_sel:DWORD
	v_mul_u32_u24_sdwa v78, v33, s24 dst_sel:DWORD dst_unused:UNUSED_PAD src0_sel:WORD_0 src1_sel:DWORD
	v_mul_u32_u24_sdwa v33, v33, s24 dst_sel:DWORD dst_unused:UNUSED_PAD src0_sel:WORD_1 src1_sel:DWORD
	v_pk_fma_f16 v63, v28, v27, v63
	v_pk_fma_f16 v72, v28, v30, v72
	;; [unrolled: 1-line block ×16, first 2 shown]
	ds_read2_b64 v[22:25], v59 offset0:64 offset1:96
	s_waitcnt lgkmcnt(2)
	v_mul_u32_u24_sdwa v33, v34, s24 dst_sel:DWORD dst_unused:UNUSED_PAD src0_sel:WORD_0 src1_sel:DWORD
	v_mul_u32_u24_sdwa v34, v34, s24 dst_sel:DWORD dst_unused:UNUSED_PAD src0_sel:WORD_1 src1_sel:DWORD
	v_mul_u32_u24_sdwa v68, v35, s24 dst_sel:DWORD dst_unused:UNUSED_PAD src0_sel:WORD_0 src1_sel:DWORD
	v_mul_u32_u24_sdwa v35, v35, s24 dst_sel:DWORD dst_unused:UNUSED_PAD src0_sel:WORD_1 src1_sel:DWORD
	;; [unrolled: 2-line block ×4, first 2 shown]
	s_waitcnt lgkmcnt(0)
	v_pk_fma_f16 v63, v22, v33, v63
	v_pk_fma_f16 v71, v22, v34, v72
	;; [unrolled: 1-line block ×16, first 2 shown]
	v_mul_u32_u24_sdwa v29, v64, s24 dst_sel:DWORD dst_unused:UNUSED_PAD src0_sel:WORD_0 src1_sel:DWORD
	v_mul_u32_u24_sdwa v34, v64, s24 dst_sel:DWORD dst_unused:UNUSED_PAD src0_sel:WORD_1 src1_sel:DWORD
	v_mul_u32_u24_sdwa v35, v65, s24 dst_sel:DWORD dst_unused:UNUSED_PAD src0_sel:WORD_0 src1_sel:DWORD
	v_mul_u32_u24_sdwa v36, v65, s24 dst_sel:DWORD dst_unused:UNUSED_PAD src0_sel:WORD_1 src1_sel:DWORD
	;; [unrolled: 2-line block ×4, first 2 shown]
	v_pk_fma_f16 v63, v24, v29, v63
	v_pk_fma_f16 v65, v24, v34, v71
	;; [unrolled: 1-line block ×6, first 2 shown]
	ds_read_b128 v[26:29], v57 offset:320
	v_pk_fma_f16 v67, v24, v36, v73
	v_pk_fma_f16 v68, v24, v37, v74
	;; [unrolled: 1-line block ×10, first 2 shown]
	ds_read2_b64 v[22:25], v59 offset0:128 offset1:160
	ds_read_b128 v[30:33], v57 offset:336
	s_waitcnt lgkmcnt(2)
	v_mul_u32_u24_sdwa v73, v26, s24 dst_sel:DWORD dst_unused:UNUSED_PAD src0_sel:WORD_0 src1_sel:DWORD
	v_mul_u32_u24_sdwa v26, v26, s24 dst_sel:DWORD dst_unused:UNUSED_PAD src0_sel:WORD_1 src1_sel:DWORD
	v_mul_u32_u24_sdwa v74, v27, s24 dst_sel:DWORD dst_unused:UNUSED_PAD src0_sel:WORD_0 src1_sel:DWORD
	v_mul_u32_u24_sdwa v27, v27, s24 dst_sel:DWORD dst_unused:UNUSED_PAD src0_sel:WORD_1 src1_sel:DWORD
	;; [unrolled: 2-line block ×4, first 2 shown]
	s_waitcnt lgkmcnt(1)
	v_pk_fma_f16 v63, v22, v73, v63
	v_pk_fma_f16 v65, v22, v26, v65
	;; [unrolled: 1-line block ×16, first 2 shown]
	s_waitcnt lgkmcnt(0)
	v_mul_u32_u24_sdwa v29, v30, s24 dst_sel:DWORD dst_unused:UNUSED_PAD src0_sel:WORD_0 src1_sel:DWORD
	v_mul_u32_u24_sdwa v30, v30, s24 dst_sel:DWORD dst_unused:UNUSED_PAD src0_sel:WORD_1 src1_sel:DWORD
	v_mul_u32_u24_sdwa v37, v31, s24 dst_sel:DWORD dst_unused:UNUSED_PAD src0_sel:WORD_0 src1_sel:DWORD
	v_mul_u32_u24_sdwa v31, v31, s24 dst_sel:DWORD dst_unused:UNUSED_PAD src0_sel:WORD_1 src1_sel:DWORD
	;; [unrolled: 2-line block ×4, first 2 shown]
	v_pk_fma_f16 v63, v24, v29, v63
	v_pk_fma_f16 v64, v24, v30, v65
	;; [unrolled: 1-line block ×11, first 2 shown]
	ds_read_b128 v[26:29], v57 offset:352
	v_pk_fma_f16 v68, v24, v32, v69
	v_pk_fma_f16 v69, v24, v39, v70
	;; [unrolled: 1-line block ×5, first 2 shown]
	ds_read2_b64 v[22:25], v59 offset0:192 offset1:224
	ds_read_b128 v[30:33], v57 offset:368
	s_waitcnt lgkmcnt(2)
	v_mul_u32_u24_sdwa v73, v26, s24 dst_sel:DWORD dst_unused:UNUSED_PAD src0_sel:WORD_0 src1_sel:DWORD
	v_mul_u32_u24_sdwa v26, v26, s24 dst_sel:DWORD dst_unused:UNUSED_PAD src0_sel:WORD_1 src1_sel:DWORD
	v_mul_u32_u24_sdwa v74, v27, s24 dst_sel:DWORD dst_unused:UNUSED_PAD src0_sel:WORD_0 src1_sel:DWORD
	v_mul_u32_u24_sdwa v27, v27, s24 dst_sel:DWORD dst_unused:UNUSED_PAD src0_sel:WORD_1 src1_sel:DWORD
	;; [unrolled: 2-line block ×4, first 2 shown]
	s_waitcnt lgkmcnt(1)
	v_pk_fma_f16 v63, v22, v73, v63
	v_pk_fma_f16 v64, v22, v26, v64
	;; [unrolled: 1-line block ×16, first 2 shown]
	s_waitcnt lgkmcnt(0)
	v_mul_u32_u24_sdwa v29, v30, s24 dst_sel:DWORD dst_unused:UNUSED_PAD src0_sel:WORD_0 src1_sel:DWORD
	v_mul_u32_u24_sdwa v30, v30, s24 dst_sel:DWORD dst_unused:UNUSED_PAD src0_sel:WORD_1 src1_sel:DWORD
	v_mul_u32_u24_sdwa v37, v31, s24 dst_sel:DWORD dst_unused:UNUSED_PAD src0_sel:WORD_0 src1_sel:DWORD
	v_mul_u32_u24_sdwa v31, v31, s24 dst_sel:DWORD dst_unused:UNUSED_PAD src0_sel:WORD_1 src1_sel:DWORD
	v_mul_u32_u24_sdwa v38, v32, s24 dst_sel:DWORD dst_unused:UNUSED_PAD src0_sel:WORD_0 src1_sel:DWORD
	v_mul_u32_u24_sdwa v32, v32, s24 dst_sel:DWORD dst_unused:UNUSED_PAD src0_sel:WORD_1 src1_sel:DWORD
	v_mul_u32_u24_sdwa v39, v33, s24 dst_sel:DWORD dst_unused:UNUSED_PAD src0_sel:WORD_0 src1_sel:DWORD
	v_mul_u32_u24_sdwa v33, v33, s24 dst_sel:DWORD dst_unused:UNUSED_PAD src0_sel:WORD_1 src1_sel:DWORD
	v_pk_fma_f16 v63, v24, v29, v63
	v_pk_fma_f16 v65, v24, v37, v65
	;; [unrolled: 1-line block ×9, first 2 shown]
	ds_read_b128 v[26:29], v57 offset:384
	v_pk_fma_f16 v64, v24, v30, v64
	v_pk_fma_f16 v66, v24, v31, v66
	;; [unrolled: 1-line block ×7, first 2 shown]
	ds_read2_b64 v[22:25], v21 offset1:32
	ds_read_b128 v[30:33], v57 offset:400
	s_waitcnt lgkmcnt(2)
	v_mul_u32_u24_sdwa v73, v26, s24 dst_sel:DWORD dst_unused:UNUSED_PAD src0_sel:WORD_0 src1_sel:DWORD
	v_mul_u32_u24_sdwa v26, v26, s24 dst_sel:DWORD dst_unused:UNUSED_PAD src0_sel:WORD_1 src1_sel:DWORD
	v_mul_u32_u24_sdwa v74, v27, s24 dst_sel:DWORD dst_unused:UNUSED_PAD src0_sel:WORD_0 src1_sel:DWORD
	v_mul_u32_u24_sdwa v27, v27, s24 dst_sel:DWORD dst_unused:UNUSED_PAD src0_sel:WORD_1 src1_sel:DWORD
	;; [unrolled: 2-line block ×4, first 2 shown]
	s_waitcnt lgkmcnt(1)
	v_pk_fma_f16 v63, v22, v73, v63
	v_pk_fma_f16 v64, v22, v26, v64
	;; [unrolled: 1-line block ×16, first 2 shown]
	s_waitcnt lgkmcnt(0)
	v_mul_u32_u24_sdwa v29, v30, s24 dst_sel:DWORD dst_unused:UNUSED_PAD src0_sel:WORD_0 src1_sel:DWORD
	v_mul_u32_u24_sdwa v30, v30, s24 dst_sel:DWORD dst_unused:UNUSED_PAD src0_sel:WORD_1 src1_sel:DWORD
	v_mul_u32_u24_sdwa v37, v31, s24 dst_sel:DWORD dst_unused:UNUSED_PAD src0_sel:WORD_0 src1_sel:DWORD
	v_mul_u32_u24_sdwa v31, v31, s24 dst_sel:DWORD dst_unused:UNUSED_PAD src0_sel:WORD_1 src1_sel:DWORD
	;; [unrolled: 2-line block ×4, first 2 shown]
	v_pk_fma_f16 v63, v24, v29, v63
	v_pk_fma_f16 v65, v24, v37, v65
	;; [unrolled: 1-line block ×9, first 2 shown]
	ds_read_b128 v[26:29], v57 offset:416
	v_pk_fma_f16 v64, v24, v30, v64
	v_pk_fma_f16 v66, v24, v31, v66
	;; [unrolled: 1-line block ×7, first 2 shown]
	ds_read2_b64 v[22:25], v21 offset0:64 offset1:96
	ds_read_b128 v[30:33], v57 offset:432
	s_waitcnt lgkmcnt(2)
	v_mul_u32_u24_sdwa v73, v26, s24 dst_sel:DWORD dst_unused:UNUSED_PAD src0_sel:WORD_0 src1_sel:DWORD
	v_mul_u32_u24_sdwa v26, v26, s24 dst_sel:DWORD dst_unused:UNUSED_PAD src0_sel:WORD_1 src1_sel:DWORD
	v_mul_u32_u24_sdwa v74, v27, s24 dst_sel:DWORD dst_unused:UNUSED_PAD src0_sel:WORD_0 src1_sel:DWORD
	v_mul_u32_u24_sdwa v27, v27, s24 dst_sel:DWORD dst_unused:UNUSED_PAD src0_sel:WORD_1 src1_sel:DWORD
	;; [unrolled: 2-line block ×4, first 2 shown]
	s_waitcnt lgkmcnt(1)
	v_pk_fma_f16 v63, v22, v73, v63
	v_pk_fma_f16 v64, v22, v26, v64
	;; [unrolled: 1-line block ×16, first 2 shown]
	s_waitcnt lgkmcnt(0)
	v_mul_u32_u24_sdwa v29, v30, s24 dst_sel:DWORD dst_unused:UNUSED_PAD src0_sel:WORD_0 src1_sel:DWORD
	v_mul_u32_u24_sdwa v30, v30, s24 dst_sel:DWORD dst_unused:UNUSED_PAD src0_sel:WORD_1 src1_sel:DWORD
	v_mul_u32_u24_sdwa v37, v31, s24 dst_sel:DWORD dst_unused:UNUSED_PAD src0_sel:WORD_0 src1_sel:DWORD
	v_mul_u32_u24_sdwa v31, v31, s24 dst_sel:DWORD dst_unused:UNUSED_PAD src0_sel:WORD_1 src1_sel:DWORD
	;; [unrolled: 2-line block ×3, first 2 shown]
	v_pk_fma_f16 v63, v24, v29, v63
	v_pk_fma_f16 v70, v25, v29, v70
	;; [unrolled: 1-line block ×5, first 2 shown]
	ds_read_b128 v[26:29], v57 offset:448
	v_mul_u32_u24_sdwa v39, v33, s24 dst_sel:DWORD dst_unused:UNUSED_PAD src0_sel:WORD_0 src1_sel:DWORD
	v_mul_u32_u24_sdwa v33, v33, s24 dst_sel:DWORD dst_unused:UNUSED_PAD src0_sel:WORD_1 src1_sel:DWORD
	v_pk_fma_f16 v64, v24, v30, v64
	v_pk_fma_f16 v65, v24, v37, v65
	;; [unrolled: 1-line block ×11, first 2 shown]
	ds_read2_b64 v[22:25], v21 offset0:128 offset1:160
	ds_read_b128 v[30:33], v57 offset:464
	s_or_b32 s6, s2, 32
	s_mul_hi_i32 s7, s6, s11
	s_mul_i32 s6, s6, s11
	s_waitcnt lgkmcnt(2)
	v_mul_u32_u24_sdwa v34, v26, s24 dst_sel:DWORD dst_unused:UNUSED_PAD src0_sel:WORD_0 src1_sel:DWORD
	v_mul_u32_u24_sdwa v79, v26, s24 dst_sel:DWORD dst_unused:UNUSED_PAD src0_sel:WORD_1 src1_sel:DWORD
	v_mul_u32_u24_sdwa v86, v27, s24 dst_sel:DWORD dst_unused:UNUSED_PAD src0_sel:WORD_0 src1_sel:DWORD
	v_mul_u32_u24_sdwa v87, v27, s24 dst_sel:DWORD dst_unused:UNUSED_PAD src0_sel:WORD_1 src1_sel:DWORD
	v_mul_u32_u24_sdwa v88, v28, s24 dst_sel:DWORD dst_unused:UNUSED_PAD src0_sel:WORD_0 src1_sel:DWORD
	v_mul_u32_u24_sdwa v89, v28, s24 dst_sel:DWORD dst_unused:UNUSED_PAD src0_sel:WORD_1 src1_sel:DWORD
	v_mul_u32_u24_sdwa v90, v29, s24 dst_sel:DWORD dst_unused:UNUSED_PAD src0_sel:WORD_0 src1_sel:DWORD
	v_mul_u32_u24_sdwa v91, v29, s24 dst_sel:DWORD dst_unused:UNUSED_PAD src0_sel:WORD_1 src1_sel:DWORD
	v_lshl_add_u64 v[38:39], s[6:7], 2, v[18:19]
	s_waitcnt lgkmcnt(1)
	v_pk_fma_f16 v63, v22, v34, v63
	v_pk_fma_f16 v92, v22, v79, v64
	;; [unrolled: 1-line block ×9, first 2 shown]
	ds_read2_b64 v[26:29], v21 offset0:192 offset1:224
	ds_read_b128 v[34:37], v57 offset:480
	ds_read_b128 v[64:67], v57 offset:496
	s_waitcnt lgkmcnt(0)
	s_barrier
	global_load_dwordx4 v[68:71], v[38:39], off
	v_pk_fma_f16 v38, v23, v79, v72
	v_pk_fma_f16 v39, v23, v86, v73
	v_pk_fma_f16 v72, v23, v87, v74
	v_pk_fma_f16 v73, v23, v88, v75
	v_pk_fma_f16 v74, v23, v89, v76
	v_pk_fma_f16 v75, v23, v90, v77
	v_pk_fma_f16 v23, v23, v91, v78
	v_mul_u32_u24_sdwa v76, v30, s24 dst_sel:DWORD dst_unused:UNUSED_PAD src0_sel:WORD_0 src1_sel:DWORD
	v_mul_u32_u24_sdwa v30, v30, s24 dst_sel:DWORD dst_unused:UNUSED_PAD src0_sel:WORD_1 src1_sel:DWORD
	v_mul_u32_u24_sdwa v77, v31, s24 dst_sel:DWORD dst_unused:UNUSED_PAD src0_sel:WORD_0 src1_sel:DWORD
	v_mul_u32_u24_sdwa v31, v31, s24 dst_sel:DWORD dst_unused:UNUSED_PAD src0_sel:WORD_1 src1_sel:DWORD
	v_mul_u32_u24_sdwa v78, v32, s24 dst_sel:DWORD dst_unused:UNUSED_PAD src0_sel:WORD_0 src1_sel:DWORD
	v_mul_u32_u24_sdwa v32, v32, s24 dst_sel:DWORD dst_unused:UNUSED_PAD src0_sel:WORD_1 src1_sel:DWORD
	v_mul_u32_u24_sdwa v79, v33, s24 dst_sel:DWORD dst_unused:UNUSED_PAD src0_sel:WORD_0 src1_sel:DWORD
	v_mul_u32_u24_sdwa v33, v33, s24 dst_sel:DWORD dst_unused:UNUSED_PAD src0_sel:WORD_1 src1_sel:DWORD
	v_pk_fma_f16 v63, v24, v76, v63
	v_pk_fma_f16 v86, v24, v30, v92
	v_pk_fma_f16 v87, v24, v77, v93
	v_pk_fma_f16 v88, v24, v31, v94
	v_pk_fma_f16 v89, v24, v78, v95
	v_pk_fma_f16 v90, v24, v32, v96
	v_pk_fma_f16 v91, v24, v79, v97
	v_pk_fma_f16 v22, v24, v33, v22
	v_pk_fma_f16 v24, v25, v76, v98
	v_pk_fma_f16 v30, v25, v30, v38
	v_pk_fma_f16 v38, v25, v77, v39
	v_pk_fma_f16 v31, v25, v31, v72
	v_pk_fma_f16 v39, v25, v78, v73
	v_pk_fma_f16 v32, v25, v32, v74
	v_pk_fma_f16 v72, v25, v79, v75
	v_pk_fma_f16 v23, v25, v33, v23
	v_mul_u32_u24_sdwa v25, v34, s24 dst_sel:DWORD dst_unused:UNUSED_PAD src0_sel:WORD_0 src1_sel:DWORD
	v_mul_u32_u24_sdwa v33, v34, s24 dst_sel:DWORD dst_unused:UNUSED_PAD src0_sel:WORD_1 src1_sel:DWORD
	v_mul_u32_u24_sdwa v34, v35, s24 dst_sel:DWORD dst_unused:UNUSED_PAD src0_sel:WORD_0 src1_sel:DWORD
	v_mul_u32_u24_sdwa v35, v35, s24 dst_sel:DWORD dst_unused:UNUSED_PAD src0_sel:WORD_1 src1_sel:DWORD
	v_mul_u32_u24_sdwa v73, v36, s24 dst_sel:DWORD dst_unused:UNUSED_PAD src0_sel:WORD_0 src1_sel:DWORD
	v_mul_u32_u24_sdwa v36, v36, s24 dst_sel:DWORD dst_unused:UNUSED_PAD src0_sel:WORD_1 src1_sel:DWORD
	v_mul_u32_u24_sdwa v74, v37, s24 dst_sel:DWORD dst_unused:UNUSED_PAD src0_sel:WORD_0 src1_sel:DWORD
	v_mul_u32_u24_sdwa v37, v37, s24 dst_sel:DWORD dst_unused:UNUSED_PAD src0_sel:WORD_1 src1_sel:DWORD
	v_pk_fma_f16 v63, v26, v25, v63
	v_pk_fma_f16 v75, v26, v33, v86
	v_pk_fma_f16 v76, v26, v34, v87
	v_pk_fma_f16 v77, v26, v35, v88
	v_pk_fma_f16 v78, v26, v73, v89
	v_pk_fma_f16 v79, v26, v36, v90
	v_pk_fma_f16 v86, v26, v74, v91
	v_pk_fma_f16 v22, v26, v37, v22
	v_pk_fma_f16 v24, v27, v25, v24
	;; [unrolled: 24-line block ×3, first 2 shown]
	v_pk_fma_f16 v86, v29, v34, v25
	v_pk_fma_f16 v87, v29, v35, v26
	;; [unrolled: 1-line block ×7, first 2 shown]
	s_waitcnt vmcnt(0)
	ds_write_b128 v58, v[68:71]
	s_waitcnt lgkmcnt(0)
	s_barrier
	ds_read_b128 v[22:25], v57 offset:512
	ds_read2_b64 v[26:29], v59 offset1:32
	ds_read_b128 v[30:33], v57 offset:528
	ds_read_b128 v[34:37], v57 offset:544
	;; [unrolled: 1-line block ×3, first 2 shown]
	s_waitcnt lgkmcnt(4)
	v_mul_u32_u24_sdwa v68, v22, s24 dst_sel:DWORD dst_unused:UNUSED_PAD src0_sel:WORD_0 src1_sel:DWORD
	v_mul_u32_u24_sdwa v22, v22, s24 dst_sel:DWORD dst_unused:UNUSED_PAD src0_sel:WORD_1 src1_sel:DWORD
	v_mul_u32_u24_sdwa v69, v23, s24 dst_sel:DWORD dst_unused:UNUSED_PAD src0_sel:WORD_0 src1_sel:DWORD
	v_mul_u32_u24_sdwa v23, v23, s24 dst_sel:DWORD dst_unused:UNUSED_PAD src0_sel:WORD_1 src1_sel:DWORD
	;; [unrolled: 2-line block ×4, first 2 shown]
	s_waitcnt lgkmcnt(3)
	v_pk_fma_f16 v63, v26, v68, v63
	v_pk_fma_f16 v72, v26, v22, v72
	v_pk_fma_f16 v73, v26, v69, v73
	v_pk_fma_f16 v74, v26, v23, v74
	v_pk_fma_f16 v75, v26, v70, v75
	v_pk_fma_f16 v76, v26, v24, v76
	v_pk_fma_f16 v77, v26, v71, v77
	v_pk_fma_f16 v26, v26, v25, v78
	v_pk_fma_f16 v68, v27, v68, v79
	v_pk_fma_f16 v22, v27, v22, v86
	v_pk_fma_f16 v69, v27, v69, v87
	v_pk_fma_f16 v23, v27, v23, v88
	v_pk_fma_f16 v70, v27, v70, v89
	v_pk_fma_f16 v24, v27, v24, v38
	v_pk_fma_f16 v38, v27, v71, v39
	v_pk_fma_f16 v25, v27, v25, v90
	s_waitcnt lgkmcnt(2)
	v_mul_u32_u24_sdwa v27, v30, s24 dst_sel:DWORD dst_unused:UNUSED_PAD src0_sel:WORD_0 src1_sel:DWORD
	v_mul_u32_u24_sdwa v30, v30, s24 dst_sel:DWORD dst_unused:UNUSED_PAD src0_sel:WORD_1 src1_sel:DWORD
	v_mul_u32_u24_sdwa v39, v31, s24 dst_sel:DWORD dst_unused:UNUSED_PAD src0_sel:WORD_0 src1_sel:DWORD
	v_mul_u32_u24_sdwa v31, v31, s24 dst_sel:DWORD dst_unused:UNUSED_PAD src0_sel:WORD_1 src1_sel:DWORD
	;; [unrolled: 2-line block ×4, first 2 shown]
	v_pk_fma_f16 v63, v28, v27, v63
	v_pk_fma_f16 v72, v28, v30, v72
	;; [unrolled: 1-line block ×16, first 2 shown]
	ds_read2_b64 v[22:25], v59 offset0:64 offset1:96
	s_waitcnt lgkmcnt(2)
	v_mul_u32_u24_sdwa v33, v34, s24 dst_sel:DWORD dst_unused:UNUSED_PAD src0_sel:WORD_0 src1_sel:DWORD
	v_mul_u32_u24_sdwa v34, v34, s24 dst_sel:DWORD dst_unused:UNUSED_PAD src0_sel:WORD_1 src1_sel:DWORD
	v_mul_u32_u24_sdwa v68, v35, s24 dst_sel:DWORD dst_unused:UNUSED_PAD src0_sel:WORD_0 src1_sel:DWORD
	v_mul_u32_u24_sdwa v35, v35, s24 dst_sel:DWORD dst_unused:UNUSED_PAD src0_sel:WORD_1 src1_sel:DWORD
	;; [unrolled: 2-line block ×4, first 2 shown]
	s_waitcnt lgkmcnt(0)
	v_pk_fma_f16 v63, v22, v33, v63
	v_pk_fma_f16 v71, v22, v34, v72
	;; [unrolled: 1-line block ×16, first 2 shown]
	v_mul_u32_u24_sdwa v29, v64, s24 dst_sel:DWORD dst_unused:UNUSED_PAD src0_sel:WORD_0 src1_sel:DWORD
	v_mul_u32_u24_sdwa v34, v64, s24 dst_sel:DWORD dst_unused:UNUSED_PAD src0_sel:WORD_1 src1_sel:DWORD
	v_mul_u32_u24_sdwa v35, v65, s24 dst_sel:DWORD dst_unused:UNUSED_PAD src0_sel:WORD_0 src1_sel:DWORD
	v_mul_u32_u24_sdwa v36, v65, s24 dst_sel:DWORD dst_unused:UNUSED_PAD src0_sel:WORD_1 src1_sel:DWORD
	;; [unrolled: 2-line block ×4, first 2 shown]
	v_pk_fma_f16 v63, v24, v29, v63
	v_pk_fma_f16 v65, v24, v34, v71
	;; [unrolled: 1-line block ×6, first 2 shown]
	ds_read_b128 v[26:29], v57 offset:576
	v_pk_fma_f16 v67, v24, v36, v73
	v_pk_fma_f16 v68, v24, v37, v74
	;; [unrolled: 1-line block ×10, first 2 shown]
	ds_read2_b64 v[22:25], v59 offset0:128 offset1:160
	ds_read_b128 v[30:33], v57 offset:592
	s_waitcnt lgkmcnt(2)
	v_mul_u32_u24_sdwa v73, v26, s24 dst_sel:DWORD dst_unused:UNUSED_PAD src0_sel:WORD_0 src1_sel:DWORD
	v_mul_u32_u24_sdwa v26, v26, s24 dst_sel:DWORD dst_unused:UNUSED_PAD src0_sel:WORD_1 src1_sel:DWORD
	v_mul_u32_u24_sdwa v74, v27, s24 dst_sel:DWORD dst_unused:UNUSED_PAD src0_sel:WORD_0 src1_sel:DWORD
	v_mul_u32_u24_sdwa v27, v27, s24 dst_sel:DWORD dst_unused:UNUSED_PAD src0_sel:WORD_1 src1_sel:DWORD
	;; [unrolled: 2-line block ×4, first 2 shown]
	s_waitcnt lgkmcnt(1)
	v_pk_fma_f16 v63, v22, v73, v63
	v_pk_fma_f16 v65, v22, v26, v65
	;; [unrolled: 1-line block ×16, first 2 shown]
	s_waitcnt lgkmcnt(0)
	v_mul_u32_u24_sdwa v29, v30, s24 dst_sel:DWORD dst_unused:UNUSED_PAD src0_sel:WORD_0 src1_sel:DWORD
	v_mul_u32_u24_sdwa v30, v30, s24 dst_sel:DWORD dst_unused:UNUSED_PAD src0_sel:WORD_1 src1_sel:DWORD
	v_mul_u32_u24_sdwa v37, v31, s24 dst_sel:DWORD dst_unused:UNUSED_PAD src0_sel:WORD_0 src1_sel:DWORD
	v_mul_u32_u24_sdwa v31, v31, s24 dst_sel:DWORD dst_unused:UNUSED_PAD src0_sel:WORD_1 src1_sel:DWORD
	;; [unrolled: 2-line block ×4, first 2 shown]
	v_pk_fma_f16 v63, v24, v29, v63
	v_pk_fma_f16 v64, v24, v30, v65
	;; [unrolled: 1-line block ×11, first 2 shown]
	ds_read_b128 v[26:29], v57 offset:608
	v_pk_fma_f16 v68, v24, v32, v69
	v_pk_fma_f16 v69, v24, v39, v70
	;; [unrolled: 1-line block ×5, first 2 shown]
	ds_read2_b64 v[22:25], v59 offset0:192 offset1:224
	ds_read_b128 v[30:33], v57 offset:624
	s_waitcnt lgkmcnt(2)
	v_mul_u32_u24_sdwa v73, v26, s24 dst_sel:DWORD dst_unused:UNUSED_PAD src0_sel:WORD_0 src1_sel:DWORD
	v_mul_u32_u24_sdwa v26, v26, s24 dst_sel:DWORD dst_unused:UNUSED_PAD src0_sel:WORD_1 src1_sel:DWORD
	v_mul_u32_u24_sdwa v74, v27, s24 dst_sel:DWORD dst_unused:UNUSED_PAD src0_sel:WORD_0 src1_sel:DWORD
	v_mul_u32_u24_sdwa v27, v27, s24 dst_sel:DWORD dst_unused:UNUSED_PAD src0_sel:WORD_1 src1_sel:DWORD
	;; [unrolled: 2-line block ×4, first 2 shown]
	s_waitcnt lgkmcnt(1)
	v_pk_fma_f16 v63, v22, v73, v63
	v_pk_fma_f16 v64, v22, v26, v64
	;; [unrolled: 1-line block ×16, first 2 shown]
	s_waitcnt lgkmcnt(0)
	v_mul_u32_u24_sdwa v29, v30, s24 dst_sel:DWORD dst_unused:UNUSED_PAD src0_sel:WORD_0 src1_sel:DWORD
	v_mul_u32_u24_sdwa v30, v30, s24 dst_sel:DWORD dst_unused:UNUSED_PAD src0_sel:WORD_1 src1_sel:DWORD
	v_mul_u32_u24_sdwa v37, v31, s24 dst_sel:DWORD dst_unused:UNUSED_PAD src0_sel:WORD_0 src1_sel:DWORD
	v_mul_u32_u24_sdwa v31, v31, s24 dst_sel:DWORD dst_unused:UNUSED_PAD src0_sel:WORD_1 src1_sel:DWORD
	;; [unrolled: 2-line block ×4, first 2 shown]
	v_pk_fma_f16 v63, v24, v29, v63
	v_pk_fma_f16 v65, v24, v37, v65
	;; [unrolled: 1-line block ×9, first 2 shown]
	ds_read_b128 v[26:29], v57 offset:640
	v_pk_fma_f16 v64, v24, v30, v64
	v_pk_fma_f16 v66, v24, v31, v66
	;; [unrolled: 1-line block ×7, first 2 shown]
	ds_read2_b64 v[22:25], v21 offset1:32
	ds_read_b128 v[30:33], v57 offset:656
	s_waitcnt lgkmcnt(2)
	v_mul_u32_u24_sdwa v73, v26, s24 dst_sel:DWORD dst_unused:UNUSED_PAD src0_sel:WORD_0 src1_sel:DWORD
	v_mul_u32_u24_sdwa v26, v26, s24 dst_sel:DWORD dst_unused:UNUSED_PAD src0_sel:WORD_1 src1_sel:DWORD
	v_mul_u32_u24_sdwa v74, v27, s24 dst_sel:DWORD dst_unused:UNUSED_PAD src0_sel:WORD_0 src1_sel:DWORD
	v_mul_u32_u24_sdwa v27, v27, s24 dst_sel:DWORD dst_unused:UNUSED_PAD src0_sel:WORD_1 src1_sel:DWORD
	;; [unrolled: 2-line block ×4, first 2 shown]
	s_waitcnt lgkmcnt(1)
	v_pk_fma_f16 v63, v22, v73, v63
	v_pk_fma_f16 v64, v22, v26, v64
	;; [unrolled: 1-line block ×16, first 2 shown]
	s_waitcnt lgkmcnt(0)
	v_mul_u32_u24_sdwa v29, v30, s24 dst_sel:DWORD dst_unused:UNUSED_PAD src0_sel:WORD_0 src1_sel:DWORD
	v_mul_u32_u24_sdwa v30, v30, s24 dst_sel:DWORD dst_unused:UNUSED_PAD src0_sel:WORD_1 src1_sel:DWORD
	v_mul_u32_u24_sdwa v37, v31, s24 dst_sel:DWORD dst_unused:UNUSED_PAD src0_sel:WORD_0 src1_sel:DWORD
	v_mul_u32_u24_sdwa v31, v31, s24 dst_sel:DWORD dst_unused:UNUSED_PAD src0_sel:WORD_1 src1_sel:DWORD
	;; [unrolled: 2-line block ×4, first 2 shown]
	v_pk_fma_f16 v63, v24, v29, v63
	v_pk_fma_f16 v65, v24, v37, v65
	;; [unrolled: 1-line block ×9, first 2 shown]
	ds_read_b128 v[26:29], v57 offset:672
	v_pk_fma_f16 v64, v24, v30, v64
	v_pk_fma_f16 v66, v24, v31, v66
	;; [unrolled: 1-line block ×7, first 2 shown]
	ds_read2_b64 v[22:25], v21 offset0:64 offset1:96
	ds_read_b128 v[30:33], v57 offset:688
	s_waitcnt lgkmcnt(2)
	v_mul_u32_u24_sdwa v73, v26, s24 dst_sel:DWORD dst_unused:UNUSED_PAD src0_sel:WORD_0 src1_sel:DWORD
	v_mul_u32_u24_sdwa v26, v26, s24 dst_sel:DWORD dst_unused:UNUSED_PAD src0_sel:WORD_1 src1_sel:DWORD
	v_mul_u32_u24_sdwa v74, v27, s24 dst_sel:DWORD dst_unused:UNUSED_PAD src0_sel:WORD_0 src1_sel:DWORD
	v_mul_u32_u24_sdwa v27, v27, s24 dst_sel:DWORD dst_unused:UNUSED_PAD src0_sel:WORD_1 src1_sel:DWORD
	;; [unrolled: 2-line block ×4, first 2 shown]
	s_waitcnt lgkmcnt(1)
	v_pk_fma_f16 v63, v22, v73, v63
	v_pk_fma_f16 v64, v22, v26, v64
	;; [unrolled: 1-line block ×16, first 2 shown]
	s_waitcnt lgkmcnt(0)
	v_mul_u32_u24_sdwa v29, v30, s24 dst_sel:DWORD dst_unused:UNUSED_PAD src0_sel:WORD_0 src1_sel:DWORD
	v_mul_u32_u24_sdwa v30, v30, s24 dst_sel:DWORD dst_unused:UNUSED_PAD src0_sel:WORD_1 src1_sel:DWORD
	v_mul_u32_u24_sdwa v37, v31, s24 dst_sel:DWORD dst_unused:UNUSED_PAD src0_sel:WORD_0 src1_sel:DWORD
	v_mul_u32_u24_sdwa v31, v31, s24 dst_sel:DWORD dst_unused:UNUSED_PAD src0_sel:WORD_1 src1_sel:DWORD
	;; [unrolled: 2-line block ×3, first 2 shown]
	v_pk_fma_f16 v63, v24, v29, v63
	v_pk_fma_f16 v70, v25, v29, v70
	v_pk_fma_f16 v72, v25, v30, v26
	v_pk_fma_f16 v74, v25, v31, v27
	v_pk_fma_f16 v76, v25, v32, v28
	ds_read_b128 v[26:29], v57 offset:704
	v_mul_u32_u24_sdwa v39, v33, s24 dst_sel:DWORD dst_unused:UNUSED_PAD src0_sel:WORD_0 src1_sel:DWORD
	v_mul_u32_u24_sdwa v33, v33, s24 dst_sel:DWORD dst_unused:UNUSED_PAD src0_sel:WORD_1 src1_sel:DWORD
	v_pk_fma_f16 v64, v24, v30, v64
	v_pk_fma_f16 v65, v24, v37, v65
	;; [unrolled: 1-line block ×11, first 2 shown]
	ds_read2_b64 v[22:25], v21 offset0:128 offset1:160
	ds_read_b128 v[30:33], v57 offset:720
	s_or_b32 s6, s2, 48
	s_mul_hi_i32 s7, s6, s11
	s_mul_i32 s6, s6, s11
	s_waitcnt lgkmcnt(2)
	v_mul_u32_u24_sdwa v34, v26, s24 dst_sel:DWORD dst_unused:UNUSED_PAD src0_sel:WORD_0 src1_sel:DWORD
	v_mul_u32_u24_sdwa v79, v26, s24 dst_sel:DWORD dst_unused:UNUSED_PAD src0_sel:WORD_1 src1_sel:DWORD
	v_mul_u32_u24_sdwa v86, v27, s24 dst_sel:DWORD dst_unused:UNUSED_PAD src0_sel:WORD_0 src1_sel:DWORD
	v_mul_u32_u24_sdwa v87, v27, s24 dst_sel:DWORD dst_unused:UNUSED_PAD src0_sel:WORD_1 src1_sel:DWORD
	;; [unrolled: 2-line block ×4, first 2 shown]
	v_lshl_add_u64 v[38:39], s[6:7], 2, v[18:19]
	s_waitcnt lgkmcnt(1)
	v_pk_fma_f16 v63, v22, v34, v63
	v_pk_fma_f16 v92, v22, v79, v64
	;; [unrolled: 1-line block ×9, first 2 shown]
	ds_read2_b64 v[26:29], v21 offset0:192 offset1:224
	ds_read_b128 v[34:37], v57 offset:736
	ds_read_b128 v[64:67], v57 offset:752
	s_waitcnt lgkmcnt(0)
	s_barrier
	global_load_dwordx4 v[68:71], v[38:39], off
	v_pk_fma_f16 v38, v23, v79, v72
	v_pk_fma_f16 v39, v23, v86, v73
	v_pk_fma_f16 v72, v23, v87, v74
	v_pk_fma_f16 v73, v23, v88, v75
	v_pk_fma_f16 v74, v23, v89, v76
	v_pk_fma_f16 v75, v23, v90, v77
	v_pk_fma_f16 v23, v23, v91, v78
	v_mul_u32_u24_sdwa v76, v30, s24 dst_sel:DWORD dst_unused:UNUSED_PAD src0_sel:WORD_0 src1_sel:DWORD
	v_mul_u32_u24_sdwa v30, v30, s24 dst_sel:DWORD dst_unused:UNUSED_PAD src0_sel:WORD_1 src1_sel:DWORD
	v_mul_u32_u24_sdwa v77, v31, s24 dst_sel:DWORD dst_unused:UNUSED_PAD src0_sel:WORD_0 src1_sel:DWORD
	v_mul_u32_u24_sdwa v31, v31, s24 dst_sel:DWORD dst_unused:UNUSED_PAD src0_sel:WORD_1 src1_sel:DWORD
	v_mul_u32_u24_sdwa v78, v32, s24 dst_sel:DWORD dst_unused:UNUSED_PAD src0_sel:WORD_0 src1_sel:DWORD
	v_mul_u32_u24_sdwa v32, v32, s24 dst_sel:DWORD dst_unused:UNUSED_PAD src0_sel:WORD_1 src1_sel:DWORD
	v_mul_u32_u24_sdwa v79, v33, s24 dst_sel:DWORD dst_unused:UNUSED_PAD src0_sel:WORD_0 src1_sel:DWORD
	v_mul_u32_u24_sdwa v33, v33, s24 dst_sel:DWORD dst_unused:UNUSED_PAD src0_sel:WORD_1 src1_sel:DWORD
	v_pk_fma_f16 v63, v24, v76, v63
	v_pk_fma_f16 v86, v24, v30, v92
	v_pk_fma_f16 v87, v24, v77, v93
	v_pk_fma_f16 v88, v24, v31, v94
	v_pk_fma_f16 v89, v24, v78, v95
	v_pk_fma_f16 v90, v24, v32, v96
	v_pk_fma_f16 v91, v24, v79, v97
	v_pk_fma_f16 v22, v24, v33, v22
	v_pk_fma_f16 v24, v25, v76, v98
	v_pk_fma_f16 v30, v25, v30, v38
	v_pk_fma_f16 v38, v25, v77, v39
	v_pk_fma_f16 v31, v25, v31, v72
	v_pk_fma_f16 v39, v25, v78, v73
	v_pk_fma_f16 v32, v25, v32, v74
	v_pk_fma_f16 v72, v25, v79, v75
	v_pk_fma_f16 v23, v25, v33, v23
	v_mul_u32_u24_sdwa v25, v34, s24 dst_sel:DWORD dst_unused:UNUSED_PAD src0_sel:WORD_0 src1_sel:DWORD
	v_mul_u32_u24_sdwa v33, v34, s24 dst_sel:DWORD dst_unused:UNUSED_PAD src0_sel:WORD_1 src1_sel:DWORD
	v_mul_u32_u24_sdwa v34, v35, s24 dst_sel:DWORD dst_unused:UNUSED_PAD src0_sel:WORD_0 src1_sel:DWORD
	v_mul_u32_u24_sdwa v35, v35, s24 dst_sel:DWORD dst_unused:UNUSED_PAD src0_sel:WORD_1 src1_sel:DWORD
	v_mul_u32_u24_sdwa v73, v36, s24 dst_sel:DWORD dst_unused:UNUSED_PAD src0_sel:WORD_0 src1_sel:DWORD
	v_mul_u32_u24_sdwa v36, v36, s24 dst_sel:DWORD dst_unused:UNUSED_PAD src0_sel:WORD_1 src1_sel:DWORD
	v_mul_u32_u24_sdwa v74, v37, s24 dst_sel:DWORD dst_unused:UNUSED_PAD src0_sel:WORD_0 src1_sel:DWORD
	v_mul_u32_u24_sdwa v37, v37, s24 dst_sel:DWORD dst_unused:UNUSED_PAD src0_sel:WORD_1 src1_sel:DWORD
	v_pk_fma_f16 v63, v26, v25, v63
	v_pk_fma_f16 v75, v26, v33, v86
	v_pk_fma_f16 v76, v26, v34, v87
	v_pk_fma_f16 v77, v26, v35, v88
	v_pk_fma_f16 v78, v26, v73, v89
	v_pk_fma_f16 v79, v26, v36, v90
	v_pk_fma_f16 v86, v26, v74, v91
	v_pk_fma_f16 v22, v26, v37, v22
	v_pk_fma_f16 v24, v27, v25, v24
	;; [unrolled: 24-line block ×3, first 2 shown]
	v_pk_fma_f16 v86, v29, v34, v25
	v_pk_fma_f16 v87, v29, v35, v26
	;; [unrolled: 1-line block ×7, first 2 shown]
	s_waitcnt vmcnt(0)
	ds_write_b128 v58, v[68:71]
	s_waitcnt lgkmcnt(0)
	s_barrier
	ds_read_b128 v[22:25], v57 offset:768
	ds_read2_b64 v[26:29], v59 offset1:32
	ds_read_b128 v[30:33], v57 offset:784
	ds_read_b128 v[34:37], v57 offset:800
	;; [unrolled: 1-line block ×3, first 2 shown]
	s_waitcnt lgkmcnt(4)
	v_mul_u32_u24_sdwa v68, v22, s24 dst_sel:DWORD dst_unused:UNUSED_PAD src0_sel:WORD_0 src1_sel:DWORD
	v_mul_u32_u24_sdwa v22, v22, s24 dst_sel:DWORD dst_unused:UNUSED_PAD src0_sel:WORD_1 src1_sel:DWORD
	v_mul_u32_u24_sdwa v69, v23, s24 dst_sel:DWORD dst_unused:UNUSED_PAD src0_sel:WORD_0 src1_sel:DWORD
	v_mul_u32_u24_sdwa v23, v23, s24 dst_sel:DWORD dst_unused:UNUSED_PAD src0_sel:WORD_1 src1_sel:DWORD
	;; [unrolled: 2-line block ×4, first 2 shown]
	s_waitcnt lgkmcnt(3)
	v_pk_fma_f16 v63, v26, v68, v63
	v_pk_fma_f16 v72, v26, v22, v72
	;; [unrolled: 1-line block ×16, first 2 shown]
	s_waitcnt lgkmcnt(2)
	v_mul_u32_u24_sdwa v27, v30, s24 dst_sel:DWORD dst_unused:UNUSED_PAD src0_sel:WORD_0 src1_sel:DWORD
	v_mul_u32_u24_sdwa v30, v30, s24 dst_sel:DWORD dst_unused:UNUSED_PAD src0_sel:WORD_1 src1_sel:DWORD
	v_mul_u32_u24_sdwa v39, v31, s24 dst_sel:DWORD dst_unused:UNUSED_PAD src0_sel:WORD_0 src1_sel:DWORD
	v_mul_u32_u24_sdwa v31, v31, s24 dst_sel:DWORD dst_unused:UNUSED_PAD src0_sel:WORD_1 src1_sel:DWORD
	;; [unrolled: 2-line block ×4, first 2 shown]
	v_pk_fma_f16 v63, v28, v27, v63
	v_pk_fma_f16 v72, v28, v30, v72
	;; [unrolled: 1-line block ×16, first 2 shown]
	ds_read2_b64 v[22:25], v59 offset0:64 offset1:96
	s_waitcnt lgkmcnt(2)
	v_mul_u32_u24_sdwa v33, v34, s24 dst_sel:DWORD dst_unused:UNUSED_PAD src0_sel:WORD_0 src1_sel:DWORD
	v_mul_u32_u24_sdwa v34, v34, s24 dst_sel:DWORD dst_unused:UNUSED_PAD src0_sel:WORD_1 src1_sel:DWORD
	v_mul_u32_u24_sdwa v68, v35, s24 dst_sel:DWORD dst_unused:UNUSED_PAD src0_sel:WORD_0 src1_sel:DWORD
	v_mul_u32_u24_sdwa v35, v35, s24 dst_sel:DWORD dst_unused:UNUSED_PAD src0_sel:WORD_1 src1_sel:DWORD
	;; [unrolled: 2-line block ×4, first 2 shown]
	s_waitcnt lgkmcnt(0)
	v_pk_fma_f16 v63, v22, v33, v63
	v_pk_fma_f16 v71, v22, v34, v72
	v_pk_fma_f16 v72, v22, v68, v73
	v_pk_fma_f16 v73, v22, v35, v74
	v_pk_fma_f16 v74, v22, v69, v75
	v_pk_fma_f16 v75, v22, v36, v76
	v_pk_fma_f16 v76, v22, v70, v77
	v_pk_fma_f16 v22, v22, v37, v26
	v_pk_fma_f16 v26, v23, v33, v27
	v_pk_fma_f16 v27, v23, v34, v28
	v_pk_fma_f16 v28, v23, v68, v30
	v_pk_fma_f16 v30, v23, v35, v31
	v_pk_fma_f16 v31, v23, v69, v39
	v_pk_fma_f16 v32, v23, v36, v32
	v_pk_fma_f16 v33, v23, v70, v38
	v_pk_fma_f16 v23, v23, v37, v29
	v_mul_u32_u24_sdwa v29, v64, s24 dst_sel:DWORD dst_unused:UNUSED_PAD src0_sel:WORD_0 src1_sel:DWORD
	v_mul_u32_u24_sdwa v34, v64, s24 dst_sel:DWORD dst_unused:UNUSED_PAD src0_sel:WORD_1 src1_sel:DWORD
	v_mul_u32_u24_sdwa v35, v65, s24 dst_sel:DWORD dst_unused:UNUSED_PAD src0_sel:WORD_0 src1_sel:DWORD
	v_mul_u32_u24_sdwa v36, v65, s24 dst_sel:DWORD dst_unused:UNUSED_PAD src0_sel:WORD_1 src1_sel:DWORD
	v_mul_u32_u24_sdwa v37, v66, s24 dst_sel:DWORD dst_unused:UNUSED_PAD src0_sel:WORD_0 src1_sel:DWORD
	v_mul_u32_u24_sdwa v38, v66, s24 dst_sel:DWORD dst_unused:UNUSED_PAD src0_sel:WORD_1 src1_sel:DWORD
	v_mul_u32_u24_sdwa v39, v67, s24 dst_sel:DWORD dst_unused:UNUSED_PAD src0_sel:WORD_0 src1_sel:DWORD
	v_mul_u32_u24_sdwa v64, v67, s24 dst_sel:DWORD dst_unused:UNUSED_PAD src0_sel:WORD_1 src1_sel:DWORD
	v_pk_fma_f16 v63, v24, v29, v63
	v_pk_fma_f16 v65, v24, v34, v71
	;; [unrolled: 1-line block ×6, first 2 shown]
	ds_read_b128 v[26:29], v57 offset:832
	v_pk_fma_f16 v67, v24, v36, v73
	v_pk_fma_f16 v68, v24, v37, v74
	;; [unrolled: 1-line block ×10, first 2 shown]
	ds_read2_b64 v[22:25], v59 offset0:128 offset1:160
	ds_read_b128 v[30:33], v57 offset:848
	s_waitcnt lgkmcnt(2)
	v_mul_u32_u24_sdwa v73, v26, s24 dst_sel:DWORD dst_unused:UNUSED_PAD src0_sel:WORD_0 src1_sel:DWORD
	v_mul_u32_u24_sdwa v26, v26, s24 dst_sel:DWORD dst_unused:UNUSED_PAD src0_sel:WORD_1 src1_sel:DWORD
	v_mul_u32_u24_sdwa v74, v27, s24 dst_sel:DWORD dst_unused:UNUSED_PAD src0_sel:WORD_0 src1_sel:DWORD
	v_mul_u32_u24_sdwa v27, v27, s24 dst_sel:DWORD dst_unused:UNUSED_PAD src0_sel:WORD_1 src1_sel:DWORD
	;; [unrolled: 2-line block ×4, first 2 shown]
	s_waitcnt lgkmcnt(1)
	v_pk_fma_f16 v63, v22, v73, v63
	v_pk_fma_f16 v65, v22, v26, v65
	v_pk_fma_f16 v66, v22, v74, v66
	v_pk_fma_f16 v67, v22, v27, v67
	v_pk_fma_f16 v68, v22, v75, v68
	v_pk_fma_f16 v69, v22, v28, v69
	v_pk_fma_f16 v70, v22, v76, v70
	v_pk_fma_f16 v22, v22, v29, v71
	v_pk_fma_f16 v71, v23, v73, v72
	v_pk_fma_f16 v26, v23, v26, v34
	v_pk_fma_f16 v34, v23, v74, v35
	v_pk_fma_f16 v27, v23, v27, v36
	v_pk_fma_f16 v35, v23, v75, v37
	v_pk_fma_f16 v28, v23, v28, v38
	v_pk_fma_f16 v36, v23, v76, v39
	v_pk_fma_f16 v23, v23, v29, v64
	s_waitcnt lgkmcnt(0)
	v_mul_u32_u24_sdwa v29, v30, s24 dst_sel:DWORD dst_unused:UNUSED_PAD src0_sel:WORD_0 src1_sel:DWORD
	v_mul_u32_u24_sdwa v30, v30, s24 dst_sel:DWORD dst_unused:UNUSED_PAD src0_sel:WORD_1 src1_sel:DWORD
	v_mul_u32_u24_sdwa v37, v31, s24 dst_sel:DWORD dst_unused:UNUSED_PAD src0_sel:WORD_0 src1_sel:DWORD
	v_mul_u32_u24_sdwa v31, v31, s24 dst_sel:DWORD dst_unused:UNUSED_PAD src0_sel:WORD_1 src1_sel:DWORD
	;; [unrolled: 2-line block ×4, first 2 shown]
	v_pk_fma_f16 v63, v24, v29, v63
	v_pk_fma_f16 v64, v24, v30, v65
	;; [unrolled: 1-line block ×11, first 2 shown]
	ds_read_b128 v[26:29], v57 offset:864
	v_pk_fma_f16 v68, v24, v32, v69
	v_pk_fma_f16 v69, v24, v39, v70
	;; [unrolled: 1-line block ×5, first 2 shown]
	ds_read2_b64 v[22:25], v59 offset0:192 offset1:224
	ds_read_b128 v[30:33], v57 offset:880
	s_waitcnt lgkmcnt(2)
	v_mul_u32_u24_sdwa v73, v26, s24 dst_sel:DWORD dst_unused:UNUSED_PAD src0_sel:WORD_0 src1_sel:DWORD
	v_mul_u32_u24_sdwa v26, v26, s24 dst_sel:DWORD dst_unused:UNUSED_PAD src0_sel:WORD_1 src1_sel:DWORD
	v_mul_u32_u24_sdwa v74, v27, s24 dst_sel:DWORD dst_unused:UNUSED_PAD src0_sel:WORD_0 src1_sel:DWORD
	v_mul_u32_u24_sdwa v27, v27, s24 dst_sel:DWORD dst_unused:UNUSED_PAD src0_sel:WORD_1 src1_sel:DWORD
	;; [unrolled: 2-line block ×4, first 2 shown]
	s_waitcnt lgkmcnt(1)
	v_pk_fma_f16 v63, v22, v73, v63
	v_pk_fma_f16 v64, v22, v26, v64
	;; [unrolled: 1-line block ×16, first 2 shown]
	s_waitcnt lgkmcnt(0)
	v_mul_u32_u24_sdwa v29, v30, s24 dst_sel:DWORD dst_unused:UNUSED_PAD src0_sel:WORD_0 src1_sel:DWORD
	v_mul_u32_u24_sdwa v30, v30, s24 dst_sel:DWORD dst_unused:UNUSED_PAD src0_sel:WORD_1 src1_sel:DWORD
	v_mul_u32_u24_sdwa v37, v31, s24 dst_sel:DWORD dst_unused:UNUSED_PAD src0_sel:WORD_0 src1_sel:DWORD
	v_mul_u32_u24_sdwa v31, v31, s24 dst_sel:DWORD dst_unused:UNUSED_PAD src0_sel:WORD_1 src1_sel:DWORD
	;; [unrolled: 2-line block ×4, first 2 shown]
	v_pk_fma_f16 v63, v24, v29, v63
	v_pk_fma_f16 v65, v24, v37, v65
	;; [unrolled: 1-line block ×9, first 2 shown]
	ds_read_b128 v[26:29], v57 offset:896
	v_pk_fma_f16 v64, v24, v30, v64
	v_pk_fma_f16 v66, v24, v31, v66
	;; [unrolled: 1-line block ×7, first 2 shown]
	ds_read2_b64 v[22:25], v21 offset1:32
	ds_read_b128 v[30:33], v57 offset:912
	s_waitcnt lgkmcnt(2)
	v_mul_u32_u24_sdwa v73, v26, s24 dst_sel:DWORD dst_unused:UNUSED_PAD src0_sel:WORD_0 src1_sel:DWORD
	v_mul_u32_u24_sdwa v26, v26, s24 dst_sel:DWORD dst_unused:UNUSED_PAD src0_sel:WORD_1 src1_sel:DWORD
	v_mul_u32_u24_sdwa v74, v27, s24 dst_sel:DWORD dst_unused:UNUSED_PAD src0_sel:WORD_0 src1_sel:DWORD
	v_mul_u32_u24_sdwa v27, v27, s24 dst_sel:DWORD dst_unused:UNUSED_PAD src0_sel:WORD_1 src1_sel:DWORD
	;; [unrolled: 2-line block ×4, first 2 shown]
	s_waitcnt lgkmcnt(1)
	v_pk_fma_f16 v63, v22, v73, v63
	v_pk_fma_f16 v64, v22, v26, v64
	;; [unrolled: 1-line block ×16, first 2 shown]
	s_waitcnt lgkmcnt(0)
	v_mul_u32_u24_sdwa v29, v30, s24 dst_sel:DWORD dst_unused:UNUSED_PAD src0_sel:WORD_0 src1_sel:DWORD
	v_mul_u32_u24_sdwa v30, v30, s24 dst_sel:DWORD dst_unused:UNUSED_PAD src0_sel:WORD_1 src1_sel:DWORD
	v_mul_u32_u24_sdwa v37, v31, s24 dst_sel:DWORD dst_unused:UNUSED_PAD src0_sel:WORD_0 src1_sel:DWORD
	v_mul_u32_u24_sdwa v31, v31, s24 dst_sel:DWORD dst_unused:UNUSED_PAD src0_sel:WORD_1 src1_sel:DWORD
	;; [unrolled: 2-line block ×4, first 2 shown]
	v_pk_fma_f16 v63, v24, v29, v63
	v_pk_fma_f16 v65, v24, v37, v65
	;; [unrolled: 1-line block ×9, first 2 shown]
	ds_read_b128 v[26:29], v57 offset:928
	v_pk_fma_f16 v64, v24, v30, v64
	v_pk_fma_f16 v66, v24, v31, v66
	;; [unrolled: 1-line block ×7, first 2 shown]
	ds_read2_b64 v[22:25], v21 offset0:64 offset1:96
	ds_read_b128 v[30:33], v57 offset:944
	s_waitcnt lgkmcnt(2)
	v_mul_u32_u24_sdwa v73, v26, s24 dst_sel:DWORD dst_unused:UNUSED_PAD src0_sel:WORD_0 src1_sel:DWORD
	v_mul_u32_u24_sdwa v26, v26, s24 dst_sel:DWORD dst_unused:UNUSED_PAD src0_sel:WORD_1 src1_sel:DWORD
	v_mul_u32_u24_sdwa v74, v27, s24 dst_sel:DWORD dst_unused:UNUSED_PAD src0_sel:WORD_0 src1_sel:DWORD
	v_mul_u32_u24_sdwa v27, v27, s24 dst_sel:DWORD dst_unused:UNUSED_PAD src0_sel:WORD_1 src1_sel:DWORD
	;; [unrolled: 2-line block ×4, first 2 shown]
	s_waitcnt lgkmcnt(1)
	v_pk_fma_f16 v63, v22, v73, v63
	v_pk_fma_f16 v64, v22, v26, v64
	;; [unrolled: 1-line block ×16, first 2 shown]
	s_waitcnt lgkmcnt(0)
	v_mul_u32_u24_sdwa v29, v30, s24 dst_sel:DWORD dst_unused:UNUSED_PAD src0_sel:WORD_0 src1_sel:DWORD
	v_mul_u32_u24_sdwa v30, v30, s24 dst_sel:DWORD dst_unused:UNUSED_PAD src0_sel:WORD_1 src1_sel:DWORD
	v_mul_u32_u24_sdwa v37, v31, s24 dst_sel:DWORD dst_unused:UNUSED_PAD src0_sel:WORD_0 src1_sel:DWORD
	v_mul_u32_u24_sdwa v31, v31, s24 dst_sel:DWORD dst_unused:UNUSED_PAD src0_sel:WORD_1 src1_sel:DWORD
	;; [unrolled: 2-line block ×4, first 2 shown]
	v_pk_fma_f16 v63, v24, v29, v63
	v_pk_fma_f16 v65, v24, v37, v65
	;; [unrolled: 1-line block ×9, first 2 shown]
	ds_read_b128 v[26:29], v57 offset:960
	v_pk_fma_f16 v64, v24, v30, v64
	v_pk_fma_f16 v66, v24, v31, v66
	;; [unrolled: 1-line block ×7, first 2 shown]
	ds_read2_b64 v[22:25], v21 offset0:128 offset1:160
	ds_read_b128 v[30:33], v57 offset:976
	s_waitcnt lgkmcnt(2)
	v_mul_u32_u24_sdwa v73, v26, s24 dst_sel:DWORD dst_unused:UNUSED_PAD src0_sel:WORD_0 src1_sel:DWORD
	v_mul_u32_u24_sdwa v26, v26, s24 dst_sel:DWORD dst_unused:UNUSED_PAD src0_sel:WORD_1 src1_sel:DWORD
	v_mul_u32_u24_sdwa v74, v27, s24 dst_sel:DWORD dst_unused:UNUSED_PAD src0_sel:WORD_0 src1_sel:DWORD
	v_mul_u32_u24_sdwa v27, v27, s24 dst_sel:DWORD dst_unused:UNUSED_PAD src0_sel:WORD_1 src1_sel:DWORD
	;; [unrolled: 2-line block ×4, first 2 shown]
	s_waitcnt lgkmcnt(1)
	v_pk_fma_f16 v63, v22, v73, v63
	v_pk_fma_f16 v64, v22, v26, v64
	;; [unrolled: 1-line block ×16, first 2 shown]
	s_waitcnt lgkmcnt(0)
	v_mul_u32_u24_sdwa v29, v30, s24 dst_sel:DWORD dst_unused:UNUSED_PAD src0_sel:WORD_0 src1_sel:DWORD
	v_mul_u32_u24_sdwa v30, v30, s24 dst_sel:DWORD dst_unused:UNUSED_PAD src0_sel:WORD_1 src1_sel:DWORD
	v_mul_u32_u24_sdwa v37, v31, s24 dst_sel:DWORD dst_unused:UNUSED_PAD src0_sel:WORD_0 src1_sel:DWORD
	v_mul_u32_u24_sdwa v31, v31, s24 dst_sel:DWORD dst_unused:UNUSED_PAD src0_sel:WORD_1 src1_sel:DWORD
	;; [unrolled: 2-line block ×4, first 2 shown]
	v_pk_fma_f16 v63, v24, v29, v63
	v_pk_fma_f16 v64, v24, v30, v64
	;; [unrolled: 1-line block ×14, first 2 shown]
	ds_read_b128 v[26:29], v57 offset:992
	v_pk_fma_f16 v36, v25, v39, v36
	v_pk_fma_f16 v39, v25, v33, v23
	ds_read2_b64 v[22:25], v21 offset0:192 offset1:224
	ds_read_b128 v[30:33], v57 offset:1008
	s_waitcnt lgkmcnt(0)
	s_barrier
	s_load_dword s6, s[4:5], 0x4
	v_mul_u32_u24_sdwa v21, v26, s24 dst_sel:DWORD dst_unused:UNUSED_PAD src0_sel:WORD_0 src1_sel:DWORD
	v_mul_u32_u24_sdwa v26, v26, s24 dst_sel:DWORD dst_unused:UNUSED_PAD src0_sel:WORD_1 src1_sel:DWORD
	v_mul_u32_u24_sdwa v73, v27, s24 dst_sel:DWORD dst_unused:UNUSED_PAD src0_sel:WORD_0 src1_sel:DWORD
	v_mul_u32_u24_sdwa v27, v27, s24 dst_sel:DWORD dst_unused:UNUSED_PAD src0_sel:WORD_1 src1_sel:DWORD
	;; [unrolled: 2-line block ×4, first 2 shown]
	s_waitcnt lgkmcnt(0)
	s_lshl_b32 s6, s6, 6
	v_pk_fma_f16 v63, v22, v21, v63
	v_pk_fma_f16 v64, v22, v26, v64
	;; [unrolled: 1-line block ×16, first 2 shown]
	v_mul_u32_u24_sdwa v29, v30, s24 dst_sel:DWORD dst_unused:UNUSED_PAD src0_sel:WORD_0 src1_sel:DWORD
	v_mul_u32_u24_sdwa v36, v30, s24 dst_sel:DWORD dst_unused:UNUSED_PAD src0_sel:WORD_1 src1_sel:DWORD
	v_mul_u32_u24_sdwa v72, v31, s24 dst_sel:DWORD dst_unused:UNUSED_PAD src0_sel:WORD_0 src1_sel:DWORD
	v_mul_u32_u24_sdwa v73, v31, s24 dst_sel:DWORD dst_unused:UNUSED_PAD src0_sel:WORD_1 src1_sel:DWORD
	;; [unrolled: 2-line block ×4, first 2 shown]
	s_add_i32 s2, s6, s2
	v_pk_fma_f16 v38, v24, v29, v63
	v_pk_fma_f16 v30, v24, v36, v64
	;; [unrolled: 1-line block ×15, first 2 shown]
	s_cmp_ge_i32 s2, s30
	v_pk_fma_f16 v21, v25, v77, v23
	s_cbranch_scc1 .LBB75_7
; %bb.114:                              ;   in Loop: Header=BB75_49 Depth=1
	v_mov_b32_e32 v22, v0
	v_mov_b32_e32 v23, v1
	;; [unrolled: 1-line block ×8, first 2 shown]
	s_branch .LBB75_49
	.section	.rodata,"a",@progbits
	.p2align	6, 0x0
	.amdhsa_kernel _ZL15flash_attn_tileILi128ELi128ELi16ELi4ELb1EEvPKcS1_S1_S1_S1_PKiPfP15HIP_vector_typeIfLj2EEffffjfiS5_IjLj3EEiiiiiiiiiiiliiliiiiil
		.amdhsa_group_segment_fixed_size 29696
		.amdhsa_private_segment_fixed_size 0
		.amdhsa_kernarg_size 464
		.amdhsa_user_sgpr_count 2
		.amdhsa_user_sgpr_dispatch_ptr 0
		.amdhsa_user_sgpr_queue_ptr 0
		.amdhsa_user_sgpr_kernarg_segment_ptr 1
		.amdhsa_user_sgpr_dispatch_id 0
		.amdhsa_user_sgpr_kernarg_preload_length 0
		.amdhsa_user_sgpr_kernarg_preload_offset 0
		.amdhsa_user_sgpr_private_segment_size 0
		.amdhsa_uses_dynamic_stack 0
		.amdhsa_enable_private_segment 0
		.amdhsa_system_sgpr_workgroup_id_x 1
		.amdhsa_system_sgpr_workgroup_id_y 1
		.amdhsa_system_sgpr_workgroup_id_z 1
		.amdhsa_system_sgpr_workgroup_info 0
		.amdhsa_system_vgpr_workitem_id 1
		.amdhsa_next_free_vgpr 118
		.amdhsa_next_free_sgpr 96
		.amdhsa_accum_offset 120
		.amdhsa_reserve_vcc 1
		.amdhsa_float_round_mode_32 0
		.amdhsa_float_round_mode_16_64 0
		.amdhsa_float_denorm_mode_32 3
		.amdhsa_float_denorm_mode_16_64 3
		.amdhsa_dx10_clamp 1
		.amdhsa_ieee_mode 1
		.amdhsa_fp16_overflow 0
		.amdhsa_tg_split 0
		.amdhsa_exception_fp_ieee_invalid_op 0
		.amdhsa_exception_fp_denorm_src 0
		.amdhsa_exception_fp_ieee_div_zero 0
		.amdhsa_exception_fp_ieee_overflow 0
		.amdhsa_exception_fp_ieee_underflow 0
		.amdhsa_exception_fp_ieee_inexact 0
		.amdhsa_exception_int_div_zero 0
	.end_amdhsa_kernel
	.section	.text._ZL15flash_attn_tileILi128ELi128ELi16ELi4ELb1EEvPKcS1_S1_S1_S1_PKiPfP15HIP_vector_typeIfLj2EEffffjfiS5_IjLj3EEiiiiiiiiiiiliiliiiiil,"axG",@progbits,_ZL15flash_attn_tileILi128ELi128ELi16ELi4ELb1EEvPKcS1_S1_S1_S1_PKiPfP15HIP_vector_typeIfLj2EEffffjfiS5_IjLj3EEiiiiiiiiiiiliiliiiiil,comdat
.Lfunc_end75:
	.size	_ZL15flash_attn_tileILi128ELi128ELi16ELi4ELb1EEvPKcS1_S1_S1_S1_PKiPfP15HIP_vector_typeIfLj2EEffffjfiS5_IjLj3EEiiiiiiiiiiiliiliiiiil, .Lfunc_end75-_ZL15flash_attn_tileILi128ELi128ELi16ELi4ELb1EEvPKcS1_S1_S1_S1_PKiPfP15HIP_vector_typeIfLj2EEffffjfiS5_IjLj3EEiiiiiiiiiiiliiliiiiil
                                        ; -- End function
	.set _ZL15flash_attn_tileILi128ELi128ELi16ELi4ELb1EEvPKcS1_S1_S1_S1_PKiPfP15HIP_vector_typeIfLj2EEffffjfiS5_IjLj3EEiiiiiiiiiiiliiliiiiil.num_vgpr, 118
	.set _ZL15flash_attn_tileILi128ELi128ELi16ELi4ELb1EEvPKcS1_S1_S1_S1_PKiPfP15HIP_vector_typeIfLj2EEffffjfiS5_IjLj3EEiiiiiiiiiiiliiliiiiil.num_agpr, 0
	.set _ZL15flash_attn_tileILi128ELi128ELi16ELi4ELb1EEvPKcS1_S1_S1_S1_PKiPfP15HIP_vector_typeIfLj2EEffffjfiS5_IjLj3EEiiiiiiiiiiiliiliiiiil.numbered_sgpr, 46
	.set _ZL15flash_attn_tileILi128ELi128ELi16ELi4ELb1EEvPKcS1_S1_S1_S1_PKiPfP15HIP_vector_typeIfLj2EEffffjfiS5_IjLj3EEiiiiiiiiiiiliiliiiiil.num_named_barrier, 0
	.set _ZL15flash_attn_tileILi128ELi128ELi16ELi4ELb1EEvPKcS1_S1_S1_S1_PKiPfP15HIP_vector_typeIfLj2EEffffjfiS5_IjLj3EEiiiiiiiiiiiliiliiiiil.private_seg_size, 0
	.set _ZL15flash_attn_tileILi128ELi128ELi16ELi4ELb1EEvPKcS1_S1_S1_S1_PKiPfP15HIP_vector_typeIfLj2EEffffjfiS5_IjLj3EEiiiiiiiiiiiliiliiiiil.uses_vcc, 1
	.set _ZL15flash_attn_tileILi128ELi128ELi16ELi4ELb1EEvPKcS1_S1_S1_S1_PKiPfP15HIP_vector_typeIfLj2EEffffjfiS5_IjLj3EEiiiiiiiiiiiliiliiiiil.uses_flat_scratch, 0
	.set _ZL15flash_attn_tileILi128ELi128ELi16ELi4ELb1EEvPKcS1_S1_S1_S1_PKiPfP15HIP_vector_typeIfLj2EEffffjfiS5_IjLj3EEiiiiiiiiiiiliiliiiiil.has_dyn_sized_stack, 0
	.set _ZL15flash_attn_tileILi128ELi128ELi16ELi4ELb1EEvPKcS1_S1_S1_S1_PKiPfP15HIP_vector_typeIfLj2EEffffjfiS5_IjLj3EEiiiiiiiiiiiliiliiiiil.has_recursion, 0
	.set _ZL15flash_attn_tileILi128ELi128ELi16ELi4ELb1EEvPKcS1_S1_S1_S1_PKiPfP15HIP_vector_typeIfLj2EEffffjfiS5_IjLj3EEiiiiiiiiiiiliiliiiiil.has_indirect_call, 0
	.section	.AMDGPU.csdata,"",@progbits
; Kernel info:
; codeLenInByte = 48652
; TotalNumSgprs: 52
; NumVgprs: 118
; NumAgprs: 0
; TotalNumVgprs: 118
; ScratchSize: 0
; MemoryBound: 0
; FloatMode: 240
; IeeeMode: 1
; LDSByteSize: 29696 bytes/workgroup (compile time only)
; SGPRBlocks: 12
; VGPRBlocks: 14
; NumSGPRsForWavesPerEU: 102
; NumVGPRsForWavesPerEU: 118
; AccumOffset: 120
; Occupancy: 4
; WaveLimiterHint : 1
; COMPUTE_PGM_RSRC2:SCRATCH_EN: 0
; COMPUTE_PGM_RSRC2:USER_SGPR: 2
; COMPUTE_PGM_RSRC2:TRAP_HANDLER: 0
; COMPUTE_PGM_RSRC2:TGID_X_EN: 1
; COMPUTE_PGM_RSRC2:TGID_Y_EN: 1
; COMPUTE_PGM_RSRC2:TGID_Z_EN: 1
; COMPUTE_PGM_RSRC2:TIDIG_COMP_CNT: 1
; COMPUTE_PGM_RSRC3_GFX90A:ACCUM_OFFSET: 29
; COMPUTE_PGM_RSRC3_GFX90A:TG_SPLIT: 0
	.section	.text._ZL15flash_attn_tileILi128ELi128ELi8ELi4ELb1EEvPKcS1_S1_S1_S1_PKiPfP15HIP_vector_typeIfLj2EEffffjfiS5_IjLj3EEiiiiiiiiiiiliiliiiiil,"axG",@progbits,_ZL15flash_attn_tileILi128ELi128ELi8ELi4ELb1EEvPKcS1_S1_S1_S1_PKiPfP15HIP_vector_typeIfLj2EEffffjfiS5_IjLj3EEiiiiiiiiiiiliiliiiiil,comdat
	.globl	_ZL15flash_attn_tileILi128ELi128ELi8ELi4ELb1EEvPKcS1_S1_S1_S1_PKiPfP15HIP_vector_typeIfLj2EEffffjfiS5_IjLj3EEiiiiiiiiiiiliiliiiiil ; -- Begin function _ZL15flash_attn_tileILi128ELi128ELi8ELi4ELb1EEvPKcS1_S1_S1_S1_PKiPfP15HIP_vector_typeIfLj2EEffffjfiS5_IjLj3EEiiiiiiiiiiiliiliiiiil
	.p2align	8
	.type	_ZL15flash_attn_tileILi128ELi128ELi8ELi4ELb1EEvPKcS1_S1_S1_S1_PKiPfP15HIP_vector_typeIfLj2EEffffjfiS5_IjLj3EEiiiiiiiiiiiliiliiiiil,@function
_ZL15flash_attn_tileILi128ELi128ELi8ELi4ELb1EEvPKcS1_S1_S1_S1_PKiPfP15HIP_vector_typeIfLj2EEffffjfiS5_IjLj3EEiiiiiiiiiiiliiliiiiil: ; @_ZL15flash_attn_tileILi128ELi128ELi8ELi4ELb1EEvPKcS1_S1_S1_S1_PKiPfP15HIP_vector_typeIfLj2EEffffjfiS5_IjLj3EEiiiiiiiiiiiliiliiiiil
; %bb.0:
	s_load_dwordx4 s[20:23], s[0:1], 0x5c
	s_load_dwordx2 s[30:31], s[0:1], 0x80
	s_load_dwordx2 s[36:37], s[0:1], 0xb8
	s_mov_b64 s[34:35], 0
	s_waitcnt lgkmcnt(0)
	s_ashr_i32 s5, s23, 31
	s_lshr_b32 s5, s5, 30
	s_add_i32 s5, s23, s5
	s_ashr_i32 s5, s5, 2
	v_cvt_f32_u32_e32 v1, s5
	s_sub_i32 s6, 0, s5
	v_rcp_iflag_f32_e32 v1, v1
	s_nop 0
	v_mul_f32_e32 v1, 0x4f7ffffe, v1
	v_cvt_u32_f32_e32 v1, v1
	s_nop 0
	v_readfirstlane_b32 s7, v1
	s_mul_i32 s6, s6, s7
	s_mul_hi_u32 s6, s7, s6
	s_add_i32 s7, s7, s6
	s_mul_hi_u32 s6, s4, s7
	s_mul_i32 s7, s6, s5
	s_sub_i32 s7, s4, s7
	s_add_i32 s8, s6, 1
	s_sub_i32 s9, s7, s5
	s_cmp_ge_u32 s7, s5
	s_cselect_b32 s6, s8, s6
	s_cselect_b32 s7, s9, s7
	s_add_i32 s8, s6, 1
	s_cmp_ge_u32 s7, s5
	s_cselect_b32 s33, s8, s6
	s_abs_i32 s5, s31
	v_cvt_f32_u32_e32 v1, s5
	s_lshl_b32 s4, s4, 2
	s_mul_i32 s8, s33, s23
	s_sub_i32 s9, 0, s5
	v_rcp_iflag_f32_e32 v1, v1
	s_sub_i32 s28, s4, s8
	s_abs_i32 s7, s23
	s_xor_b32 s6, s23, s31
	v_mul_f32_e32 v1, 0x4f7ffffe, v1
	v_cvt_u32_f32_e32 v1, v1
	s_ashr_i32 s6, s6, 31
	v_readfirstlane_b32 s4, v1
	s_mul_i32 s9, s9, s4
	s_mul_hi_u32 s8, s4, s9
	s_add_i32 s4, s4, s8
	s_mul_hi_u32 s4, s7, s4
	s_mul_i32 s8, s4, s5
	s_sub_i32 s7, s7, s8
	s_add_i32 s9, s4, 1
	s_sub_i32 s8, s7, s5
	s_cmp_ge_u32 s7, s5
	s_cselect_b32 s4, s9, s4
	s_cselect_b32 s7, s8, s7
	s_add_i32 s8, s4, 1
	s_cmp_ge_u32 s7, s5
	s_cselect_b32 s4, s8, s4
	s_xor_b32 s4, s4, s6
	s_sub_i32 s31, s4, s6
	s_abs_i32 s29, s31
	v_cvt_f32_u32_e32 v1, s29
	s_load_dwordx16 s[4:19], s[0:1], 0x0
	v_rcp_iflag_f32_e32 v1, v1
	s_waitcnt lgkmcnt(0)
	s_cmp_eq_u64 s[10:11], 0
	v_mul_f32_e32 v1, 0x4f7ffffe, v1
	v_cvt_u32_f32_e32 v1, v1
	s_nop 0
	v_readfirstlane_b32 s38, v1
	s_cbranch_scc1 .LBB76_2
; %bb.1:
	s_abs_i32 s26, s36
	v_cvt_f32_u32_e32 v1, s26
	s_sub_i32 s35, 0, s26
	s_abs_i32 s34, s33
	s_ashr_i32 s27, s33, 31
	v_rcp_iflag_f32_e32 v1, v1
	s_load_dwordx2 s[24:25], s[0:1], 0xc8
	v_mul_f32_e32 v1, 0x4f7ffffe, v1
	v_cvt_u32_f32_e32 v1, v1
	s_nop 0
	v_readfirstlane_b32 s36, v1
	s_mul_i32 s35, s35, s36
	s_mul_hi_u32 s35, s36, s35
	s_add_i32 s36, s36, s35
	s_mul_hi_u32 s35, s34, s36
	s_mul_i32 s35, s35, s26
	s_sub_i32 s34, s34, s35
	s_sub_i32 s35, s34, s26
	s_cmp_ge_u32 s34, s26
	s_cselect_b32 s34, s35, s34
	s_sub_i32 s35, s34, s26
	s_cmp_ge_u32 s34, s26
	s_cselect_b32 s26, s35, s34
	s_xor_b32 s26, s26, s27
	s_sub_i32 s26, s26, s27
	s_ashr_i32 s27, s26, 31
	s_waitcnt lgkmcnt(0)
	s_mul_hi_u32 s34, s24, s26
	s_mul_i32 s27, s24, s27
	s_mul_i32 s25, s25, s26
	s_add_i32 s27, s34, s27
	s_add_i32 s27, s27, s25
	s_mul_i32 s24, s24, s26
	s_add_u32 s34, s10, s24
	s_addc_u32 s35, s11, s27
.LBB76_2:
	s_load_dwordx4 s[24:27], s[0:1], 0x70
	v_bfe_u32 v1, v0, 10, 10
	v_lshl_add_u32 v5, s2, 3, v1
	v_mul_hi_u32 v2, s20, v5
	v_add_u32_e32 v2, v5, v2
	s_waitcnt lgkmcnt(0)
	s_mul_i32 s10, s33, s26
	s_ashr_i32 s26, s10, 31
	s_mul_i32 s11, s28, s25
	s_add_u32 s4, s4, s10
	s_addc_u32 s5, s5, s26
	s_ashr_i32 s10, s11, 31
	s_add_u32 s4, s4, s11
	v_lshrrev_b32_e32 v2, s21, v2
	s_addc_u32 s5, s5, s10
	v_mul_lo_u32 v2, v2, s22
	s_ashr_i32 s11, s24, 31
	s_mov_b32 s10, s24
	v_sub_u32_e32 v2, v5, v2
	s_lshr_b64 s[20:21], s[10:11], 2
	v_mad_u64_u32 v[6:7], s[20:21], s20, v2, 0
	v_mov_b32_e32 v4, v7
	s_lshr_b32 s10, s11, 2
	v_mad_u64_u32 v[8:9], s[10:11], s10, v2, v[4:5]
	v_mov_b32_e32 v7, v8
	v_and_b32_e32 v4, 0x3ff, v0
	v_lshl_add_u64 v[6:7], v[6:7], 2, s[4:5]
	v_lshlrev_b32_e32 v8, 4, v4
	v_mov_b32_e32 v9, 0
	s_ashr_i32 s5, s25, 31
	s_mov_b32 s4, s25
	v_lshl_add_u64 v[18:19], v[6:7], 0, v[8:9]
	s_lshr_b64 s[10:11], s[4:5], 2
	s_and_b32 s4, s25, -4
	global_load_dwordx4 v[6:9], v[18:19], off
	v_lshl_add_u64 v[10:11], v[18:19], 0, s[4:5]
	v_lshl_add_u64 v[14:15], s[10:11], 3, v[18:19]
	v_mad_u64_u32 v[18:19], s[10:11], s10, 12, v[18:19]
	global_load_dwordx4 v[10:13], v[10:11], off
	v_mov_b32_e32 v0, v19
	global_load_dwordx4 v[14:17], v[14:15], off
	v_mad_u64_u32 v[20:21], s[4:5], s5, 12, v[0:1]
	v_mov_b32_e32 v19, v20
	global_load_dwordx4 v[18:21], v[18:19], off
	s_load_dword s4, s[0:1], 0x40
	v_mov_b32_e32 v0, 0x2400
	v_lshl_add_u32 v31, v1, 10, v0
	v_lshlrev_b32_e32 v32, 3, v4
	v_add_u32_e32 v0, v31, v32
	s_cmp_eq_u64 s[14:15], 0
	s_waitcnt vmcnt(3) lgkmcnt(0)
	v_fma_mixlo_f16 v3, s4, v6, 0
	v_fma_mixlo_f16 v6, s4, v7, 0
	;; [unrolled: 1-line block ×4, first 2 shown]
	v_lshlrev_b32_e32 v6, 16, v6
	v_and_b32_e32 v3, 0xffff, v3
	v_lshlrev_b32_e32 v8, 16, v8
	v_and_b32_e32 v7, 0xffff, v7
	s_waitcnt vmcnt(2)
	v_fma_mixlo_f16 v9, s4, v10, 0
	v_fma_mixlo_f16 v10, s4, v11, 0
	;; [unrolled: 1-line block ×4, first 2 shown]
	s_waitcnt vmcnt(1)
	v_fma_mixlo_f16 v13, s4, v14, 0
	v_fma_mixlo_f16 v14, s4, v15, 0
	v_or_b32_e32 v3, v6, v3
	v_or3_b32 v7, v8, v7, 0
	v_lshlrev_b32_e32 v8, 16, v10
	v_and_b32_e32 v9, 0xffff, v9
	v_fma_mixlo_f16 v15, s4, v16, 0
	v_fma_mixlo_f16 v16, s4, v17, 0
	v_lshlrev_b32_e32 v10, 16, v12
	v_and_b32_e32 v11, 0xffff, v11
	v_lshlrev_b32_e32 v12, 16, v14
	v_and_b32_e32 v13, 0xffff, v13
	v_or3_b32 v6, 0, 0, v3
	v_or_b32_e32 v3, v8, v9
	v_lshlrev_b32_e32 v14, 16, v16
	v_and_b32_e32 v15, 0xffff, v15
	v_or3_b32 v9, v10, v11, 0
	v_or_b32_e32 v10, v12, v13
	v_or3_b32 v8, 0, 0, v3
	s_waitcnt vmcnt(0)
	v_fma_mixlo_f16 v3, s4, v18, 0
	v_fma_mixlo_f16 v12, s4, v19, 0
	v_or3_b32 v11, v14, v15, 0
	v_fma_mixlo_f16 v13, s4, v20, 0
	v_fma_mixlo_f16 v14, s4, v21, 0
	ds_write2_b64 v0, v[6:7], v[8:9] offset1:32
	v_lshlrev_b32_e32 v6, 16, v12
	v_and_b32_e32 v3, 0xffff, v3
	v_lshlrev_b32_e32 v7, 16, v14
	v_and_b32_e32 v8, 0xffff, v13
	v_or_b32_e32 v3, v6, v3
	v_or3_b32 v10, 0, 0, v10
	v_or3_b32 v7, v7, v8, 0
	;; [unrolled: 1-line block ×3, first 2 shown]
	ds_write2_b64 v0, v[10:11], v[6:7] offset0:64 offset1:96
	s_waitcnt lgkmcnt(0)
	s_barrier
	s_cbranch_scc1 .LBB76_4
; %bb.3:
	s_load_dword s4, s[0:1], 0xd0
	s_mov_b32 s5, 0
	s_waitcnt lgkmcnt(0)
	s_mul_i32 s4, s4, s33
	s_add_i32 s4, s4, s2
	s_lshl_b64 s[4:5], s[4:5], 2
	s_add_u32 s4, s14, s4
	s_addc_u32 s5, s15, s5
	s_load_dword s30, s[4:5], 0x0
.LBB76_4:
	s_lshl_b32 s2, s3, 6
	s_waitcnt lgkmcnt(0)
	s_cmp_lt_i32 s2, s30
	v_mbcnt_lo_u32_b32 v0, -1, 0
	s_cbranch_scc1 .LBB76_27
; %bb.5:
	v_mbcnt_hi_u32_b32 v17, -1, v0
	v_and_b32_e32 v3, 0x60, v17
	v_add_u32_e32 v53, 32, v3
	v_xor_b32_e32 v56, 16, v17
	v_xor_b32_e32 v57, 8, v17
	;; [unrolled: 1-line block ×5, first 2 shown]
	v_lshlrev_b32_e32 v30, 2, v4
	s_cbranch_execz .LBB76_28
; %bb.6:
	v_mov_b32_e32 v7, 0
	v_mov_b32_e32 v46, 0
	;; [unrolled: 1-line block ×16, first 2 shown]
.LBB76_7:
	v_cmp_lt_i32_e32 vcc, v56, v53
	s_cmp_lg_u64 s[12:13], 0
	s_cselect_b64 s[4:5], -1, 0
	v_cndmask_b32_e32 v10, v17, v56, vcc
	v_cmp_lt_i32_e32 vcc, v57, v53
	v_lshlrev_b32_e32 v13, 2, v10
	ds_bpermute_b32 v11, v13, v9
	v_cndmask_b32_e32 v10, v17, v57, vcc
	v_cmp_lt_i32_e32 vcc, v58, v53
	v_lshlrev_b32_e32 v14, 2, v10
	ds_bpermute_b32 v12, v13, v6
	v_cndmask_b32_e32 v10, v17, v58, vcc
	v_lshlrev_b32_e32 v15, 2, v10
	ds_bpermute_b32 v10, v13, v8
	ds_bpermute_b32 v13, v13, v7
	v_cmp_lt_i32_e32 vcc, v55, v53
	s_cmp_eq_u32 s3, 0
	s_cselect_b64 s[6:7], -1, 0
	s_waitcnt lgkmcnt(1)
	v_pk_add_f32 v[8:9], v[8:9], v[10:11]
	s_waitcnt lgkmcnt(0)
	v_pk_add_f32 v[6:7], v[6:7], v[12:13]
	ds_bpermute_b32 v10, v14, v8
	ds_bpermute_b32 v11, v14, v9
	ds_bpermute_b32 v12, v14, v6
	ds_bpermute_b32 v13, v14, v7
	v_cndmask_b32_e32 v16, v17, v55, vcc
	v_lshlrev_b32_e32 v14, 2, v16
	s_waitcnt lgkmcnt(2)
	v_pk_add_f32 v[8:9], v[8:9], v[10:11]
	ds_bpermute_b32 v10, v15, v8
	s_waitcnt lgkmcnt(1)
	v_pk_add_f32 v[6:7], v[6:7], v[12:13]
	ds_bpermute_b32 v11, v15, v9
	ds_bpermute_b32 v12, v15, v6
	;; [unrolled: 1-line block ×3, first 2 shown]
	v_cmp_lt_i32_e32 vcc, v54, v53
	s_and_b64 s[4:5], s[6:7], s[4:5]
	s_waitcnt lgkmcnt(2)
	v_pk_add_f32 v[8:9], v[8:9], v[10:11]
	ds_bpermute_b32 v10, v14, v8
	s_waitcnt lgkmcnt(1)
	v_pk_add_f32 v[6:7], v[6:7], v[12:13]
	ds_bpermute_b32 v11, v14, v9
	ds_bpermute_b32 v12, v14, v6
	;; [unrolled: 1-line block ×3, first 2 shown]
	v_cndmask_b32_e32 v15, v17, v54, vcc
	v_lshlrev_b32_e32 v14, 2, v15
	s_waitcnt lgkmcnt(2)
	v_pk_add_f32 v[8:9], v[8:9], v[10:11]
	ds_bpermute_b32 v10, v14, v8
	s_waitcnt lgkmcnt(1)
	v_pk_add_f32 v[6:7], v[6:7], v[12:13]
	ds_bpermute_b32 v11, v14, v9
	ds_bpermute_b32 v12, v14, v6
	;; [unrolled: 1-line block ×3, first 2 shown]
	s_and_b64 vcc, exec, s[4:5]
	s_waitcnt lgkmcnt(2)
	v_pk_add_f32 v[8:9], v[8:9], v[10:11]
	s_waitcnt lgkmcnt(0)
	v_pk_add_f32 v[6:7], v[6:7], v[12:13]
	s_cbranch_vccz .LBB76_9
; %bb.8:
	s_ashr_i32 s29, s28, 31
	s_lshl_b64 s[4:5], s[28:29], 2
	s_add_u32 s4, s12, s4
	s_addc_u32 s5, s13, s5
	v_mov_b32_e32 v10, 0
	global_load_dwordx4 v[10:13], v10, s[4:5]
	v_max_f32_e32 v14, v0, v0
	v_max_f32_e32 v15, v1, v1
	s_mov_b32 s5, 0x3fb8aa3b
	v_max_f32_e32 v16, v2, v2
	s_mov_b32 s2, 0xc2ce8ed0
	s_mov_b32 s4, 0x42b17218
	v_mov_b32_e32 v18, 0x7f800000
	s_waitcnt vmcnt(0)
	v_max_f32_e32 v17, v10, v10
	v_max_f32_e32 v14, v14, v17
	;; [unrolled: 1-line block ×3, first 2 shown]
	v_sub_f32_e32 v0, v0, v14
	v_max_f32_e32 v15, v15, v19
	v_sub_f32_e32 v10, v10, v14
	v_mul_f32_e32 v17, 0x3fb8aa3b, v0
	v_max_f32_e32 v20, v12, v12
	v_sub_f32_e32 v1, v1, v15
	v_mul_f32_e32 v19, 0x3fb8aa3b, v10
	v_fma_f32 v24, v0, s5, -v17
	v_rndne_f32_e32 v26, v17
	v_max_f32_e32 v16, v16, v20
	v_sub_f32_e32 v11, v11, v15
	v_mul_f32_e32 v20, 0x3fb8aa3b, v1
	v_fma_f32 v27, v10, s5, -v19
	v_rndne_f32_e32 v28, v19
	v_fmac_f32_e32 v24, 0x32a5705f, v0
	v_sub_f32_e32 v17, v17, v26
	v_sub_f32_e32 v2, v2, v16
	v_mul_f32_e32 v21, 0x3fb8aa3b, v11
	v_fma_f32 v29, v1, s5, -v20
	v_rndne_f32_e32 v31, v20
	v_fmac_f32_e32 v27, 0x32a5705f, v10
	v_sub_f32_e32 v19, v19, v28
	v_add_f32_e32 v17, v17, v24
	v_mul_f32_e32 v22, 0x3fb8aa3b, v2
	v_fma_f32 v32, v11, s5, -v21
	v_rndne_f32_e32 v33, v21
	v_cvt_i32_f32_e32 v26, v26
	v_fmac_f32_e32 v29, 0x32a5705f, v1
	v_sub_f32_e32 v20, v20, v31
	v_add_f32_e32 v19, v19, v27
	v_exp_f32_e32 v17, v17
	v_fma_f32 v34, v2, s5, -v22
	v_rndne_f32_e32 v35, v22
	v_cvt_i32_f32_e32 v28, v28
	v_fmac_f32_e32 v32, 0x32a5705f, v11
	v_sub_f32_e32 v21, v21, v33
	v_add_f32_e32 v20, v20, v29
	v_exp_f32_e32 v19, v19
	v_cvt_i32_f32_e32 v31, v31
	v_fmac_f32_e32 v34, 0x32a5705f, v2
	v_sub_f32_e32 v22, v22, v35
	v_add_f32_e32 v21, v21, v32
	v_exp_f32_e32 v20, v20
	v_cvt_i32_f32_e32 v33, v33
	v_add_f32_e32 v22, v22, v34
	v_exp_f32_e32 v21, v21
	v_cvt_i32_f32_e32 v35, v35
	v_exp_f32_e32 v22, v22
	v_ldexp_f32 v17, v17, v26
	v_cmp_ngt_f32_e32 vcc, s2, v0
	v_ldexp_f32 v19, v19, v28
	v_ldexp_f32 v20, v20, v31
	v_cndmask_b32_e32 v17, 0, v17, vcc
	v_cmp_ngt_f32_e32 vcc, s2, v10
	v_sub_f32_e32 v12, v12, v16
	v_ldexp_f32 v21, v21, v33
	v_cndmask_b32_e32 v19, 0, v19, vcc
	v_cmp_ngt_f32_e32 vcc, s2, v1
	v_mul_f32_e32 v23, 0x3fb8aa3b, v12
	v_ldexp_f32 v22, v22, v35
	v_cndmask_b32_e32 v20, 0, v20, vcc
	v_cmp_ngt_f32_e32 vcc, s2, v11
	v_fma_f32 v36, v12, s5, -v23
	v_rndne_f32_e32 v37, v23
	v_cndmask_b32_e32 v21, 0, v21, vcc
	v_cmp_ngt_f32_e32 vcc, s2, v2
	v_fmac_f32_e32 v36, 0x32a5705f, v12
	v_sub_f32_e32 v23, v23, v37
	v_cndmask_b32_e32 v22, 0, v22, vcc
	v_cmp_nlt_f32_e32 vcc, s4, v0
	v_add_f32_e32 v23, v23, v36
	v_cvt_i32_f32_e32 v37, v37
	v_cndmask_b32_e32 v0, v18, v17, vcc
	v_cvt_f16_f32_e32 v17, v0
	v_exp_f32_e32 v23, v23
	v_cmp_nlt_f32_e32 vcc, s4, v10
	v_mul_u32_u24_e32 v17, 0x10001, v17
	s_nop 0
	v_cndmask_b32_e32 v10, v18, v19, vcc
	v_cmp_nlt_f32_e32 vcc, s4, v1
	v_pk_mul_f16 v46, v46, v17
	v_pk_mul_f16 v25, v25, v17
	v_cndmask_b32_e32 v1, v18, v20, vcc
	v_cmp_nlt_f32_e32 vcc, s4, v11
	v_ldexp_f32 v17, v23, v37
	v_max_f32_e32 v20, v3, v3
	v_cndmask_b32_e32 v11, v18, v21, vcc
	v_cmp_nlt_f32_e32 vcc, s4, v2
	v_cvt_f16_f32_e32 v19, v1
	v_pk_fma_f32 v[8:9], v[8:9], v[0:1], v[10:11]
	v_cndmask_b32_e32 v2, v18, v22, vcc
	v_cmp_ngt_f32_e32 vcc, s2, v12
	v_mul_u32_u24_e32 v19, 0x10001, v19
	v_pk_mul_f16 v44, v44, v19
	v_cndmask_b32_e32 v17, 0, v17, vcc
	v_cmp_nlt_f32_e32 vcc, s4, v12
	v_pk_mul_f16 v47, v47, v19
	v_cvt_f16_f32_e32 v19, v2
	v_cndmask_b32_e32 v12, v18, v17, vcc
	v_max_f32_e32 v17, v13, v13
	v_max_f32_e32 v17, v20, v17
	v_sub_f32_e32 v3, v3, v17
	v_mul_f32_e32 v20, 0x3fb8aa3b, v3
	v_fma_f32 v21, v3, s5, -v20
	v_rndne_f32_e32 v22, v20
	v_fmac_f32_e32 v21, 0x32a5705f, v3
	v_sub_f32_e32 v20, v20, v22
	v_add_f32_e32 v20, v20, v21
	v_exp_f32_e32 v20, v20
	v_cvt_i32_f32_e32 v21, v22
	v_mul_u32_u24_e32 v19, 0x10001, v19
	v_sub_f32_e32 v13, v13, v17
	v_pk_mul_f16 v43, v43, v19
	v_pk_mul_f16 v45, v45, v19
	v_ldexp_f32 v19, v20, v21
	v_mul_f32_e32 v20, 0x3fb8aa3b, v13
	v_fma_f32 v21, v13, s5, -v20
	v_rndne_f32_e32 v22, v20
	v_fmac_f32_e32 v21, 0x32a5705f, v13
	v_sub_f32_e32 v20, v20, v22
	v_add_f32_e32 v20, v20, v21
	v_exp_f32_e32 v20, v20
	v_cvt_i32_f32_e32 v21, v22
	v_cmp_ngt_f32_e32 vcc, s2, v3
	s_nop 1
	v_cndmask_b32_e32 v19, 0, v19, vcc
	v_cmp_nlt_f32_e32 vcc, s4, v3
	s_nop 1
	v_cndmask_b32_e32 v3, v18, v19, vcc
	v_ldexp_f32 v19, v20, v21
	v_cvt_f16_f32_e32 v20, v3
	v_cmp_ngt_f32_e32 vcc, s2, v13
	s_nop 1
	v_cndmask_b32_e32 v19, 0, v19, vcc
	v_cmp_nlt_f32_e32 vcc, s4, v13
	s_nop 1
	v_cndmask_b32_e32 v13, v18, v19, vcc
	v_mul_u32_u24_e32 v18, 0x10001, v20
	v_pk_fma_f32 v[6:7], v[6:7], v[2:3], v[12:13]
	v_mov_b64_e32 v[0:1], v[14:15]
	v_pk_mul_f16 v42, v42, v18
	v_pk_mul_f16 v41, v41, v18
	v_mov_b64_e32 v[2:3], v[16:17]
.LBB76_9:
	v_cmp_gt_i32_e32 vcc, s22, v5
	s_and_saveexec_b64 s[4:5], vcc
	s_cbranch_execz .LBB76_26
; %bb.10:
	s_load_dword s8, s[0:1], 0xd4
	v_mov_b32_e32 v10, 1.0
	s_waitcnt lgkmcnt(0)
	s_cmp_lg_u32 s8, 1
	s_cselect_b64 s[0:1], -1, 0
	s_cmp_eq_u32 s8, 1
	s_cselect_b64 s[6:7], -1, 0
	s_and_b64 vcc, exec, s[0:1]
	s_cbranch_vccnz .LBB76_12
; %bb.11:
	v_div_scale_f32 v10, s[4:5], v8, v8, 1.0
	v_rcp_f32_e32 v11, v10
	v_div_scale_f32 v12, vcc, 1.0, v8, 1.0
	v_fma_f32 v13, -v10, v11, 1.0
	v_fmac_f32_e32 v11, v13, v11
	v_mul_f32_e32 v13, v12, v11
	v_fma_f32 v14, -v10, v13, v12
	v_fmac_f32_e32 v13, v14, v11
	v_fma_f32 v10, -v10, v13, v12
	v_div_fmas_f32 v10, v10, v11, v13
	v_div_fixup_f32 v10, v10, v8, 1.0
.LBB76_12:
	s_mul_i32 s33, s33, s22
	v_add_u32_e32 v5, s33, v5
	v_mul_lo_u32 v5, v5, s23
	v_add_u32_e32 v5, s28, v5
	v_cvt_f32_f16_sdwa v15, v46 dst_sel:DWORD dst_unused:UNUSED_PAD src0_sel:WORD_1
	v_cvt_f32_f16_e32 v14, v46
	v_cvt_f32_f16_sdwa v17, v25 dst_sel:DWORD dst_unused:UNUSED_PAD src0_sel:WORD_1
	v_cvt_f32_f16_e32 v16, v25
	v_cmp_eq_u32_e32 vcc, 0, v4
	v_mul_lo_u32 v4, s8, v5
	v_add_u32_e32 v4, s3, v4
	v_lshl_add_u32 v12, v4, 7, v30
	v_mov_b32_e32 v13, 0
	s_and_b64 s[4:5], vcc, s[0:1]
	v_lshl_add_u64 v[18:19], v[12:13], 2, s[16:17]
	v_pk_mul_f32 v[12:13], v[10:11], v[14:15] op_sel_hi:[0,1]
	v_pk_mul_f32 v[14:15], v[10:11], v[16:17] op_sel_hi:[0,1]
	global_store_dwordx4 v[18:19], v[12:15], off
	s_and_saveexec_b64 s[0:1], s[4:5]
	s_cbranch_execz .LBB76_14
; %bb.13:
	v_ashrrev_i32_e32 v5, 31, v4
	v_lshl_add_u64 v[10:11], v[4:5], 3, s[18:19]
	v_mov_b32_e32 v12, v0
	v_mov_b32_e32 v13, v8
	global_store_dwordx2 v[10:11], v[12:13], off
.LBB76_14:
	s_or_b64 exec, exec, s[0:1]
	v_cndmask_b32_e64 v0, 0, 1, s[6:7]
	v_cmp_ne_u32_e64 s[0:1], 1, v0
	s_andn2_b64 vcc, exec, s[6:7]
	v_mov_b32_e32 v0, 1.0
	s_cbranch_vccnz .LBB76_16
; %bb.15:
	v_div_scale_f32 v0, s[2:3], v9, v9, 1.0
	v_rcp_f32_e32 v5, v0
	v_div_scale_f32 v8, vcc, 1.0, v9, 1.0
	v_fma_f32 v10, -v0, v5, 1.0
	v_fmac_f32_e32 v5, v10, v5
	v_mul_f32_e32 v10, v8, v5
	v_fma_f32 v11, -v0, v10, v8
	v_fmac_f32_e32 v10, v11, v5
	v_fma_f32 v0, -v0, v10, v8
	v_div_fmas_f32 v0, v0, v5, v10
	v_div_fixup_f32 v0, v0, v9, 1.0
.LBB76_16:
	v_cvt_f32_f16_sdwa v13, v44 dst_sel:DWORD dst_unused:UNUSED_PAD src0_sel:WORD_1
	v_cvt_f32_f16_e32 v12, v44
	v_cvt_f32_f16_sdwa v15, v47 dst_sel:DWORD dst_unused:UNUSED_PAD src0_sel:WORD_1
	v_cvt_f32_f16_e32 v14, v47
	v_add_u32_e32 v4, s8, v4
	v_lshl_add_u32 v10, v4, 7, v30
	v_mov_b32_e32 v11, 0
	v_lshl_add_u64 v[16:17], v[10:11], 2, s[16:17]
	v_pk_mul_f32 v[10:11], v[0:1], v[12:13] op_sel_hi:[0,1]
	v_pk_mul_f32 v[12:13], v[0:1], v[14:15] op_sel_hi:[0,1]
	global_store_dwordx4 v[16:17], v[10:13], off
	s_and_saveexec_b64 s[2:3], s[4:5]
	s_cbranch_execz .LBB76_18
; %bb.17:
	v_ashrrev_i32_e32 v5, 31, v4
	v_lshl_add_u64 v[10:11], v[4:5], 3, s[18:19]
	v_mov_b32_e32 v8, v1
	global_store_dwordx2 v[10:11], v[8:9], off
.LBB76_18:
	s_or_b64 exec, exec, s[2:3]
	s_and_b64 vcc, exec, s[0:1]
	v_mov_b32_e32 v8, 1.0
	s_cbranch_vccnz .LBB76_20
; %bb.19:
	v_div_scale_f32 v0, s[2:3], v6, v6, 1.0
	v_rcp_f32_e32 v1, v0
	v_div_scale_f32 v5, vcc, 1.0, v6, 1.0
	v_fma_f32 v8, -v0, v1, 1.0
	v_fmac_f32_e32 v1, v8, v1
	v_mul_f32_e32 v8, v5, v1
	v_fma_f32 v9, -v0, v8, v5
	v_fmac_f32_e32 v8, v9, v1
	v_fma_f32 v0, -v0, v8, v5
	v_div_fmas_f32 v0, v0, v1, v8
	v_div_fixup_f32 v8, v0, v6, 1.0
.LBB76_20:
	v_cvt_f32_f16_sdwa v11, v43 dst_sel:DWORD dst_unused:UNUSED_PAD src0_sel:WORD_1
	v_cvt_f32_f16_e32 v10, v43
	v_cvt_f32_f16_sdwa v13, v45 dst_sel:DWORD dst_unused:UNUSED_PAD src0_sel:WORD_1
	v_cvt_f32_f16_e32 v12, v45
	v_add_u32_e32 v0, s8, v4
	v_lshl_add_u32 v4, v0, 7, v30
	v_mov_b32_e32 v5, 0
	v_lshl_add_u64 v[4:5], v[4:5], 2, s[16:17]
	v_pk_mul_f32 v[10:11], v[8:9], v[10:11] op_sel_hi:[0,1]
	v_pk_mul_f32 v[12:13], v[8:9], v[12:13] op_sel_hi:[0,1]
	global_store_dwordx4 v[4:5], v[10:13], off
	s_and_saveexec_b64 s[2:3], s[4:5]
	s_cbranch_execz .LBB76_22
; %bb.21:
	v_ashrrev_i32_e32 v1, 31, v0
	v_lshl_add_u64 v[4:5], v[0:1], 3, s[18:19]
	v_mov_b32_e32 v8, v2
	v_mov_b32_e32 v9, v6
	global_store_dwordx2 v[4:5], v[8:9], off
.LBB76_22:
	s_or_b64 exec, exec, s[2:3]
	s_and_b64 vcc, exec, s[0:1]
	v_mov_b32_e32 v2, 1.0
	s_cbranch_vccnz .LBB76_24
; %bb.23:
	v_div_scale_f32 v1, s[0:1], v7, v7, 1.0
	v_rcp_f32_e32 v2, v1
	v_div_scale_f32 v4, vcc, 1.0, v7, 1.0
	v_fma_f32 v5, -v1, v2, 1.0
	v_fmac_f32_e32 v2, v5, v2
	v_mul_f32_e32 v5, v4, v2
	v_fma_f32 v6, -v1, v5, v4
	v_fmac_f32_e32 v5, v6, v2
	v_fma_f32 v1, -v1, v5, v4
	v_div_fmas_f32 v1, v1, v2, v5
	v_div_fixup_f32 v2, v1, v7, 1.0
.LBB76_24:
	v_cvt_f32_f16_sdwa v9, v42 dst_sel:DWORD dst_unused:UNUSED_PAD src0_sel:WORD_1
	v_cvt_f32_f16_e32 v8, v42
	v_cvt_f32_f16_sdwa v11, v41 dst_sel:DWORD dst_unused:UNUSED_PAD src0_sel:WORD_1
	v_cvt_f32_f16_e32 v10, v41
	v_add_u32_e32 v0, s8, v0
	v_lshl_add_u32 v4, v0, 7, v30
	v_mov_b32_e32 v5, 0
	v_lshl_add_u64 v[4:5], v[4:5], 2, s[16:17]
	v_pk_mul_f32 v[8:9], v[2:3], v[8:9] op_sel_hi:[0,1]
	v_pk_mul_f32 v[10:11], v[2:3], v[10:11] op_sel_hi:[0,1]
	global_store_dwordx4 v[4:5], v[8:11], off
	s_and_b64 exec, exec, s[4:5]
	s_cbranch_execz .LBB76_26
; %bb.25:
	v_ashrrev_i32_e32 v1, 31, v0
	v_lshl_add_u64 v[0:1], v[0:1], 3, s[18:19]
	v_mov_b32_e32 v6, v3
	global_store_dwordx2 v[0:1], v[6:7], off
.LBB76_26:
	s_endpgm
.LBB76_27:
                                        ; implicit-def: $vgpr17
                                        ; implicit-def: $vgpr53
                                        ; implicit-def: $vgpr56
                                        ; implicit-def: $vgpr57
                                        ; implicit-def: $vgpr58
                                        ; implicit-def: $vgpr55
                                        ; implicit-def: $vgpr54
	v_lshlrev_b32_e32 v30, 2, v4
.LBB76_28:
	s_sub_i32 s4, 0, s29
	s_mul_i32 s4, s4, s38
	s_mul_hi_u32 s4, s38, s4
	s_add_i32 s38, s38, s4
	s_load_dwordx4 s[24:27], s[0:1], 0x98
	s_load_dword s10, s[0:1], 0x54
	s_load_dwordx2 s[4:5], s[0:1], 0x8c
	s_abs_i32 s15, s28
	s_mul_hi_u32 s20, s15, s38
	s_waitcnt lgkmcnt(0)
	s_ashr_i32 s11, s26, 2
	s_ashr_i32 s26, s37, 1
	;; [unrolled: 1-line block ×4, first 2 shown]
	s_mul_hi_u32 s36, s24, s33
	s_mul_i32 s37, s24, s4
	s_add_i32 s36, s36, s37
	s_mul_i32 s25, s25, s33
	s_ashr_i32 s21, s28, 31
	s_ashr_i32 s31, s31, 31
	s_add_i32 s36, s36, s25
	s_mul_i32 s24, s24, s33
	s_add_u32 s6, s6, s24
	s_mul_i32 s24, s20, s29
	s_addc_u32 s7, s7, s36
	s_sub_i32 s15, s15, s24
	s_xor_b32 s21, s21, s31
	s_add_i32 s24, s20, 1
	s_sub_i32 s25, s15, s29
	s_cmp_ge_u32 s15, s29
	s_cselect_b32 s20, s24, s20
	s_cselect_b32 s15, s25, s15
	s_add_i32 s24, s20, 1
	s_cmp_ge_u32 s15, s29
	s_load_dwordx2 s[38:39], s[0:1], 0xa8
	s_cselect_b32 s15, s24, s20
	s_xor_b32 s15, s15, s21
	s_sub_i32 s21, s15, s21
	s_mul_i32 s5, s21, s5
	s_ashr_i32 s20, s5, 31
	s_add_u32 s15, s6, s5
	s_waitcnt lgkmcnt(0)
	s_mul_hi_u32 s5, s38, s33
	s_mul_i32 s4, s38, s4
	s_addc_u32 s20, s7, s20
	s_add_i32 s4, s5, s4
	s_mul_i32 s5, s39, s33
	s_add_i32 s4, s4, s5
	s_mul_i32 s5, s38, s33
	s_add_u32 s5, s8, s5
	s_mul_i32 s21, s21, s27
	s_addc_u32 s4, s9, s4
	s_ashr_i32 s6, s21, 31
	s_add_u32 s8, s5, s21
	v_lshrrev_b32_e32 v3, 3, v4
	v_and_b32_e32 v6, 28, v30
	s_addc_u32 s9, s4, s6
	v_lshl_add_u32 v3, v1, 2, v3
	v_lshlrev_b32_e32 v7, 2, v6
	s_movk_i32 s4, 0x90
	v_mad_u32_u24 v33, v3, s4, v7
	v_mad_u64_u32 v[16:17], s[4:5], v2, s26, v[4:5]
	v_mov_b32_e32 v2, 0x4400
	v_lshl_add_u32 v36, v1, 9, v2
	v_lshrrev_b32_e32 v2, 4, v4
	v_lshl_add_u32 v1, v1, 1, v2
	v_and_b32_e32 v2, 60, v30
	v_mul_lo_u32 v8, s11, v1
	v_mul_lo_u32 v12, s14, v3
	v_lshlrev_b32_e32 v3, 2, v2
	v_lshl_add_u32 v22, s11, 4, v8
	v_mov_b32_e32 v11, 0
	v_lshl_add_u32 v14, s14, 5, v12
	v_lshl_or_b32 v37, v1, 8, v3
	v_ashrrev_i32_e32 v9, 31, v8
	v_ashrrev_i32_e32 v23, 31, v22
	s_add_u32 s4, s0, 0xd0
	v_ashrrev_i32_e32 v13, 31, v12
	v_add_u32_e32 v34, 0x1200, v33
	v_ashrrev_i32_e32 v15, 31, v14
	v_mul_u32_u24_e32 v35, 0x90, v4
	v_add_u32_e32 v38, 0x1000, v37
	s_addc_u32 s5, s1, 0
	v_mov_b32_e32 v24, 0xfeffffff
	v_lshlrev_b32_e32 v18, 2, v6
	v_mov_b32_e32 v19, v11
	s_mov_b32 s21, 0x3f200000
	s_mov_b32 s24, 0x3fb8aa3b
	;; [unrolled: 1-line block ×4, first 2 shown]
	v_mov_b32_e32 v39, 0x3ca908c9
	s_brev_b32 s27, -2
	s_mov_b32 s29, 0x10001
	v_lshlrev_b64 v[20:21], 2, v[8:9]
	v_lshlrev_b32_e32 v10, 2, v2
	v_lshlrev_b64 v[22:23], 2, v[22:23]
	v_mov_b32_e32 v40, 0x7f800000
	v_mbcnt_hi_u32_b32 v17, -1, v0
	v_mov_b32_e32 v41, v11
	v_mov_b32_e32 v42, v11
	;; [unrolled: 1-line block ×15, first 2 shown]
                                        ; implicit-def: $vgpr1
                                        ; implicit-def: $vgpr1
	;; [unrolled: 1-line block ×3, first 2 shown]
.LBB76_29:                              ; =>This Inner Loop Header: Depth=1
	s_mul_hi_i32 s7, s2, s14
	s_mul_i32 s6, s2, s14
	s_lshl_b64 s[6:7], s[6:7], 2
	s_add_u32 s6, s15, s6
	s_addc_u32 s7, s20, s7
	v_lshl_add_u64 v[0:1], v[12:13], 2, s[6:7]
	v_lshl_add_u64 v[0:1], v[0:1], 0, v[18:19]
	;; [unrolled: 1-line block ×4, first 2 shown]
	global_load_dwordx4 v[56:59], v[0:1], off
	global_load_dwordx4 v[60:63], v[2:3], off
	v_mov_b32_e32 v53, 0
	v_mov_b32_e32 v51, 0
	v_mov_b32_e32 v29, 0
	v_mov_b32_e32 v26, 0
	v_mov_b32_e32 v54, 0
	v_mov_b32_e32 v52, 0
	v_mov_b32_e32 v50, 0
	v_mov_b32_e32 v28, 0
	s_waitcnt vmcnt(1)
	ds_write_b128 v33, v[56:59]
	s_waitcnt vmcnt(0)
	ds_write_b128 v34, v[60:63]
	s_waitcnt lgkmcnt(0)
	s_barrier
	ds_read_b128 v[56:59], v31
	ds_read_b128 v[60:63], v35
	ds_read_b128 v[64:67], v35 offset:4608
	ds_read_b128 v[68:71], v31 offset:256
	;; [unrolled: 1-line block ×4, first 2 shown]
	s_waitcnt lgkmcnt(4)
	;;#ASMSTART
	v_dot2_f32_f16 v53, v60, v56, v53
	;;#ASMEND
	s_nop 0
	;;#ASMSTART
	v_dot2_f32_f16 v53, v61, v57, v53
	;;#ASMEND
	s_nop 0
	;;#ASMSTART
	v_dot2_f32_f16 v53, v62, v58, v53
	;;#ASMEND
	s_nop 0
	;;#ASMSTART
	v_dot2_f32_f16 v53, v63, v59, v53
	;;#ASMEND
	s_waitcnt lgkmcnt(2)
	;;#ASMSTART
	v_dot2_f32_f16 v51, v60, v68, v51
	;;#ASMEND
	s_nop 0
	;;#ASMSTART
	v_dot2_f32_f16 v51, v61, v69, v51
	;;#ASMEND
	s_nop 0
	;;#ASMSTART
	v_dot2_f32_f16 v51, v62, v70, v51
	;;#ASMEND
	s_nop 0
	;;#ASMSTART
	v_dot2_f32_f16 v51, v63, v71, v51
	;;#ASMEND
	;; [unrolled: 16-line block ×4, first 2 shown]
	;;#ASMSTART
	v_dot2_f32_f16 v54, v64, v56, v54
	;;#ASMEND
	s_nop 0
	;;#ASMSTART
	v_dot2_f32_f16 v54, v65, v57, v54
	;;#ASMEND
	s_nop 0
	;;#ASMSTART
	v_dot2_f32_f16 v54, v66, v58, v54
	;;#ASMEND
	s_nop 0
	;;#ASMSTART
	v_dot2_f32_f16 v54, v67, v59, v54
	;;#ASMEND
	;;#ASMSTART
	v_dot2_f32_f16 v52, v64, v68, v52
	;;#ASMEND
	s_nop 0
	;;#ASMSTART
	v_dot2_f32_f16 v52, v65, v69, v52
	;;#ASMEND
	s_nop 0
	;;#ASMSTART
	v_dot2_f32_f16 v52, v66, v70, v52
	;;#ASMEND
	s_nop 0
	;;#ASMSTART
	v_dot2_f32_f16 v52, v67, v71, v52
	;;#ASMEND
	;; [unrolled: 15-line block ×4, first 2 shown]
	ds_read_b128 v[56:59], v31 offset:16
	ds_read_b128 v[60:63], v35 offset:16
	;; [unrolled: 1-line block ×6, first 2 shown]
	s_waitcnt lgkmcnt(4)
	;;#ASMSTART
	v_dot2_f32_f16 v53, v60, v56, v53
	;;#ASMEND
	s_nop 0
	;;#ASMSTART
	v_dot2_f32_f16 v53, v61, v57, v53
	;;#ASMEND
	s_nop 0
	;;#ASMSTART
	v_dot2_f32_f16 v53, v62, v58, v53
	;;#ASMEND
	s_nop 0
	;;#ASMSTART
	v_dot2_f32_f16 v53, v63, v59, v53
	;;#ASMEND
	s_waitcnt lgkmcnt(2)
	;;#ASMSTART
	v_dot2_f32_f16 v51, v60, v68, v51
	;;#ASMEND
	s_nop 0
	;;#ASMSTART
	v_dot2_f32_f16 v51, v61, v69, v51
	;;#ASMEND
	s_nop 0
	;;#ASMSTART
	v_dot2_f32_f16 v51, v62, v70, v51
	;;#ASMEND
	s_nop 0
	;;#ASMSTART
	v_dot2_f32_f16 v51, v63, v71, v51
	;;#ASMEND
	;; [unrolled: 16-line block ×4, first 2 shown]
	;;#ASMSTART
	v_dot2_f32_f16 v54, v64, v56, v54
	;;#ASMEND
	s_nop 0
	;;#ASMSTART
	v_dot2_f32_f16 v54, v65, v57, v54
	;;#ASMEND
	s_nop 0
	;;#ASMSTART
	v_dot2_f32_f16 v54, v66, v58, v54
	;;#ASMEND
	s_nop 0
	;;#ASMSTART
	v_dot2_f32_f16 v54, v67, v59, v54
	;;#ASMEND
	;;#ASMSTART
	v_dot2_f32_f16 v52, v64, v68, v52
	;;#ASMEND
	s_nop 0
	;;#ASMSTART
	v_dot2_f32_f16 v52, v65, v69, v52
	;;#ASMEND
	s_nop 0
	;;#ASMSTART
	v_dot2_f32_f16 v52, v66, v70, v52
	;;#ASMEND
	s_nop 0
	;;#ASMSTART
	v_dot2_f32_f16 v52, v67, v71, v52
	;;#ASMEND
	;; [unrolled: 15-line block ×4, first 2 shown]
	ds_read_b128 v[56:59], v31 offset:32
	ds_read_b128 v[60:63], v35 offset:32
	;; [unrolled: 1-line block ×6, first 2 shown]
	s_waitcnt lgkmcnt(4)
	;;#ASMSTART
	v_dot2_f32_f16 v53, v60, v56, v53
	;;#ASMEND
	s_nop 0
	;;#ASMSTART
	v_dot2_f32_f16 v53, v61, v57, v53
	;;#ASMEND
	s_nop 0
	;;#ASMSTART
	v_dot2_f32_f16 v53, v62, v58, v53
	;;#ASMEND
	s_nop 0
	;;#ASMSTART
	v_dot2_f32_f16 v53, v63, v59, v53
	;;#ASMEND
	s_waitcnt lgkmcnt(2)
	;;#ASMSTART
	v_dot2_f32_f16 v51, v60, v68, v51
	;;#ASMEND
	s_nop 0
	;;#ASMSTART
	v_dot2_f32_f16 v51, v61, v69, v51
	;;#ASMEND
	s_nop 0
	;;#ASMSTART
	v_dot2_f32_f16 v51, v62, v70, v51
	;;#ASMEND
	s_nop 0
	;;#ASMSTART
	v_dot2_f32_f16 v51, v63, v71, v51
	;;#ASMEND
	;; [unrolled: 16-line block ×4, first 2 shown]
	;;#ASMSTART
	v_dot2_f32_f16 v54, v64, v56, v54
	;;#ASMEND
	s_nop 0
	;;#ASMSTART
	v_dot2_f32_f16 v54, v65, v57, v54
	;;#ASMEND
	s_nop 0
	;;#ASMSTART
	v_dot2_f32_f16 v54, v66, v58, v54
	;;#ASMEND
	s_nop 0
	;;#ASMSTART
	v_dot2_f32_f16 v54, v67, v59, v54
	;;#ASMEND
	;;#ASMSTART
	v_dot2_f32_f16 v52, v64, v68, v52
	;;#ASMEND
	s_nop 0
	;;#ASMSTART
	v_dot2_f32_f16 v52, v65, v69, v52
	;;#ASMEND
	s_nop 0
	;;#ASMSTART
	v_dot2_f32_f16 v52, v66, v70, v52
	;;#ASMEND
	s_nop 0
	;;#ASMSTART
	v_dot2_f32_f16 v52, v67, v71, v52
	;;#ASMEND
	;; [unrolled: 15-line block ×4, first 2 shown]
	ds_read_b128 v[56:59], v31 offset:48
	ds_read_b128 v[60:63], v35 offset:48
	;; [unrolled: 1-line block ×6, first 2 shown]
	s_waitcnt lgkmcnt(4)
	;;#ASMSTART
	v_dot2_f32_f16 v53, v60, v56, v53
	;;#ASMEND
	s_nop 0
	;;#ASMSTART
	v_dot2_f32_f16 v53, v61, v57, v53
	;;#ASMEND
	s_nop 0
	;;#ASMSTART
	v_dot2_f32_f16 v53, v62, v58, v53
	;;#ASMEND
	s_nop 0
	;;#ASMSTART
	v_dot2_f32_f16 v53, v63, v59, v53
	;;#ASMEND
	s_waitcnt lgkmcnt(2)
	;;#ASMSTART
	v_dot2_f32_f16 v51, v60, v68, v51
	;;#ASMEND
	s_nop 0
	;;#ASMSTART
	v_dot2_f32_f16 v51, v61, v69, v51
	;;#ASMEND
	s_nop 0
	;;#ASMSTART
	v_dot2_f32_f16 v51, v62, v70, v51
	;;#ASMEND
	s_nop 0
	;;#ASMSTART
	v_dot2_f32_f16 v51, v63, v71, v51
	;;#ASMEND
	;; [unrolled: 16-line block ×4, first 2 shown]
	;;#ASMSTART
	v_dot2_f32_f16 v54, v64, v56, v54
	;;#ASMEND
	s_nop 0
	;;#ASMSTART
	v_dot2_f32_f16 v54, v65, v57, v54
	;;#ASMEND
	s_nop 0
	;;#ASMSTART
	v_dot2_f32_f16 v54, v66, v58, v54
	;;#ASMEND
	s_nop 0
	;;#ASMSTART
	v_dot2_f32_f16 v54, v67, v59, v54
	;;#ASMEND
	;;#ASMSTART
	v_dot2_f32_f16 v52, v64, v68, v52
	;;#ASMEND
	s_nop 0
	;;#ASMSTART
	v_dot2_f32_f16 v52, v65, v69, v52
	;;#ASMEND
	s_nop 0
	;;#ASMSTART
	v_dot2_f32_f16 v52, v66, v70, v52
	;;#ASMEND
	s_nop 0
	;;#ASMSTART
	v_dot2_f32_f16 v52, v67, v71, v52
	;;#ASMEND
	;; [unrolled: 15-line block ×4, first 2 shown]
	ds_read_b128 v[56:59], v31 offset:64
	ds_read_b128 v[60:63], v35 offset:64
	;; [unrolled: 1-line block ×6, first 2 shown]
	s_waitcnt lgkmcnt(4)
	;;#ASMSTART
	v_dot2_f32_f16 v53, v60, v56, v53
	;;#ASMEND
	s_nop 0
	;;#ASMSTART
	v_dot2_f32_f16 v53, v61, v57, v53
	;;#ASMEND
	s_nop 0
	;;#ASMSTART
	v_dot2_f32_f16 v53, v62, v58, v53
	;;#ASMEND
	s_nop 0
	;;#ASMSTART
	v_dot2_f32_f16 v53, v63, v59, v53
	;;#ASMEND
	s_waitcnt lgkmcnt(2)
	;;#ASMSTART
	v_dot2_f32_f16 v51, v60, v68, v51
	;;#ASMEND
	s_nop 0
	;;#ASMSTART
	v_dot2_f32_f16 v51, v61, v69, v51
	;;#ASMEND
	s_nop 0
	;;#ASMSTART
	v_dot2_f32_f16 v51, v62, v70, v51
	;;#ASMEND
	s_nop 0
	;;#ASMSTART
	v_dot2_f32_f16 v51, v63, v71, v51
	;;#ASMEND
	;; [unrolled: 16-line block ×4, first 2 shown]
	;;#ASMSTART
	v_dot2_f32_f16 v54, v64, v56, v54
	;;#ASMEND
	s_nop 0
	;;#ASMSTART
	v_dot2_f32_f16 v54, v65, v57, v54
	;;#ASMEND
	s_nop 0
	;;#ASMSTART
	v_dot2_f32_f16 v54, v66, v58, v54
	;;#ASMEND
	s_nop 0
	;;#ASMSTART
	v_dot2_f32_f16 v54, v67, v59, v54
	;;#ASMEND
	;;#ASMSTART
	v_dot2_f32_f16 v52, v64, v68, v52
	;;#ASMEND
	s_nop 0
	;;#ASMSTART
	v_dot2_f32_f16 v52, v65, v69, v52
	;;#ASMEND
	s_nop 0
	;;#ASMSTART
	v_dot2_f32_f16 v52, v66, v70, v52
	;;#ASMEND
	s_nop 0
	;;#ASMSTART
	v_dot2_f32_f16 v52, v67, v71, v52
	;;#ASMEND
	;; [unrolled: 15-line block ×4, first 2 shown]
	ds_read_b128 v[56:59], v31 offset:80
	ds_read_b128 v[60:63], v35 offset:80
	;; [unrolled: 1-line block ×6, first 2 shown]
	s_waitcnt lgkmcnt(4)
	;;#ASMSTART
	v_dot2_f32_f16 v53, v60, v56, v53
	;;#ASMEND
	s_nop 0
	;;#ASMSTART
	v_dot2_f32_f16 v53, v61, v57, v53
	;;#ASMEND
	s_nop 0
	;;#ASMSTART
	v_dot2_f32_f16 v53, v62, v58, v53
	;;#ASMEND
	s_nop 0
	;;#ASMSTART
	v_dot2_f32_f16 v53, v63, v59, v53
	;;#ASMEND
	s_waitcnt lgkmcnt(2)
	;;#ASMSTART
	v_dot2_f32_f16 v51, v60, v68, v51
	;;#ASMEND
	s_nop 0
	;;#ASMSTART
	v_dot2_f32_f16 v51, v61, v69, v51
	;;#ASMEND
	s_nop 0
	;;#ASMSTART
	v_dot2_f32_f16 v51, v62, v70, v51
	;;#ASMEND
	s_nop 0
	;;#ASMSTART
	v_dot2_f32_f16 v51, v63, v71, v51
	;;#ASMEND
	;; [unrolled: 16-line block ×4, first 2 shown]
	;;#ASMSTART
	v_dot2_f32_f16 v54, v64, v56, v54
	;;#ASMEND
	s_nop 0
	;;#ASMSTART
	v_dot2_f32_f16 v54, v65, v57, v54
	;;#ASMEND
	s_nop 0
	;;#ASMSTART
	v_dot2_f32_f16 v54, v66, v58, v54
	;;#ASMEND
	s_nop 0
	;;#ASMSTART
	v_dot2_f32_f16 v54, v67, v59, v54
	;;#ASMEND
	;;#ASMSTART
	v_dot2_f32_f16 v52, v64, v68, v52
	;;#ASMEND
	s_nop 0
	;;#ASMSTART
	v_dot2_f32_f16 v52, v65, v69, v52
	;;#ASMEND
	s_nop 0
	;;#ASMSTART
	v_dot2_f32_f16 v52, v66, v70, v52
	;;#ASMEND
	s_nop 0
	;;#ASMSTART
	v_dot2_f32_f16 v52, v67, v71, v52
	;;#ASMEND
	;;#ASMSTART
	v_dot2_f32_f16 v50, v64, v72, v50
	;;#ASMEND
	s_nop 0
	;;#ASMSTART
	v_dot2_f32_f16 v50, v65, v73, v50
	;;#ASMEND
	s_nop 0
	;;#ASMSTART
	v_dot2_f32_f16 v50, v66, v74, v50
	;;#ASMEND
	s_nop 0
	;;#ASMSTART
	v_dot2_f32_f16 v50, v67, v75, v50
	;;#ASMEND
	;;#ASMSTART
	v_dot2_f32_f16 v28, v64, v76, v28
	;;#ASMEND
	s_nop 0
	;;#ASMSTART
	v_dot2_f32_f16 v28, v65, v77, v28
	;;#ASMEND
	s_nop 0
	;;#ASMSTART
	v_dot2_f32_f16 v28, v66, v78, v28
	;;#ASMEND
	s_nop 0
	;;#ASMSTART
	v_dot2_f32_f16 v28, v67, v79, v28
	;;#ASMEND
	ds_read_b128 v[56:59], v31 offset:96
	ds_read_b128 v[60:63], v35 offset:96
	;; [unrolled: 1-line block ×6, first 2 shown]
	s_waitcnt lgkmcnt(4)
	;;#ASMSTART
	v_dot2_f32_f16 v53, v60, v56, v53
	;;#ASMEND
	s_nop 0
	;;#ASMSTART
	v_dot2_f32_f16 v53, v61, v57, v53
	;;#ASMEND
	s_nop 0
	;;#ASMSTART
	v_dot2_f32_f16 v53, v62, v58, v53
	;;#ASMEND
	s_nop 0
	;;#ASMSTART
	v_dot2_f32_f16 v53, v63, v59, v53
	;;#ASMEND
	s_waitcnt lgkmcnt(2)
	;;#ASMSTART
	v_dot2_f32_f16 v51, v60, v68, v51
	;;#ASMEND
	s_nop 0
	;;#ASMSTART
	v_dot2_f32_f16 v51, v61, v69, v51
	;;#ASMEND
	s_nop 0
	;;#ASMSTART
	v_dot2_f32_f16 v51, v62, v70, v51
	;;#ASMEND
	s_nop 0
	;;#ASMSTART
	v_dot2_f32_f16 v51, v63, v71, v51
	;;#ASMEND
	;; [unrolled: 16-line block ×4, first 2 shown]
	;;#ASMSTART
	v_dot2_f32_f16 v54, v64, v56, v54
	;;#ASMEND
	s_nop 0
	;;#ASMSTART
	v_dot2_f32_f16 v54, v65, v57, v54
	;;#ASMEND
	s_nop 0
	;;#ASMSTART
	v_dot2_f32_f16 v54, v66, v58, v54
	;;#ASMEND
	s_nop 0
	;;#ASMSTART
	v_dot2_f32_f16 v54, v67, v59, v54
	;;#ASMEND
	;;#ASMSTART
	v_dot2_f32_f16 v52, v64, v68, v52
	;;#ASMEND
	s_nop 0
	;;#ASMSTART
	v_dot2_f32_f16 v52, v65, v69, v52
	;;#ASMEND
	s_nop 0
	;;#ASMSTART
	v_dot2_f32_f16 v52, v66, v70, v52
	;;#ASMEND
	s_nop 0
	;;#ASMSTART
	v_dot2_f32_f16 v52, v67, v71, v52
	;;#ASMEND
	;; [unrolled: 15-line block ×4, first 2 shown]
	ds_read_b128 v[56:59], v31 offset:112
	ds_read_b128 v[60:63], v35 offset:112
	;; [unrolled: 1-line block ×6, first 2 shown]
	s_waitcnt lgkmcnt(4)
	;;#ASMSTART
	v_dot2_f32_f16 v53, v60, v56, v53
	;;#ASMEND
	s_nop 0
	;;#ASMSTART
	v_dot2_f32_f16 v53, v61, v57, v53
	;;#ASMEND
	s_nop 0
	;;#ASMSTART
	v_dot2_f32_f16 v53, v62, v58, v53
	;;#ASMEND
	s_nop 0
	;;#ASMSTART
	v_dot2_f32_f16 v53, v63, v59, v53
	;;#ASMEND
	s_waitcnt lgkmcnt(2)
	;;#ASMSTART
	v_dot2_f32_f16 v51, v60, v68, v51
	;;#ASMEND
	s_nop 0
	;;#ASMSTART
	v_dot2_f32_f16 v51, v61, v69, v51
	;;#ASMEND
	s_nop 0
	;;#ASMSTART
	v_dot2_f32_f16 v51, v62, v70, v51
	;;#ASMEND
	s_nop 0
	;;#ASMSTART
	v_dot2_f32_f16 v51, v63, v71, v51
	;;#ASMEND
	s_waitcnt lgkmcnt(1)
	;;#ASMSTART
	v_dot2_f32_f16 v29, v60, v72, v29
	;;#ASMEND
	s_nop 0
	;;#ASMSTART
	v_dot2_f32_f16 v29, v61, v73, v29
	;;#ASMEND
	s_nop 0
	;;#ASMSTART
	v_dot2_f32_f16 v29, v62, v74, v29
	;;#ASMEND
	s_nop 0
	;;#ASMSTART
	v_dot2_f32_f16 v29, v63, v75, v29
	;;#ASMEND
	s_waitcnt lgkmcnt(0)
	;;#ASMSTART
	v_dot2_f32_f16 v26, v60, v76, v26
	;;#ASMEND
	s_nop 0
	;;#ASMSTART
	v_dot2_f32_f16 v26, v61, v77, v26
	;;#ASMEND
	s_nop 0
	;;#ASMSTART
	v_dot2_f32_f16 v26, v62, v78, v26
	;;#ASMEND
	s_nop 0
	;;#ASMSTART
	v_dot2_f32_f16 v26, v63, v79, v26
	;;#ASMEND
	;;#ASMSTART
	v_dot2_f32_f16 v54, v64, v56, v54
	;;#ASMEND
	s_nop 0
	;;#ASMSTART
	v_dot2_f32_f16 v54, v65, v57, v54
	;;#ASMEND
	s_nop 0
	;;#ASMSTART
	v_dot2_f32_f16 v54, v66, v58, v54
	;;#ASMEND
	s_nop 0
	;;#ASMSTART
	v_dot2_f32_f16 v54, v67, v59, v54
	;;#ASMEND
	;;#ASMSTART
	v_dot2_f32_f16 v52, v64, v68, v52
	;;#ASMEND
	s_nop 0
	;;#ASMSTART
	v_dot2_f32_f16 v52, v65, v69, v52
	;;#ASMEND
	s_nop 0
	;;#ASMSTART
	v_dot2_f32_f16 v52, v66, v70, v52
	;;#ASMEND
	s_nop 0
	;;#ASMSTART
	v_dot2_f32_f16 v52, v67, v71, v52
	;;#ASMEND
	;; [unrolled: 15-line block ×4, first 2 shown]
	s_barrier
	global_load_dwordx4 v[56:59], v[0:1], off offset:128
	global_load_dwordx4 v[60:63], v[2:3], off offset:128
	s_waitcnt vmcnt(1)
	ds_write_b128 v33, v[56:59]
	s_waitcnt vmcnt(0)
	ds_write_b128 v34, v[60:63]
	s_waitcnt lgkmcnt(0)
	s_barrier
	ds_read_b128 v[0:3], v31 offset:128
	ds_read_b128 v[56:59], v35
	ds_read_b128 v[60:63], v35 offset:4608
	ds_read_b128 v[64:67], v31 offset:384
	ds_read_b128 v[68:71], v31 offset:640
	ds_read_b128 v[72:75], v31 offset:896
	s_waitcnt lgkmcnt(4)
	;;#ASMSTART
	v_dot2_f32_f16 v53, v56, v0, v53
	;;#ASMEND
	s_nop 0
	;;#ASMSTART
	v_dot2_f32_f16 v53, v57, v1, v53
	;;#ASMEND
	s_nop 0
	;;#ASMSTART
	v_dot2_f32_f16 v53, v58, v2, v53
	;;#ASMEND
	s_nop 0
	;;#ASMSTART
	v_dot2_f32_f16 v53, v59, v3, v53
	;;#ASMEND
	s_waitcnt lgkmcnt(2)
	;;#ASMSTART
	v_dot2_f32_f16 v51, v56, v64, v51
	;;#ASMEND
	s_nop 0
	;;#ASMSTART
	v_dot2_f32_f16 v51, v57, v65, v51
	;;#ASMEND
	s_nop 0
	;;#ASMSTART
	v_dot2_f32_f16 v51, v58, v66, v51
	;;#ASMEND
	s_nop 0
	;;#ASMSTART
	v_dot2_f32_f16 v51, v59, v67, v51
	;;#ASMEND
	;; [unrolled: 16-line block ×4, first 2 shown]
	;;#ASMSTART
	v_dot2_f32_f16 v54, v60, v0, v54
	;;#ASMEND
	s_nop 0
	;;#ASMSTART
	v_dot2_f32_f16 v54, v61, v1, v54
	;;#ASMEND
	s_nop 0
	;;#ASMSTART
	v_dot2_f32_f16 v54, v62, v2, v54
	;;#ASMEND
	s_nop 0
	;;#ASMSTART
	v_dot2_f32_f16 v54, v63, v3, v54
	;;#ASMEND
	;;#ASMSTART
	v_dot2_f32_f16 v52, v60, v64, v52
	;;#ASMEND
	s_nop 0
	;;#ASMSTART
	v_dot2_f32_f16 v52, v61, v65, v52
	;;#ASMEND
	s_nop 0
	;;#ASMSTART
	v_dot2_f32_f16 v52, v62, v66, v52
	;;#ASMEND
	s_nop 0
	;;#ASMSTART
	v_dot2_f32_f16 v52, v63, v67, v52
	;;#ASMEND
	;; [unrolled: 15-line block ×4, first 2 shown]
	ds_read_b128 v[0:3], v31 offset:144
	ds_read_b128 v[56:59], v35 offset:16
	;; [unrolled: 1-line block ×6, first 2 shown]
	s_waitcnt lgkmcnt(4)
	;;#ASMSTART
	v_dot2_f32_f16 v53, v56, v0, v53
	;;#ASMEND
	s_nop 0
	;;#ASMSTART
	v_dot2_f32_f16 v53, v57, v1, v53
	;;#ASMEND
	s_nop 0
	;;#ASMSTART
	v_dot2_f32_f16 v53, v58, v2, v53
	;;#ASMEND
	s_nop 0
	;;#ASMSTART
	v_dot2_f32_f16 v53, v59, v3, v53
	;;#ASMEND
	s_waitcnt lgkmcnt(2)
	;;#ASMSTART
	v_dot2_f32_f16 v51, v56, v64, v51
	;;#ASMEND
	s_nop 0
	;;#ASMSTART
	v_dot2_f32_f16 v51, v57, v65, v51
	;;#ASMEND
	s_nop 0
	;;#ASMSTART
	v_dot2_f32_f16 v51, v58, v66, v51
	;;#ASMEND
	s_nop 0
	;;#ASMSTART
	v_dot2_f32_f16 v51, v59, v67, v51
	;;#ASMEND
	;; [unrolled: 16-line block ×4, first 2 shown]
	;;#ASMSTART
	v_dot2_f32_f16 v54, v60, v0, v54
	;;#ASMEND
	s_nop 0
	;;#ASMSTART
	v_dot2_f32_f16 v54, v61, v1, v54
	;;#ASMEND
	s_nop 0
	;;#ASMSTART
	v_dot2_f32_f16 v54, v62, v2, v54
	;;#ASMEND
	s_nop 0
	;;#ASMSTART
	v_dot2_f32_f16 v54, v63, v3, v54
	;;#ASMEND
	;;#ASMSTART
	v_dot2_f32_f16 v52, v60, v64, v52
	;;#ASMEND
	s_nop 0
	;;#ASMSTART
	v_dot2_f32_f16 v52, v61, v65, v52
	;;#ASMEND
	s_nop 0
	;;#ASMSTART
	v_dot2_f32_f16 v52, v62, v66, v52
	;;#ASMEND
	s_nop 0
	;;#ASMSTART
	v_dot2_f32_f16 v52, v63, v67, v52
	;;#ASMEND
	;; [unrolled: 15-line block ×4, first 2 shown]
	ds_read_b128 v[0:3], v31 offset:160
	ds_read_b128 v[56:59], v35 offset:32
	;; [unrolled: 1-line block ×6, first 2 shown]
	s_waitcnt lgkmcnt(4)
	;;#ASMSTART
	v_dot2_f32_f16 v53, v56, v0, v53
	;;#ASMEND
	s_nop 0
	;;#ASMSTART
	v_dot2_f32_f16 v53, v57, v1, v53
	;;#ASMEND
	s_nop 0
	;;#ASMSTART
	v_dot2_f32_f16 v53, v58, v2, v53
	;;#ASMEND
	s_nop 0
	;;#ASMSTART
	v_dot2_f32_f16 v53, v59, v3, v53
	;;#ASMEND
	s_waitcnt lgkmcnt(2)
	;;#ASMSTART
	v_dot2_f32_f16 v51, v56, v64, v51
	;;#ASMEND
	s_nop 0
	;;#ASMSTART
	v_dot2_f32_f16 v51, v57, v65, v51
	;;#ASMEND
	s_nop 0
	;;#ASMSTART
	v_dot2_f32_f16 v51, v58, v66, v51
	;;#ASMEND
	s_nop 0
	;;#ASMSTART
	v_dot2_f32_f16 v51, v59, v67, v51
	;;#ASMEND
	s_waitcnt lgkmcnt(1)
	;;#ASMSTART
	v_dot2_f32_f16 v29, v56, v68, v29
	;;#ASMEND
	s_nop 0
	;;#ASMSTART
	v_dot2_f32_f16 v29, v57, v69, v29
	;;#ASMEND
	s_nop 0
	;;#ASMSTART
	v_dot2_f32_f16 v29, v58, v70, v29
	;;#ASMEND
	s_nop 0
	;;#ASMSTART
	v_dot2_f32_f16 v29, v59, v71, v29
	;;#ASMEND
	s_waitcnt lgkmcnt(0)
	;;#ASMSTART
	v_dot2_f32_f16 v26, v56, v72, v26
	;;#ASMEND
	s_nop 0
	;;#ASMSTART
	v_dot2_f32_f16 v26, v57, v73, v26
	;;#ASMEND
	s_nop 0
	;;#ASMSTART
	v_dot2_f32_f16 v26, v58, v74, v26
	;;#ASMEND
	s_nop 0
	;;#ASMSTART
	v_dot2_f32_f16 v26, v59, v75, v26
	;;#ASMEND
	;;#ASMSTART
	v_dot2_f32_f16 v54, v60, v0, v54
	;;#ASMEND
	s_nop 0
	;;#ASMSTART
	v_dot2_f32_f16 v54, v61, v1, v54
	;;#ASMEND
	s_nop 0
	;;#ASMSTART
	v_dot2_f32_f16 v54, v62, v2, v54
	;;#ASMEND
	s_nop 0
	;;#ASMSTART
	v_dot2_f32_f16 v54, v63, v3, v54
	;;#ASMEND
	;;#ASMSTART
	v_dot2_f32_f16 v52, v60, v64, v52
	;;#ASMEND
	s_nop 0
	;;#ASMSTART
	v_dot2_f32_f16 v52, v61, v65, v52
	;;#ASMEND
	s_nop 0
	;;#ASMSTART
	v_dot2_f32_f16 v52, v62, v66, v52
	;;#ASMEND
	s_nop 0
	;;#ASMSTART
	v_dot2_f32_f16 v52, v63, v67, v52
	;;#ASMEND
	;; [unrolled: 15-line block ×4, first 2 shown]
	ds_read_b128 v[0:3], v31 offset:176
	ds_read_b128 v[56:59], v35 offset:48
	;; [unrolled: 1-line block ×6, first 2 shown]
	s_waitcnt lgkmcnt(4)
	;;#ASMSTART
	v_dot2_f32_f16 v53, v56, v0, v53
	;;#ASMEND
	s_nop 0
	;;#ASMSTART
	v_dot2_f32_f16 v53, v57, v1, v53
	;;#ASMEND
	s_nop 0
	;;#ASMSTART
	v_dot2_f32_f16 v53, v58, v2, v53
	;;#ASMEND
	s_nop 0
	;;#ASMSTART
	v_dot2_f32_f16 v53, v59, v3, v53
	;;#ASMEND
	s_waitcnt lgkmcnt(2)
	;;#ASMSTART
	v_dot2_f32_f16 v51, v56, v64, v51
	;;#ASMEND
	s_nop 0
	;;#ASMSTART
	v_dot2_f32_f16 v51, v57, v65, v51
	;;#ASMEND
	s_nop 0
	;;#ASMSTART
	v_dot2_f32_f16 v51, v58, v66, v51
	;;#ASMEND
	s_nop 0
	;;#ASMSTART
	v_dot2_f32_f16 v51, v59, v67, v51
	;;#ASMEND
	;; [unrolled: 16-line block ×4, first 2 shown]
	;;#ASMSTART
	v_dot2_f32_f16 v54, v60, v0, v54
	;;#ASMEND
	s_nop 0
	;;#ASMSTART
	v_dot2_f32_f16 v54, v61, v1, v54
	;;#ASMEND
	s_nop 0
	;;#ASMSTART
	v_dot2_f32_f16 v54, v62, v2, v54
	;;#ASMEND
	s_nop 0
	;;#ASMSTART
	v_dot2_f32_f16 v54, v63, v3, v54
	;;#ASMEND
	;;#ASMSTART
	v_dot2_f32_f16 v52, v60, v64, v52
	;;#ASMEND
	s_nop 0
	;;#ASMSTART
	v_dot2_f32_f16 v52, v61, v65, v52
	;;#ASMEND
	s_nop 0
	;;#ASMSTART
	v_dot2_f32_f16 v52, v62, v66, v52
	;;#ASMEND
	s_nop 0
	;;#ASMSTART
	v_dot2_f32_f16 v52, v63, v67, v52
	;;#ASMEND
	;; [unrolled: 15-line block ×4, first 2 shown]
	ds_read_b128 v[0:3], v31 offset:192
	ds_read_b128 v[56:59], v35 offset:64
	ds_read_b128 v[60:63], v35 offset:4672
	ds_read_b128 v[64:67], v31 offset:448
	ds_read_b128 v[68:71], v31 offset:704
	ds_read_b128 v[72:75], v31 offset:960
	s_waitcnt lgkmcnt(4)
	;;#ASMSTART
	v_dot2_f32_f16 v53, v56, v0, v53
	;;#ASMEND
	s_nop 0
	;;#ASMSTART
	v_dot2_f32_f16 v53, v57, v1, v53
	;;#ASMEND
	s_nop 0
	;;#ASMSTART
	v_dot2_f32_f16 v53, v58, v2, v53
	;;#ASMEND
	s_nop 0
	;;#ASMSTART
	v_dot2_f32_f16 v53, v59, v3, v53
	;;#ASMEND
	s_waitcnt lgkmcnt(2)
	;;#ASMSTART
	v_dot2_f32_f16 v51, v56, v64, v51
	;;#ASMEND
	s_nop 0
	;;#ASMSTART
	v_dot2_f32_f16 v51, v57, v65, v51
	;;#ASMEND
	s_nop 0
	;;#ASMSTART
	v_dot2_f32_f16 v51, v58, v66, v51
	;;#ASMEND
	s_nop 0
	;;#ASMSTART
	v_dot2_f32_f16 v51, v59, v67, v51
	;;#ASMEND
	;; [unrolled: 16-line block ×4, first 2 shown]
	;;#ASMSTART
	v_dot2_f32_f16 v54, v60, v0, v54
	;;#ASMEND
	s_nop 0
	;;#ASMSTART
	v_dot2_f32_f16 v54, v61, v1, v54
	;;#ASMEND
	s_nop 0
	;;#ASMSTART
	v_dot2_f32_f16 v54, v62, v2, v54
	;;#ASMEND
	s_nop 0
	;;#ASMSTART
	v_dot2_f32_f16 v54, v63, v3, v54
	;;#ASMEND
	;;#ASMSTART
	v_dot2_f32_f16 v52, v60, v64, v52
	;;#ASMEND
	s_nop 0
	;;#ASMSTART
	v_dot2_f32_f16 v52, v61, v65, v52
	;;#ASMEND
	s_nop 0
	;;#ASMSTART
	v_dot2_f32_f16 v52, v62, v66, v52
	;;#ASMEND
	s_nop 0
	;;#ASMSTART
	v_dot2_f32_f16 v52, v63, v67, v52
	;;#ASMEND
	;; [unrolled: 15-line block ×4, first 2 shown]
	ds_read_b128 v[0:3], v31 offset:208
	ds_read_b128 v[56:59], v35 offset:80
	ds_read_b128 v[60:63], v35 offset:4688
	ds_read_b128 v[64:67], v31 offset:464
	ds_read_b128 v[68:71], v31 offset:720
	ds_read_b128 v[72:75], v31 offset:976
	s_waitcnt lgkmcnt(4)
	;;#ASMSTART
	v_dot2_f32_f16 v53, v56, v0, v53
	;;#ASMEND
	s_nop 0
	;;#ASMSTART
	v_dot2_f32_f16 v53, v57, v1, v53
	;;#ASMEND
	s_nop 0
	;;#ASMSTART
	v_dot2_f32_f16 v53, v58, v2, v53
	;;#ASMEND
	s_nop 0
	;;#ASMSTART
	v_dot2_f32_f16 v53, v59, v3, v53
	;;#ASMEND
	s_waitcnt lgkmcnt(2)
	;;#ASMSTART
	v_dot2_f32_f16 v51, v56, v64, v51
	;;#ASMEND
	s_nop 0
	;;#ASMSTART
	v_dot2_f32_f16 v51, v57, v65, v51
	;;#ASMEND
	s_nop 0
	;;#ASMSTART
	v_dot2_f32_f16 v51, v58, v66, v51
	;;#ASMEND
	s_nop 0
	;;#ASMSTART
	v_dot2_f32_f16 v51, v59, v67, v51
	;;#ASMEND
	;; [unrolled: 16-line block ×4, first 2 shown]
	;;#ASMSTART
	v_dot2_f32_f16 v54, v60, v0, v54
	;;#ASMEND
	s_nop 0
	;;#ASMSTART
	v_dot2_f32_f16 v54, v61, v1, v54
	;;#ASMEND
	s_nop 0
	;;#ASMSTART
	v_dot2_f32_f16 v54, v62, v2, v54
	;;#ASMEND
	s_nop 0
	;;#ASMSTART
	v_dot2_f32_f16 v54, v63, v3, v54
	;;#ASMEND
	;;#ASMSTART
	v_dot2_f32_f16 v52, v60, v64, v52
	;;#ASMEND
	s_nop 0
	;;#ASMSTART
	v_dot2_f32_f16 v52, v61, v65, v52
	;;#ASMEND
	s_nop 0
	;;#ASMSTART
	v_dot2_f32_f16 v52, v62, v66, v52
	;;#ASMEND
	s_nop 0
	;;#ASMSTART
	v_dot2_f32_f16 v52, v63, v67, v52
	;;#ASMEND
	;; [unrolled: 15-line block ×4, first 2 shown]
	ds_read_b128 v[0:3], v31 offset:224
	ds_read_b128 v[56:59], v35 offset:96
	;; [unrolled: 1-line block ×6, first 2 shown]
	s_waitcnt lgkmcnt(4)
	;;#ASMSTART
	v_dot2_f32_f16 v53, v56, v0, v53
	;;#ASMEND
	s_nop 0
	;;#ASMSTART
	v_dot2_f32_f16 v53, v57, v1, v53
	;;#ASMEND
	s_nop 0
	;;#ASMSTART
	v_dot2_f32_f16 v53, v58, v2, v53
	;;#ASMEND
	s_nop 0
	;;#ASMSTART
	v_dot2_f32_f16 v53, v59, v3, v53
	;;#ASMEND
	s_waitcnt lgkmcnt(2)
	;;#ASMSTART
	v_dot2_f32_f16 v51, v56, v64, v51
	;;#ASMEND
	s_nop 0
	;;#ASMSTART
	v_dot2_f32_f16 v51, v57, v65, v51
	;;#ASMEND
	s_nop 0
	;;#ASMSTART
	v_dot2_f32_f16 v51, v58, v66, v51
	;;#ASMEND
	s_nop 0
	;;#ASMSTART
	v_dot2_f32_f16 v51, v59, v67, v51
	;;#ASMEND
	;; [unrolled: 16-line block ×4, first 2 shown]
	;;#ASMSTART
	v_dot2_f32_f16 v54, v60, v0, v54
	;;#ASMEND
	s_nop 0
	;;#ASMSTART
	v_dot2_f32_f16 v54, v61, v1, v54
	;;#ASMEND
	s_nop 0
	;;#ASMSTART
	v_dot2_f32_f16 v54, v62, v2, v54
	;;#ASMEND
	s_nop 0
	;;#ASMSTART
	v_dot2_f32_f16 v54, v63, v3, v54
	;;#ASMEND
	;;#ASMSTART
	v_dot2_f32_f16 v52, v60, v64, v52
	;;#ASMEND
	s_nop 0
	;;#ASMSTART
	v_dot2_f32_f16 v52, v61, v65, v52
	;;#ASMEND
	s_nop 0
	;;#ASMSTART
	v_dot2_f32_f16 v52, v62, v66, v52
	;;#ASMEND
	s_nop 0
	;;#ASMSTART
	v_dot2_f32_f16 v52, v63, v67, v52
	;;#ASMEND
	;; [unrolled: 15-line block ×4, first 2 shown]
	ds_read_b128 v[0:3], v31 offset:240
	ds_read_b128 v[56:59], v35 offset:112
	ds_read_b128 v[60:63], v35 offset:4720
	ds_read_b128 v[64:67], v31 offset:496
	ds_read_b128 v[68:71], v31 offset:752
	ds_read_b128 v[72:75], v31 offset:1008
	s_waitcnt lgkmcnt(4)
	;;#ASMSTART
	v_dot2_f32_f16 v53, v56, v0, v53
	;;#ASMEND
	s_nop 0
	;;#ASMSTART
	v_dot2_f32_f16 v53, v57, v1, v53
	;;#ASMEND
	s_nop 0
	;;#ASMSTART
	v_dot2_f32_f16 v53, v58, v2, v53
	;;#ASMEND
	s_nop 0
	;;#ASMSTART
	v_dot2_f32_f16 v53, v59, v3, v53
	;;#ASMEND
	s_waitcnt lgkmcnt(2)
	;;#ASMSTART
	v_dot2_f32_f16 v51, v56, v64, v51
	;;#ASMEND
	s_nop 0
	;;#ASMSTART
	v_dot2_f32_f16 v51, v57, v65, v51
	;;#ASMEND
	v_cmp_nlt_f32_e64 s[6:7], |v53|, s21
	;;#ASMSTART
	v_dot2_f32_f16 v51, v58, v66, v51
	;;#ASMEND
	s_nop 0
	;;#ASMSTART
	v_dot2_f32_f16 v51, v59, v67, v51
	;;#ASMEND
	s_waitcnt lgkmcnt(1)
	;;#ASMSTART
	v_dot2_f32_f16 v29, v56, v68, v29
	;;#ASMEND
	s_nop 0
	;;#ASMSTART
	v_dot2_f32_f16 v29, v57, v69, v29
	;;#ASMEND
	s_nop 0
	;; [unrolled: 4-line block ×3, first 2 shown]
	;;#ASMSTART
	v_dot2_f32_f16 v29, v59, v71, v29
	;;#ASMEND
	s_waitcnt lgkmcnt(0)
	;;#ASMSTART
	v_dot2_f32_f16 v26, v56, v72, v26
	;;#ASMEND
	s_nop 0
	;;#ASMSTART
	v_dot2_f32_f16 v26, v57, v73, v26
	;;#ASMEND
	s_nop 0
	;;#ASMSTART
	v_dot2_f32_f16 v26, v58, v74, v26
	;;#ASMEND
	s_nop 0
	;;#ASMSTART
	v_dot2_f32_f16 v26, v59, v75, v26
	;;#ASMEND
	;;#ASMSTART
	v_dot2_f32_f16 v54, v60, v0, v54
	;;#ASMEND
	s_nop 0
	;;#ASMSTART
	v_dot2_f32_f16 v54, v61, v1, v54
	;;#ASMEND
	s_nop 0
	;;#ASMSTART
	v_dot2_f32_f16 v54, v62, v2, v54
	;;#ASMEND
                                        ; implicit-def: $vgpr2
	s_nop 0
	;;#ASMSTART
	v_dot2_f32_f16 v54, v63, v3, v54
	;;#ASMEND
	;;#ASMSTART
	v_dot2_f32_f16 v52, v60, v64, v52
	;;#ASMEND
	s_nop 0
	;;#ASMSTART
	v_dot2_f32_f16 v52, v61, v65, v52
	;;#ASMEND
	s_nop 0
	;;#ASMSTART
	v_dot2_f32_f16 v52, v62, v66, v52
	;;#ASMEND
	s_nop 0
	;;#ASMSTART
	v_dot2_f32_f16 v52, v63, v67, v52
	;;#ASMEND
	;;#ASMSTART
	v_dot2_f32_f16 v50, v60, v68, v50
	;;#ASMEND
	s_nop 0
	;;#ASMSTART
	v_dot2_f32_f16 v50, v61, v69, v50
	;;#ASMEND
	s_nop 0
	;;#ASMSTART
	v_dot2_f32_f16 v50, v62, v70, v50
	;;#ASMEND
	;; [unrolled: 15-line block ×3, first 2 shown]
	s_nop 0
	;;#ASMSTART
	v_dot2_f32_f16 v28, v63, v75, v28
	;;#ASMEND
	s_and_saveexec_b64 s[36:37], s[6:7]
	s_xor_b64 s[6:7], exec, s[36:37]
	s_cbranch_execz .LBB76_31
; %bb.30:                               ;   in Loop: Header=BB76_29 Depth=1
	v_add_f32_e64 v0, |v53|, |v53|
	v_mul_f32_e32 v1, 0x3fb8aa3b, v0
	v_rndne_f32_e32 v2, v1
	v_sub_f32_e32 v3, v1, v2
	v_fma_f32 v1, v0, s24, -v1
	v_fmac_f32_e32 v1, 0x32a5705f, v0
	v_add_f32_e32 v1, v3, v1
	v_cvt_i32_f32_e32 v2, v2
	v_exp_f32_e32 v1, v1
	v_cmp_ngt_f32_e32 vcc, s25, v0
	v_ldexp_f32 v1, v1, v2
	s_nop 0
	v_cndmask_b32_e32 v1, 0, v1, vcc
	v_cmp_nlt_f32_e32 vcc, s26, v0
	s_nop 1
	v_cndmask_b32_e32 v0, v40, v1, vcc
	v_add_f32_e32 v0, 1.0, v0
	v_rcp_f32_e32 v0, v0
	s_nop 0
	v_fma_f32 v2, v0, -2.0, 1.0
.LBB76_31:                              ;   in Loop: Header=BB76_29 Depth=1
	s_andn2_saveexec_b64 s[6:7], s[6:7]
; %bb.32:                               ;   in Loop: Header=BB76_29 Depth=1
	v_mul_f32_e32 v0, v53, v53
	v_fmamk_f32 v1, v0, 0xbbbac73d, v39
	v_fmaak_f32 v1, v0, v1, 0xbd5c1c4e
	v_fmaak_f32 v1, v0, v1, 0x3e088382
	;; [unrolled: 1-line block ×3, first 2 shown]
	v_mul_f32_e64 v1, |v53|, v1
	v_fma_f32 v2, v0, v1, |v53|
; %bb.33:                               ;   in Loop: Header=BB76_29 Depth=1
	s_or_b64 exec, exec, s[6:7]
	v_add_u32_e32 v0, s2, v16
	v_ashrrev_i32_e32 v1, 31, v0
	v_lshl_add_u64 v[0:1], v[0:1], 1, s[34:35]
	global_load_ushort v59, v[0:1], off
	v_cmp_nlt_f32_e64 s[6:7], |v54|, s21
                                        ; implicit-def: $vgpr55
	s_and_saveexec_b64 s[36:37], s[6:7]
	s_xor_b64 s[6:7], exec, s[36:37]
	s_cbranch_execz .LBB76_35
; %bb.34:                               ;   in Loop: Header=BB76_29 Depth=1
	v_add_f32_e64 v3, |v54|, |v54|
	v_mul_f32_e32 v55, 0x3fb8aa3b, v3
	v_rndne_f32_e32 v56, v55
	v_sub_f32_e32 v57, v55, v56
	v_fma_f32 v55, v3, s24, -v55
	v_fmac_f32_e32 v55, 0x32a5705f, v3
	v_add_f32_e32 v55, v57, v55
	v_cvt_i32_f32_e32 v56, v56
	v_exp_f32_e32 v55, v55
	v_cmp_ngt_f32_e32 vcc, s25, v3
	v_ldexp_f32 v55, v55, v56
	s_nop 0
	v_cndmask_b32_e32 v55, 0, v55, vcc
	v_cmp_nlt_f32_e32 vcc, s26, v3
	s_nop 1
	v_cndmask_b32_e32 v3, v40, v55, vcc
	v_add_f32_e32 v3, 1.0, v3
	v_rcp_f32_e32 v3, v3
	s_nop 0
	v_fma_f32 v55, v3, -2.0, 1.0
.LBB76_35:                              ;   in Loop: Header=BB76_29 Depth=1
	s_andn2_saveexec_b64 s[6:7], s[6:7]
; %bb.36:                               ;   in Loop: Header=BB76_29 Depth=1
	v_mul_f32_e32 v3, v54, v54
	v_fmamk_f32 v55, v3, 0xbbbac73d, v39
	v_fmaak_f32 v55, v3, v55, 0xbd5c1c4e
	v_fmaak_f32 v55, v3, v55, 0x3e088382
	;; [unrolled: 1-line block ×3, first 2 shown]
	v_mul_f32_e64 v55, |v54|, v55
	v_fma_f32 v55, v3, v55, |v54|
; %bb.37:                               ;   in Loop: Header=BB76_29 Depth=1
	s_or_b64 exec, exec, s[6:7]
	global_load_ushort v66, v[0:1], off offset:64
	v_and_b32_e32 v1, 0x60, v17
	v_bfi_b32 v0, s27, v2, v53
	v_add_u32_e32 v53, 32, v1
	v_xor_b32_e32 v56, 16, v17
	v_bfi_b32 v2, s27, v55, v54
	s_waitcnt vmcnt(1)
	v_fma_mix_f32 v3, s10, v0, v59 op_sel_hi:[0,0,1]
	v_cmp_lt_i32_e32 vcc, v56, v53
	v_add_f32_e32 v0, 0x40051340, v3
	v_xor_b32_e32 v57, 8, v17
	v_cndmask_b32_e32 v1, v17, v56, vcc
	v_lshlrev_b32_e32 v1, 2, v1
	v_cmp_lt_i32_e32 vcc, v57, v53
	v_xor_b32_e32 v58, 4, v17
	v_cmp_nlt_f32_e64 s[6:7], |v51|, s21
                                        ; implicit-def: $vgpr67
	s_waitcnt vmcnt(0)
	v_fma_mix_f32 v61, s10, v2, v66 op_sel_hi:[0,0,1]
	v_add_f32_e32 v2, 0x40051340, v61
	v_max3_f32 v0, v24, v0, v2
	ds_bpermute_b32 v54, v1, v0
	v_cndmask_b32_e32 v2, v17, v57, vcc
	v_lshlrev_b32_e32 v2, 2, v2
	v_cmp_lt_i32_e32 vcc, v58, v53
	s_waitcnt lgkmcnt(0)
	v_max_f32_e32 v54, v54, v54
	v_max_f32_e32 v0, v0, v54
	ds_bpermute_b32 v54, v2, v0
	v_cndmask_b32_e32 v55, v17, v58, vcc
	v_lshlrev_b32_e32 v63, 2, v55
	v_xor_b32_e32 v55, 2, v17
	v_cmp_lt_i32_e32 vcc, v55, v53
	s_waitcnt lgkmcnt(0)
	v_max_f32_e32 v54, v54, v54
	v_max_f32_e32 v54, v0, v54
	ds_bpermute_b32 v60, v63, v54
	v_cndmask_b32_e32 v0, v17, v55, vcc
	v_lshlrev_b32_e32 v0, 2, v0
	s_waitcnt lgkmcnt(0)
	v_max_f32_e32 v60, v60, v60
	v_max_f32_e32 v60, v54, v60
	ds_bpermute_b32 v64, v0, v60
	v_xor_b32_e32 v54, 1, v17
	v_cmp_lt_i32_e32 vcc, v54, v53
	s_waitcnt lgkmcnt(0)
	v_max_f32_e32 v64, v64, v64
	v_cndmask_b32_e32 v62, v17, v54, vcc
	v_lshlrev_b32_e32 v62, 2, v62
	v_max_f32_e32 v64, v60, v64
	ds_bpermute_b32 v65, v62, v64
	s_and_saveexec_b64 s[36:37], s[6:7]
	s_xor_b64 s[6:7], exec, s[36:37]
	s_cbranch_execz .LBB76_39
; %bb.38:                               ;   in Loop: Header=BB76_29 Depth=1
	v_add_f32_e64 v60, |v51|, |v51|
	v_mul_f32_e32 v67, 0x3fb8aa3b, v60
	v_rndne_f32_e32 v68, v67
	v_sub_f32_e32 v69, v67, v68
	v_fma_f32 v67, v60, s24, -v67
	v_fmac_f32_e32 v67, 0x32a5705f, v60
	v_add_f32_e32 v67, v69, v67
	v_cvt_i32_f32_e32 v68, v68
	v_exp_f32_e32 v67, v67
	v_cmp_ngt_f32_e32 vcc, s25, v60
	v_ldexp_f32 v67, v67, v68
	s_nop 0
	v_cndmask_b32_e32 v67, 0, v67, vcc
	v_cmp_nlt_f32_e32 vcc, s26, v60
	s_nop 1
	v_cndmask_b32_e32 v60, v40, v67, vcc
	v_add_f32_e32 v60, 1.0, v60
	v_rcp_f32_e32 v60, v60
	s_nop 0
	v_fma_f32 v67, v60, -2.0, 1.0
.LBB76_39:                              ;   in Loop: Header=BB76_29 Depth=1
	s_andn2_saveexec_b64 s[6:7], s[6:7]
; %bb.40:                               ;   in Loop: Header=BB76_29 Depth=1
	v_mul_f32_e32 v60, v51, v51
	v_fmamk_f32 v67, v60, 0xbbbac73d, v39
	v_fmaak_f32 v67, v60, v67, 0xbd5c1c4e
	v_fmaak_f32 v67, v60, v67, 0x3e088382
	;; [unrolled: 1-line block ×3, first 2 shown]
	v_mul_f32_e64 v67, |v51|, v67
	v_fma_f32 v67, v60, v67, |v51|
; %bb.41:                               ;   in Loop: Header=BB76_29 Depth=1
	s_or_b64 exec, exec, s[6:7]
	v_cmp_nlt_f32_e64 s[6:7], |v52|, s21
                                        ; implicit-def: $vgpr68
	s_and_saveexec_b64 s[36:37], s[6:7]
	s_xor_b64 s[6:7], exec, s[36:37]
	s_cbranch_execz .LBB76_43
; %bb.42:                               ;   in Loop: Header=BB76_29 Depth=1
	v_add_f32_e64 v60, |v52|, |v52|
	v_mul_f32_e32 v68, 0x3fb8aa3b, v60
	v_rndne_f32_e32 v69, v68
	v_sub_f32_e32 v70, v68, v69
	v_fma_f32 v68, v60, s24, -v68
	v_fmac_f32_e32 v68, 0x32a5705f, v60
	v_add_f32_e32 v68, v70, v68
	v_cvt_i32_f32_e32 v69, v69
	v_exp_f32_e32 v68, v68
	v_cmp_ngt_f32_e32 vcc, s25, v60
	v_ldexp_f32 v68, v68, v69
	s_nop 0
	v_cndmask_b32_e32 v68, 0, v68, vcc
	v_cmp_nlt_f32_e32 vcc, s26, v60
	s_nop 1
	v_cndmask_b32_e32 v60, v40, v68, vcc
	v_add_f32_e32 v60, 1.0, v60
	v_rcp_f32_e32 v60, v60
	s_nop 0
	v_fma_f32 v68, v60, -2.0, 1.0
.LBB76_43:                              ;   in Loop: Header=BB76_29 Depth=1
	s_andn2_saveexec_b64 s[6:7], s[6:7]
; %bb.44:                               ;   in Loop: Header=BB76_29 Depth=1
	v_mul_f32_e32 v60, v52, v52
	v_fmamk_f32 v68, v60, 0xbbbac73d, v39
	v_fmaak_f32 v68, v60, v68, 0xbd5c1c4e
	v_fmaak_f32 v68, v60, v68, 0x3e088382
	;; [unrolled: 1-line block ×3, first 2 shown]
	v_mul_f32_e64 v68, |v52|, v68
	v_fma_f32 v68, v60, v68, |v52|
; %bb.45:                               ;   in Loop: Header=BB76_29 Depth=1
	s_or_b64 exec, exec, s[6:7]
	v_cvt_f32_f16_e32 v60, v59
	v_cvt_f32_f16_e32 v59, v66
	v_bfi_b32 v51, s27, v67, v51
	v_bfi_b32 v66, s27, v68, v52
	v_fma_f32 v52, s10, v51, v60
	v_fma_f32 v51, s10, v66, v59
	v_add_f32_e32 v67, 0x40051340, v52
	v_add_f32_e32 v66, 0x40051340, v51
	v_max3_f32 v66, v27, v67, v66
	ds_bpermute_b32 v67, v1, v66
	v_cmp_nlt_f32_e64 s[6:7], |v29|, s21
	s_waitcnt lgkmcnt(0)
	v_max_f32_e32 v67, v67, v67
	v_max_f32_e32 v66, v66, v67
	ds_bpermute_b32 v67, v2, v66
	s_waitcnt lgkmcnt(0)
	v_max_f32_e32 v67, v67, v67
	v_max_f32_e32 v66, v66, v67
	ds_bpermute_b32 v67, v63, v66
	;; [unrolled: 4-line block ×4, first 2 shown]
                                        ; implicit-def: $vgpr66
	s_and_saveexec_b64 s[36:37], s[6:7]
	s_xor_b64 s[6:7], exec, s[36:37]
	s_cbranch_execz .LBB76_47
; %bb.46:                               ;   in Loop: Header=BB76_29 Depth=1
	v_add_f32_e64 v66, |v29|, |v29|
	v_mul_f32_e32 v69, 0x3fb8aa3b, v66
	v_rndne_f32_e32 v70, v69
	v_sub_f32_e32 v71, v69, v70
	v_fma_f32 v69, v66, s24, -v69
	v_fmac_f32_e32 v69, 0x32a5705f, v66
	v_add_f32_e32 v69, v71, v69
	v_cvt_i32_f32_e32 v70, v70
	v_exp_f32_e32 v69, v69
	v_cmp_ngt_f32_e32 vcc, s25, v66
	v_ldexp_f32 v69, v69, v70
	s_nop 0
	v_cndmask_b32_e32 v69, 0, v69, vcc
	v_cmp_nlt_f32_e32 vcc, s26, v66
	s_nop 1
	v_cndmask_b32_e32 v66, v40, v69, vcc
	v_add_f32_e32 v66, 1.0, v66
	v_rcp_f32_e32 v66, v66
	s_nop 0
	v_fma_f32 v66, v66, -2.0, 1.0
.LBB76_47:                              ;   in Loop: Header=BB76_29 Depth=1
	s_andn2_saveexec_b64 s[6:7], s[6:7]
; %bb.48:                               ;   in Loop: Header=BB76_29 Depth=1
	v_mul_f32_e32 v66, v29, v29
	v_fmamk_f32 v69, v66, 0xbbbac73d, v39
	v_fmaak_f32 v69, v66, v69, 0xbd5c1c4e
	v_fmaak_f32 v69, v66, v69, 0x3e088382
	;; [unrolled: 1-line block ×3, first 2 shown]
	v_mul_f32_e64 v69, |v29|, v69
	v_fma_f32 v66, v66, v69, |v29|
; %bb.49:                               ;   in Loop: Header=BB76_29 Depth=1
	s_or_b64 exec, exec, s[6:7]
	v_cmp_nlt_f32_e64 s[6:7], |v50|, s21
                                        ; implicit-def: $vgpr69
	s_and_saveexec_b64 s[36:37], s[6:7]
	s_xor_b64 s[6:7], exec, s[36:37]
	s_cbranch_execz .LBB76_51
; %bb.50:                               ;   in Loop: Header=BB76_29 Depth=1
	v_add_f32_e64 v69, |v50|, |v50|
	v_mul_f32_e32 v70, 0x3fb8aa3b, v69
	v_rndne_f32_e32 v71, v70
	v_sub_f32_e32 v72, v70, v71
	v_fma_f32 v70, v69, s24, -v70
	v_fmac_f32_e32 v70, 0x32a5705f, v69
	v_add_f32_e32 v70, v72, v70
	v_cvt_i32_f32_e32 v71, v71
	v_exp_f32_e32 v70, v70
	v_cmp_ngt_f32_e32 vcc, s25, v69
	v_ldexp_f32 v70, v70, v71
	s_nop 0
	v_cndmask_b32_e32 v70, 0, v70, vcc
	v_cmp_nlt_f32_e32 vcc, s26, v69
	s_nop 1
	v_cndmask_b32_e32 v69, v40, v70, vcc
	v_add_f32_e32 v69, 1.0, v69
	v_rcp_f32_e32 v69, v69
	s_nop 0
	v_fma_f32 v69, v69, -2.0, 1.0
.LBB76_51:                              ;   in Loop: Header=BB76_29 Depth=1
	s_andn2_saveexec_b64 s[6:7], s[6:7]
; %bb.52:                               ;   in Loop: Header=BB76_29 Depth=1
	v_mul_f32_e32 v69, v50, v50
	v_fmamk_f32 v70, v69, 0xbbbac73d, v39
	v_fmaak_f32 v70, v69, v70, 0xbd5c1c4e
	v_fmaak_f32 v70, v69, v70, 0x3e088382
	;; [unrolled: 1-line block ×3, first 2 shown]
	v_mul_f32_e64 v70, |v50|, v70
	v_fma_f32 v69, v69, v70, |v50|
; %bb.53:                               ;   in Loop: Header=BB76_29 Depth=1
	s_or_b64 exec, exec, s[6:7]
	v_bfi_b32 v29, s27, v66, v29
	v_bfi_b32 v50, s27, v69, v50
	v_fma_f32 v66, s10, v29, v60
	v_fma_f32 v50, s10, v50, v59
	v_add_f32_e32 v29, 0x40051340, v66
	v_add_f32_e32 v69, 0x40051340, v50
	v_max3_f32 v29, v49, v29, v69
	ds_bpermute_b32 v69, v1, v29
	v_cmp_nlt_f32_e64 s[6:7], |v26|, s21
                                        ; implicit-def: $vgpr70
	s_waitcnt lgkmcnt(0)
	v_max_f32_e32 v69, v69, v69
	v_max_f32_e32 v29, v29, v69
	ds_bpermute_b32 v69, v2, v29
	s_waitcnt lgkmcnt(0)
	v_max_f32_e32 v69, v69, v69
	v_max_f32_e32 v29, v29, v69
	ds_bpermute_b32 v69, v63, v29
	;; [unrolled: 4-line block ×4, first 2 shown]
	s_and_saveexec_b64 s[36:37], s[6:7]
	s_xor_b64 s[6:7], exec, s[36:37]
	s_cbranch_execz .LBB76_55
; %bb.54:                               ;   in Loop: Header=BB76_29 Depth=1
	v_add_f32_e64 v70, |v26|, |v26|
	v_mul_f32_e32 v71, 0x3fb8aa3b, v70
	v_rndne_f32_e32 v72, v71
	v_sub_f32_e32 v73, v71, v72
	v_fma_f32 v71, v70, s24, -v71
	v_fmac_f32_e32 v71, 0x32a5705f, v70
	v_add_f32_e32 v71, v73, v71
	v_cvt_i32_f32_e32 v72, v72
	v_exp_f32_e32 v71, v71
	v_cmp_ngt_f32_e32 vcc, s25, v70
	v_ldexp_f32 v71, v71, v72
	s_nop 0
	v_cndmask_b32_e32 v71, 0, v71, vcc
	v_cmp_nlt_f32_e32 vcc, s26, v70
	s_nop 1
	v_cndmask_b32_e32 v70, v40, v71, vcc
	v_add_f32_e32 v70, 1.0, v70
	v_rcp_f32_e32 v70, v70
	s_nop 0
	v_fma_f32 v70, v70, -2.0, 1.0
.LBB76_55:                              ;   in Loop: Header=BB76_29 Depth=1
	s_andn2_saveexec_b64 s[6:7], s[6:7]
; %bb.56:                               ;   in Loop: Header=BB76_29 Depth=1
	v_mul_f32_e32 v70, v26, v26
	v_fmamk_f32 v71, v70, 0xbbbac73d, v39
	v_fmaak_f32 v71, v70, v71, 0xbd5c1c4e
	v_fmaak_f32 v71, v70, v71, 0x3e088382
	;; [unrolled: 1-line block ×3, first 2 shown]
	v_mul_f32_e64 v71, |v26|, v71
	v_fma_f32 v70, v70, v71, |v26|
; %bb.57:                               ;   in Loop: Header=BB76_29 Depth=1
	s_or_b64 exec, exec, s[6:7]
	v_cmp_nlt_f32_e64 s[6:7], |v28|, s21
                                        ; implicit-def: $vgpr71
	s_and_saveexec_b64 s[36:37], s[6:7]
	s_xor_b64 s[6:7], exec, s[36:37]
	s_cbranch_execz .LBB76_59
; %bb.58:                               ;   in Loop: Header=BB76_29 Depth=1
	v_add_f32_e64 v71, |v28|, |v28|
	v_mul_f32_e32 v72, 0x3fb8aa3b, v71
	v_rndne_f32_e32 v73, v72
	v_sub_f32_e32 v74, v72, v73
	v_fma_f32 v72, v71, s24, -v72
	v_fmac_f32_e32 v72, 0x32a5705f, v71
	v_add_f32_e32 v72, v74, v72
	v_cvt_i32_f32_e32 v73, v73
	v_exp_f32_e32 v72, v72
	v_cmp_ngt_f32_e32 vcc, s25, v71
	v_ldexp_f32 v72, v72, v73
	s_nop 0
	v_cndmask_b32_e32 v72, 0, v72, vcc
	v_cmp_nlt_f32_e32 vcc, s26, v71
	s_nop 1
	v_cndmask_b32_e32 v71, v40, v72, vcc
	v_add_f32_e32 v71, 1.0, v71
	v_rcp_f32_e32 v71, v71
	s_nop 0
	v_fma_f32 v71, v71, -2.0, 1.0
.LBB76_59:                              ;   in Loop: Header=BB76_29 Depth=1
	s_andn2_saveexec_b64 s[6:7], s[6:7]
; %bb.60:                               ;   in Loop: Header=BB76_29 Depth=1
	v_mul_f32_e32 v71, v28, v28
	v_fmamk_f32 v72, v71, 0xbbbac73d, v39
	v_fmaak_f32 v72, v71, v72, 0xbd5c1c4e
	v_fmaak_f32 v72, v71, v72, 0x3e088382
	;; [unrolled: 1-line block ×3, first 2 shown]
	v_mul_f32_e64 v72, |v28|, v72
	v_fma_f32 v71, v71, v72, |v28|
; %bb.61:                               ;   in Loop: Header=BB76_29 Depth=1
	s_or_b64 exec, exec, s[6:7]
	v_bfi_b32 v26, s27, v70, v26
	v_bfi_b32 v28, s27, v71, v28
	v_fmac_f32_e32 v60, s10, v26
	v_fmac_f32_e32 v59, s10, v28
	v_add_f32_e32 v26, 0x40051340, v60
	v_add_f32_e32 v28, 0x40051340, v59
	v_max3_f32 v26, v48, v26, v28
	ds_bpermute_b32 v1, v1, v26
	s_waitcnt lgkmcnt(1)
	v_max_f32_e32 v28, v69, v69
	v_max_f32_e32 v65, v65, v65
	;; [unrolled: 1-line block ×4, first 2 shown]
	s_waitcnt lgkmcnt(0)
	v_max_f32_e32 v1, v1, v1
	v_max_f32_e32 v1, v26, v1
	ds_bpermute_b32 v2, v2, v1
	v_max_f32_e32 v26, v29, v29
	v_max_f32_e32 v29, v68, v68
	s_mul_hi_i32 s7, s2, s11
	s_mul_i32 s6, s2, s11
	s_waitcnt lgkmcnt(0)
	v_max_f32_e32 v2, v2, v2
	v_max_f32_e32 v68, v1, v2
	ds_bpermute_b32 v63, v63, v68
	v_max_f32_e32 v2, v26, v28
	v_max_f32_e32 v1, v67, v29
	v_sub_f32_e32 v52, v52, v1
	v_sub_f32_e32 v72, v50, v2
	s_waitcnt lgkmcnt(0)
	v_max_f32_e32 v26, v63, v63
	v_max_f32_e32 v26, v68, v26
	ds_bpermute_b32 v28, v0, v26
	v_max_f32_e32 v0, v64, v65
	v_sub_f32_e32 v29, v3, v0
	v_mul_f32_e32 v3, 0x3fb8aa3b, v29
	v_fma_f32 v63, v29, s24, -v3
	s_waitcnt lgkmcnt(0)
	v_max_f32_e32 v28, v28, v28
	v_max_f32_e32 v26, v26, v28
	ds_bpermute_b32 v28, v62, v26
	v_rndne_f32_e32 v62, v3
	v_fmac_f32_e32 v63, 0x32a5705f, v29
	v_sub_f32_e32 v3, v3, v62
	v_add_f32_e32 v63, v3, v63
	s_waitcnt lgkmcnt(0)
	v_max_f32_e32 v3, v28, v28
	v_max_f32_e32 v3, v26, v3
	v_exp_f32_e32 v26, v63
	v_cvt_i32_f32_e32 v28, v62
	v_sub_f32_e32 v62, v24, v0
	v_cmp_ngt_f32_e32 vcc, s25, v29
	v_mul_f32_e32 v50, 0x3fb8aa3b, v72
	v_ldexp_f32 v24, v26, v28
	v_sub_f32_e32 v26, v61, v0
	v_mul_f32_e32 v28, 0x3fb8aa3b, v26
	v_fma_f32 v61, v26, s24, -v28
	v_rndne_f32_e32 v63, v28
	v_fmac_f32_e32 v61, 0x32a5705f, v26
	v_sub_f32_e32 v28, v28, v63
	v_add_f32_e32 v28, v28, v61
	v_exp_f32_e32 v28, v28
	v_cvt_i32_f32_e32 v61, v63
	v_cndmask_b32_e32 v24, 0, v24, vcc
	v_cmp_nlt_f32_e32 vcc, s26, v29
	v_mul_f32_e32 v29, 0x3fb8aa3b, v62
	v_ldexp_f32 v28, v28, v61
	v_fma_f32 v61, v62, s24, -v29
	v_rndne_f32_e32 v63, v29
	v_fmac_f32_e32 v61, 0x32a5705f, v62
	v_sub_f32_e32 v29, v29, v63
	v_add_f32_e32 v29, v29, v61
	v_exp_f32_e32 v29, v29
	v_cvt_i32_f32_e32 v61, v63
	v_cndmask_b32_e32 v24, v40, v24, vcc
	v_cmp_ngt_f32_e32 vcc, s25, v26
	s_lshl_b64 s[6:7], s[6:7], 2
	s_add_u32 s6, s8, s6
	v_cndmask_b32_e32 v28, 0, v28, vcc
	v_cmp_nlt_f32_e32 vcc, s26, v26
	s_addc_u32 s7, s9, s7
	s_nop 0
	v_cndmask_b32_e32 v26, v40, v28, vcc
	v_ldexp_f32 v28, v29, v61
	v_cmp_ngt_f32_e32 vcc, s25, v62
	v_mul_f32_e32 v61, 0x3fb8aa3b, v52
	v_rndne_f32_e32 v63, v61
	v_cndmask_b32_e32 v28, 0, v28, vcc
	v_cmp_nlt_f32_e32 vcc, s26, v62
	v_fma_f32 v62, v52, s24, -v61
	v_fmac_f32_e32 v62, 0x32a5705f, v52
	v_cndmask_b32_e32 v28, v40, v28, vcc
	v_cvt_f16_f32_e32 v29, v28
	v_sub_f32_e32 v61, v61, v63
	v_add_f32_e32 v61, v61, v62
	v_exp_f32_e32 v61, v61
	v_cvt_i32_f32_e32 v62, v63
	v_mul_u32_u24_e32 v74, 0x10001, v29
	v_sub_f32_e32 v29, v27, v1
	v_sub_f32_e32 v27, v51, v1
	v_mul_f32_e32 v51, 0x3fb8aa3b, v27
	v_pk_mul_f16 v75, v25, v74
	v_ldexp_f32 v25, v61, v62
	v_fma_f32 v61, v27, s24, -v51
	v_rndne_f32_e32 v62, v51
	v_fmac_f32_e32 v61, 0x32a5705f, v27
	v_sub_f32_e32 v51, v51, v62
	v_add_f32_e32 v51, v51, v61
	v_exp_f32_e32 v51, v51
	v_cvt_i32_f32_e32 v61, v62
	v_cmp_ngt_f32_e32 vcc, s25, v52
	s_barrier
	s_nop 0
	v_cndmask_b32_e32 v25, 0, v25, vcc
	v_cmp_nlt_f32_e32 vcc, s26, v52
	v_mul_f32_e32 v52, 0x3fb8aa3b, v29
	v_ldexp_f32 v51, v51, v61
	v_fma_f32 v61, v29, s24, -v52
	v_rndne_f32_e32 v62, v52
	v_fmac_f32_e32 v61, 0x32a5705f, v29
	v_sub_f32_e32 v52, v52, v62
	v_add_f32_e32 v52, v52, v61
	v_exp_f32_e32 v52, v52
	v_cvt_i32_f32_e32 v61, v62
	v_cndmask_b32_e32 v25, v40, v25, vcc
	v_cmp_ngt_f32_e32 vcc, s25, v27
	v_sub_f32_e32 v49, v49, v2
	v_sub_f32_e32 v48, v48, v3
	v_cndmask_b32_e32 v51, 0, v51, vcc
	v_cmp_nlt_f32_e32 vcc, s26, v27
	s_nop 1
	v_cndmask_b32_e32 v27, v40, v51, vcc
	v_ldexp_f32 v51, v52, v61
	v_sub_f32_e32 v52, v66, v2
	v_mul_f32_e32 v61, 0x3fb8aa3b, v52
	v_cmp_ngt_f32_e32 vcc, s25, v29
	v_fma_f32 v62, v52, s24, -v61
	v_rndne_f32_e32 v63, v61
	v_cndmask_b32_e32 v51, 0, v51, vcc
	v_cmp_nlt_f32_e32 vcc, s26, v29
	v_fmac_f32_e32 v62, 0x32a5705f, v52
	v_sub_f32_e32 v61, v61, v63
	v_cndmask_b32_e32 v29, v40, v51, vcc
	v_add_f32_e32 v61, v61, v62
	v_cvt_f16_f32_e32 v51, v29
	v_exp_f32_e32 v61, v61
	v_cvt_i32_f32_e32 v62, v63
	v_cmp_ngt_f32_e32 vcc, s25, v52
	v_mul_u32_u24_e32 v76, 0x10001, v51
	v_pk_mul_f16 v47, v47, v76
	v_ldexp_f32 v51, v61, v62
	v_cndmask_b32_e32 v61, 0, v51, vcc
	v_fma_f32 v51, v72, s24, -v50
	v_rndne_f32_e32 v62, v50
	v_fmac_f32_e32 v51, 0x32a5705f, v72
	v_sub_f32_e32 v50, v50, v62
	v_add_f32_e32 v50, v50, v51
	v_exp_f32_e32 v73, v50
	v_lshl_add_u64 v[50:51], s[6:7], 0, v[20:21]
	v_cvt_i32_f32_e32 v77, v62
	v_lshl_add_u64 v[50:51], v[50:51], 0, v[10:11]
	v_lshl_add_u64 v[62:63], s[6:7], 0, v[22:23]
	v_lshl_add_u64 v[70:71], v[62:63], 0, v[10:11]
	global_load_dwordx4 v[62:65], v[50:51], off
	global_load_dwordx4 v[66:69], v[70:71], off
	v_cmp_nlt_f32_e32 vcc, s26, v52
	v_mul_f32_e32 v52, 0x3fb8aa3b, v49
	v_rndne_f32_e32 v70, v52
	v_cndmask_b32_e32 v50, v40, v61, vcc
	v_fma_f32 v61, v49, s24, -v52
	v_fmac_f32_e32 v61, 0x32a5705f, v49
	v_sub_f32_e32 v52, v52, v70
	v_add_f32_e32 v52, v52, v61
	v_exp_f32_e32 v52, v52
	v_cvt_i32_f32_e32 v61, v70
	v_ldexp_f32 v51, v73, v77
	v_cmp_ngt_f32_e32 vcc, s25, v72
	s_or_b32 s6, s2, 32
	s_mul_hi_i32 s7, s6, s11
	v_cndmask_b32_e32 v51, 0, v51, vcc
	v_cmp_nlt_f32_e32 vcc, s26, v72
	s_mul_i32 s6, s6, s11
	s_lshl_b64 s[6:7], s[6:7], 2
	v_cndmask_b32_e32 v70, v40, v51, vcc
	v_ldexp_f32 v51, v52, v61
	v_cmp_ngt_f32_e32 vcc, s25, v49
	s_add_u32 s6, s8, s6
	s_addc_u32 s7, s9, s7
	v_cndmask_b32_e32 v51, 0, v51, vcc
	v_cmp_nlt_f32_e32 vcc, s26, v49
	s_nop 1
	v_cndmask_b32_e32 v72, v40, v51, vcc
	v_sub_f32_e32 v51, v60, v3
	v_mul_f32_e32 v52, 0x3fb8aa3b, v51
	v_fma_f32 v60, v51, s24, -v52
	v_rndne_f32_e32 v61, v52
	v_fmac_f32_e32 v60, 0x32a5705f, v51
	v_sub_f32_e32 v52, v52, v61
	v_add_f32_e32 v52, v52, v60
	v_cvt_f16_f32_e32 v49, v72
	v_exp_f32_e32 v52, v52
	v_cvt_i32_f32_e32 v60, v61
	v_cmp_ngt_f32_e32 vcc, s25, v51
	v_mul_u32_u24_e32 v77, 0x10001, v49
	v_pk_mul_f16 v45, v45, v77
	v_ldexp_f32 v49, v52, v60
	v_sub_f32_e32 v52, v59, v3
	v_mul_f32_e32 v59, 0x3fb8aa3b, v52
	v_fma_f32 v60, v52, s24, -v59
	v_rndne_f32_e32 v61, v59
	v_fmac_f32_e32 v60, 0x32a5705f, v52
	v_sub_f32_e32 v59, v59, v61
	v_add_f32_e32 v59, v59, v60
	v_exp_f32_e32 v59, v59
	v_cvt_i32_f32_e32 v60, v61
	v_cndmask_b32_e32 v49, 0, v49, vcc
	v_cmp_nlt_f32_e32 vcc, s26, v51
	s_nop 1
	v_cndmask_b32_e32 v51, v40, v49, vcc
	v_ldexp_f32 v49, v59, v60
	v_mul_f32_e32 v59, 0x3fb8aa3b, v48
	v_fma_f32 v60, v48, s24, -v59
	v_rndne_f32_e32 v61, v59
	v_fmac_f32_e32 v60, 0x32a5705f, v48
	v_sub_f32_e32 v59, v59, v61
	v_add_f32_e32 v59, v59, v60
	v_exp_f32_e32 v59, v59
	v_cvt_i32_f32_e32 v60, v61
	v_cmp_ngt_f32_e32 vcc, s25, v52
	s_nop 1
	v_cndmask_b32_e32 v49, 0, v49, vcc
	v_cmp_nlt_f32_e32 vcc, s26, v52
	s_nop 1
	v_cndmask_b32_e32 v71, v40, v49, vcc
	v_ldexp_f32 v49, v59, v60
	v_cmp_ngt_f32_e32 vcc, s25, v48
	v_pk_add_f32 v[60:61], v[50:51], v[70:71]
	s_nop 0
	v_cndmask_b32_e32 v49, 0, v49, vcc
	v_cmp_nlt_f32_e32 vcc, s26, v48
	s_nop 1
	v_cndmask_b32_e32 v73, v40, v49, vcc
	v_cvt_f16_f32_e32 v52, v73
	v_pk_add_f32 v[48:49], v[24:25], v[26:27]
	v_pk_fma_f32 v[6:7], v[6:7], v[72:73], v[60:61]
	v_pk_fma_f32 v[8:9], v[8:9], v[28:29], v[48:49]
	v_mul_u32_u24_e32 v28, 0x10001, v52
	v_pk_mul_f16 v42, v42, v28
	v_pk_mul_f16 v41, v41, v28
	v_add_u32_e32 v48, v36, v32
	v_cvt_pk_f16_f32 v29, v50, v51
	v_cvt_pk_f16_f32 v28, v24, v25
	;; [unrolled: 1-line block ×4, first 2 shown]
	ds_write2_b64 v48, v[28:29], v[24:25] offset1:32
	s_waitcnt vmcnt(1)
	ds_write_b128 v37, v[62:65]
	s_waitcnt vmcnt(0)
	ds_write_b128 v38, v[66:69]
	s_waitcnt lgkmcnt(0)
	s_barrier
	ds_read_b128 v[24:27], v36
	ds_read2_b64 v[48:51], v32 offset1:32
	ds_read_b128 v[60:63], v36 offset:16
	ds_read_b128 v[64:67], v36 offset:32
	;; [unrolled: 1-line block ×3, first 2 shown]
	s_waitcnt lgkmcnt(4)
	v_mul_u32_u24_sdwa v28, v24, s29 dst_sel:DWORD dst_unused:UNUSED_PAD src0_sel:WORD_0 src1_sel:DWORD
	v_mul_u32_u24_sdwa v24, v24, s29 dst_sel:DWORD dst_unused:UNUSED_PAD src0_sel:WORD_1 src1_sel:DWORD
	s_waitcnt lgkmcnt(3)
	v_pk_mul_f16 v52, v48, v28
	v_mul_u32_u24_sdwa v29, v25, s29 dst_sel:DWORD dst_unused:UNUSED_PAD src0_sel:WORD_0 src1_sel:DWORD
	v_pk_fma_f16 v46, v46, v74, v52
	v_pk_mul_f16 v52, v48, v24
	v_mul_u32_u24_sdwa v25, v25, s29 dst_sel:DWORD dst_unused:UNUSED_PAD src0_sel:WORD_1 src1_sel:DWORD
	v_pk_fma_f16 v44, v44, v76, v52
	v_pk_mul_f16 v52, v48, v29
	v_pk_fma_f16 v42, v48, v25, v42
	v_pk_fma_f16 v43, v43, v77, v52
	;; [unrolled: 1-line block ×6, first 2 shown]
	v_mul_u32_u24_sdwa v41, v26, s29 dst_sel:DWORD dst_unused:UNUSED_PAD src0_sel:WORD_0 src1_sel:DWORD
	v_mul_u32_u24_sdwa v26, v26, s29 dst_sel:DWORD dst_unused:UNUSED_PAD src0_sel:WORD_1 src1_sel:DWORD
	v_mul_u32_u24_sdwa v45, v27, s29 dst_sel:DWORD dst_unused:UNUSED_PAD src0_sel:WORD_0 src1_sel:DWORD
	v_mul_u32_u24_sdwa v27, v27, s29 dst_sel:DWORD dst_unused:UNUSED_PAD src0_sel:WORD_1 src1_sel:DWORD
	v_pk_fma_f16 v46, v50, v41, v46
	v_pk_fma_f16 v44, v50, v26, v44
	;; [unrolled: 1-line block ×8, first 2 shown]
	ds_read2_b64 v[24:27], v32 offset0:64 offset1:96
	s_waitcnt lgkmcnt(3)
	v_mul_u32_u24_sdwa v47, v60, s29 dst_sel:DWORD dst_unused:UNUSED_PAD src0_sel:WORD_0 src1_sel:DWORD
	v_mul_u32_u24_sdwa v48, v60, s29 dst_sel:DWORD dst_unused:UNUSED_PAD src0_sel:WORD_1 src1_sel:DWORD
	v_mul_u32_u24_sdwa v49, v61, s29 dst_sel:DWORD dst_unused:UNUSED_PAD src0_sel:WORD_0 src1_sel:DWORD
	v_mul_u32_u24_sdwa v50, v61, s29 dst_sel:DWORD dst_unused:UNUSED_PAD src0_sel:WORD_1 src1_sel:DWORD
	s_waitcnt lgkmcnt(0)
	v_pk_fma_f16 v46, v24, v47, v46
	v_pk_fma_f16 v44, v24, v48, v44
	v_pk_fma_f16 v43, v24, v49, v43
	v_pk_fma_f16 v24, v24, v50, v42
	v_pk_fma_f16 v28, v25, v47, v28
	v_pk_fma_f16 v41, v25, v48, v41
	v_pk_fma_f16 v29, v25, v49, v29
	v_pk_fma_f16 v25, v25, v50, v45
	v_mul_u32_u24_sdwa v42, v62, s29 dst_sel:DWORD dst_unused:UNUSED_PAD src0_sel:WORD_0 src1_sel:DWORD
	v_mul_u32_u24_sdwa v45, v62, s29 dst_sel:DWORD dst_unused:UNUSED_PAD src0_sel:WORD_1 src1_sel:DWORD
	v_mul_u32_u24_sdwa v47, v63, s29 dst_sel:DWORD dst_unused:UNUSED_PAD src0_sel:WORD_0 src1_sel:DWORD
	v_mul_u32_u24_sdwa v48, v63, s29 dst_sel:DWORD dst_unused:UNUSED_PAD src0_sel:WORD_1 src1_sel:DWORD
	v_pk_fma_f16 v46, v26, v42, v46
	v_pk_fma_f16 v44, v26, v45, v44
	;; [unrolled: 1-line block ×8, first 2 shown]
	ds_read2_b64 v[24:27], v32 offset0:128 offset1:160
	v_mul_u32_u24_sdwa v45, v64, s29 dst_sel:DWORD dst_unused:UNUSED_PAD src0_sel:WORD_0 src1_sel:DWORD
	v_mul_u32_u24_sdwa v47, v64, s29 dst_sel:DWORD dst_unused:UNUSED_PAD src0_sel:WORD_1 src1_sel:DWORD
	v_mul_u32_u24_sdwa v48, v65, s29 dst_sel:DWORD dst_unused:UNUSED_PAD src0_sel:WORD_0 src1_sel:DWORD
	v_mul_u32_u24_sdwa v50, v65, s29 dst_sel:DWORD dst_unused:UNUSED_PAD src0_sel:WORD_1 src1_sel:DWORD
	s_waitcnt lgkmcnt(0)
	v_pk_fma_f16 v46, v24, v45, v46
	v_pk_fma_f16 v44, v24, v47, v44
	;; [unrolled: 1-line block ×8, first 2 shown]
	v_mul_u32_u24_sdwa v42, v66, s29 dst_sel:DWORD dst_unused:UNUSED_PAD src0_sel:WORD_0 src1_sel:DWORD
	v_mul_u32_u24_sdwa v45, v66, s29 dst_sel:DWORD dst_unused:UNUSED_PAD src0_sel:WORD_1 src1_sel:DWORD
	v_mul_u32_u24_sdwa v47, v67, s29 dst_sel:DWORD dst_unused:UNUSED_PAD src0_sel:WORD_0 src1_sel:DWORD
	v_mul_u32_u24_sdwa v48, v67, s29 dst_sel:DWORD dst_unused:UNUSED_PAD src0_sel:WORD_1 src1_sel:DWORD
	v_pk_fma_f16 v46, v26, v42, v46
	v_pk_fma_f16 v44, v26, v45, v44
	;; [unrolled: 1-line block ×8, first 2 shown]
	ds_read2_b64 v[24:27], v32 offset0:192 offset1:224
	v_mul_u32_u24_sdwa v45, v68, s29 dst_sel:DWORD dst_unused:UNUSED_PAD src0_sel:WORD_0 src1_sel:DWORD
	v_mul_u32_u24_sdwa v47, v68, s29 dst_sel:DWORD dst_unused:UNUSED_PAD src0_sel:WORD_1 src1_sel:DWORD
	v_mul_u32_u24_sdwa v48, v69, s29 dst_sel:DWORD dst_unused:UNUSED_PAD src0_sel:WORD_0 src1_sel:DWORD
	v_mul_u32_u24_sdwa v50, v69, s29 dst_sel:DWORD dst_unused:UNUSED_PAD src0_sel:WORD_1 src1_sel:DWORD
	s_waitcnt lgkmcnt(0)
	v_pk_fma_f16 v46, v24, v45, v46
	v_pk_fma_f16 v44, v24, v47, v44
	;; [unrolled: 1-line block ×7, first 2 shown]
	v_mul_u32_u24_sdwa v42, v70, s29 dst_sel:DWORD dst_unused:UNUSED_PAD src0_sel:WORD_0 src1_sel:DWORD
	v_mul_u32_u24_sdwa v45, v70, s29 dst_sel:DWORD dst_unused:UNUSED_PAD src0_sel:WORD_1 src1_sel:DWORD
	v_mul_u32_u24_sdwa v47, v71, s29 dst_sel:DWORD dst_unused:UNUSED_PAD src0_sel:WORD_0 src1_sel:DWORD
	v_pk_fma_f16 v24, v24, v50, v49
	v_mul_u32_u24_sdwa v48, v71, s29 dst_sel:DWORD dst_unused:UNUSED_PAD src0_sel:WORD_1 src1_sel:DWORD
	v_pk_fma_f16 v50, v26, v42, v46
	v_pk_fma_f16 v51, v26, v45, v44
	;; [unrolled: 1-line block ×5, first 2 shown]
	ds_read_b128 v[42:45], v36 offset:64
	v_pk_fma_f16 v59, v26, v48, v24
	v_add_u32_e32 v24, 0x800, v32
	v_pk_fma_f16 v61, v27, v47, v29
	v_pk_fma_f16 v25, v27, v48, v25
	ds_read2_b64 v[26:29], v24 offset1:32
	ds_read_b128 v[46:49], v36 offset:80
	s_waitcnt lgkmcnt(2)
	v_mul_u32_u24_sdwa v62, v42, s29 dst_sel:DWORD dst_unused:UNUSED_PAD src0_sel:WORD_0 src1_sel:DWORD
	v_mul_u32_u24_sdwa v42, v42, s29 dst_sel:DWORD dst_unused:UNUSED_PAD src0_sel:WORD_1 src1_sel:DWORD
	v_mul_u32_u24_sdwa v63, v43, s29 dst_sel:DWORD dst_unused:UNUSED_PAD src0_sel:WORD_0 src1_sel:DWORD
	v_mul_u32_u24_sdwa v43, v43, s29 dst_sel:DWORD dst_unused:UNUSED_PAD src0_sel:WORD_1 src1_sel:DWORD
	s_waitcnt lgkmcnt(1)
	v_pk_fma_f16 v50, v26, v62, v50
	v_pk_fma_f16 v51, v26, v42, v51
	;; [unrolled: 1-line block ×8, first 2 shown]
	v_mul_u32_u24_sdwa v27, v44, s29 dst_sel:DWORD dst_unused:UNUSED_PAD src0_sel:WORD_0 src1_sel:DWORD
	v_mul_u32_u24_sdwa v43, v44, s29 dst_sel:DWORD dst_unused:UNUSED_PAD src0_sel:WORD_1 src1_sel:DWORD
	v_mul_u32_u24_sdwa v44, v45, s29 dst_sel:DWORD dst_unused:UNUSED_PAD src0_sel:WORD_0 src1_sel:DWORD
	v_mul_u32_u24_sdwa v45, v45, s29 dst_sel:DWORD dst_unused:UNUSED_PAD src0_sel:WORD_1 src1_sel:DWORD
	v_pk_fma_f16 v50, v28, v27, v50
	v_pk_fma_f16 v51, v28, v43, v51
	;; [unrolled: 1-line block ×8, first 2 shown]
	ds_read2_b64 v[26:29], v24 offset0:64 offset1:96
	s_waitcnt lgkmcnt(1)
	v_mul_u32_u24_sdwa v43, v46, s29 dst_sel:DWORD dst_unused:UNUSED_PAD src0_sel:WORD_0 src1_sel:DWORD
	v_mul_u32_u24_sdwa v44, v46, s29 dst_sel:DWORD dst_unused:UNUSED_PAD src0_sel:WORD_1 src1_sel:DWORD
	v_mul_u32_u24_sdwa v45, v47, s29 dst_sel:DWORD dst_unused:UNUSED_PAD src0_sel:WORD_0 src1_sel:DWORD
	v_mul_u32_u24_sdwa v46, v47, s29 dst_sel:DWORD dst_unused:UNUSED_PAD src0_sel:WORD_1 src1_sel:DWORD
	s_waitcnt lgkmcnt(0)
	v_pk_fma_f16 v47, v26, v43, v50
	v_pk_fma_f16 v50, v26, v44, v51
	;; [unrolled: 1-line block ×7, first 2 shown]
	v_mul_u32_u24_sdwa v27, v48, s29 dst_sel:DWORD dst_unused:UNUSED_PAD src0_sel:WORD_0 src1_sel:DWORD
	v_mul_u32_u24_sdwa v42, v48, s29 dst_sel:DWORD dst_unused:UNUSED_PAD src0_sel:WORD_1 src1_sel:DWORD
	v_pk_fma_f16 v50, v28, v42, v50
	v_pk_fma_f16 v61, v29, v27, v43
	v_pk_fma_f16 v41, v29, v42, v41
	ds_read_b128 v[42:45], v36 offset:96
	v_pk_fma_f16 v26, v26, v46, v60
	v_mul_u32_u24_sdwa v46, v49, s29 dst_sel:DWORD dst_unused:UNUSED_PAD src0_sel:WORD_0 src1_sel:DWORD
	v_mul_u32_u24_sdwa v48, v49, s29 dst_sel:DWORD dst_unused:UNUSED_PAD src0_sel:WORD_1 src1_sel:DWORD
	v_pk_fma_f16 v59, v28, v27, v47
	v_pk_fma_f16 v51, v28, v46, v51
	;; [unrolled: 1-line block ×5, first 2 shown]
	ds_read2_b64 v[26:29], v24 offset0:128 offset1:160
	ds_read_b128 v[46:49], v36 offset:112
	s_waitcnt lgkmcnt(2)
	v_mul_u32_u24_sdwa v62, v42, s29 dst_sel:DWORD dst_unused:UNUSED_PAD src0_sel:WORD_0 src1_sel:DWORD
	v_mul_u32_u24_sdwa v42, v42, s29 dst_sel:DWORD dst_unused:UNUSED_PAD src0_sel:WORD_1 src1_sel:DWORD
	v_mul_u32_u24_sdwa v63, v43, s29 dst_sel:DWORD dst_unused:UNUSED_PAD src0_sel:WORD_0 src1_sel:DWORD
	v_mul_u32_u24_sdwa v43, v43, s29 dst_sel:DWORD dst_unused:UNUSED_PAD src0_sel:WORD_1 src1_sel:DWORD
	s_waitcnt lgkmcnt(1)
	v_pk_fma_f16 v59, v26, v62, v59
	v_pk_fma_f16 v50, v26, v42, v50
	;; [unrolled: 1-line block ×8, first 2 shown]
	v_mul_u32_u24_sdwa v27, v44, s29 dst_sel:DWORD dst_unused:UNUSED_PAD src0_sel:WORD_0 src1_sel:DWORD
	v_mul_u32_u24_sdwa v43, v44, s29 dst_sel:DWORD dst_unused:UNUSED_PAD src0_sel:WORD_1 src1_sel:DWORD
	v_mul_u32_u24_sdwa v44, v45, s29 dst_sel:DWORD dst_unused:UNUSED_PAD src0_sel:WORD_0 src1_sel:DWORD
	v_mul_u32_u24_sdwa v45, v45, s29 dst_sel:DWORD dst_unused:UNUSED_PAD src0_sel:WORD_1 src1_sel:DWORD
	v_pk_fma_f16 v52, v28, v27, v59
	v_pk_fma_f16 v50, v28, v43, v50
	;; [unrolled: 1-line block ×8, first 2 shown]
	ds_read2_b64 v[26:29], v24 offset0:192 offset1:224
	s_waitcnt lgkmcnt(1)
	v_mul_u32_u24_sdwa v43, v46, s29 dst_sel:DWORD dst_unused:UNUSED_PAD src0_sel:WORD_0 src1_sel:DWORD
	v_mul_u32_u24_sdwa v44, v46, s29 dst_sel:DWORD dst_unused:UNUSED_PAD src0_sel:WORD_1 src1_sel:DWORD
	v_mul_u32_u24_sdwa v45, v47, s29 dst_sel:DWORD dst_unused:UNUSED_PAD src0_sel:WORD_0 src1_sel:DWORD
	v_mul_u32_u24_sdwa v46, v47, s29 dst_sel:DWORD dst_unused:UNUSED_PAD src0_sel:WORD_1 src1_sel:DWORD
	s_waitcnt lgkmcnt(0)
	v_pk_fma_f16 v47, v26, v43, v52
	v_pk_fma_f16 v50, v26, v44, v50
	;; [unrolled: 1-line block ×7, first 2 shown]
	v_mul_u32_u24_sdwa v27, v48, s29 dst_sel:DWORD dst_unused:UNUSED_PAD src0_sel:WORD_0 src1_sel:DWORD
	v_mul_u32_u24_sdwa v44, v48, s29 dst_sel:DWORD dst_unused:UNUSED_PAD src0_sel:WORD_1 src1_sel:DWORD
	v_mul_u32_u24_sdwa v45, v49, s29 dst_sel:DWORD dst_unused:UNUSED_PAD src0_sel:WORD_0 src1_sel:DWORD
	v_pk_fma_f16 v26, v26, v46, v59
	v_mul_u32_u24_sdwa v46, v49, s29 dst_sel:DWORD dst_unused:UNUSED_PAD src0_sel:WORD_1 src1_sel:DWORD
	v_pk_fma_f16 v50, v28, v44, v50
	v_pk_fma_f16 v51, v28, v45, v51
	;; [unrolled: 1-line block ×5, first 2 shown]
	ds_read_b128 v[42:45], v36 offset:128
	v_pk_fma_f16 v62, v29, v46, v25
	v_add_u32_e32 v25, 0x1000, v32
	v_pk_fma_f16 v52, v28, v27, v47
	v_pk_fma_f16 v59, v28, v46, v26
	ds_read2_b64 v[26:29], v25 offset1:32
	ds_read_b128 v[46:49], v36 offset:144
	s_waitcnt lgkmcnt(2)
	v_mul_u32_u24_sdwa v63, v42, s29 dst_sel:DWORD dst_unused:UNUSED_PAD src0_sel:WORD_0 src1_sel:DWORD
	v_mul_u32_u24_sdwa v42, v42, s29 dst_sel:DWORD dst_unused:UNUSED_PAD src0_sel:WORD_1 src1_sel:DWORD
	v_mul_u32_u24_sdwa v64, v43, s29 dst_sel:DWORD dst_unused:UNUSED_PAD src0_sel:WORD_0 src1_sel:DWORD
	v_mul_u32_u24_sdwa v43, v43, s29 dst_sel:DWORD dst_unused:UNUSED_PAD src0_sel:WORD_1 src1_sel:DWORD
	s_waitcnt lgkmcnt(1)
	v_pk_fma_f16 v52, v26, v63, v52
	v_pk_fma_f16 v50, v26, v42, v50
	;; [unrolled: 1-line block ×8, first 2 shown]
	v_mul_u32_u24_sdwa v43, v44, s29 dst_sel:DWORD dst_unused:UNUSED_PAD src0_sel:WORD_0 src1_sel:DWORD
	v_mul_u32_u24_sdwa v44, v44, s29 dst_sel:DWORD dst_unused:UNUSED_PAD src0_sel:WORD_1 src1_sel:DWORD
	v_mul_u32_u24_sdwa v60, v45, s29 dst_sel:DWORD dst_unused:UNUSED_PAD src0_sel:WORD_0 src1_sel:DWORD
	v_mul_u32_u24_sdwa v45, v45, s29 dst_sel:DWORD dst_unused:UNUSED_PAD src0_sel:WORD_1 src1_sel:DWORD
	v_pk_fma_f16 v52, v28, v43, v52
	v_pk_fma_f16 v50, v28, v44, v50
	;; [unrolled: 1-line block ×8, first 2 shown]
	ds_read2_b64 v[26:29], v25 offset0:64 offset1:96
	s_waitcnt lgkmcnt(1)
	v_mul_u32_u24_sdwa v45, v46, s29 dst_sel:DWORD dst_unused:UNUSED_PAD src0_sel:WORD_0 src1_sel:DWORD
	v_mul_u32_u24_sdwa v46, v46, s29 dst_sel:DWORD dst_unused:UNUSED_PAD src0_sel:WORD_1 src1_sel:DWORD
	v_mul_u32_u24_sdwa v59, v47, s29 dst_sel:DWORD dst_unused:UNUSED_PAD src0_sel:WORD_0 src1_sel:DWORD
	v_mul_u32_u24_sdwa v47, v47, s29 dst_sel:DWORD dst_unused:UNUSED_PAD src0_sel:WORD_1 src1_sel:DWORD
	s_waitcnt lgkmcnt(0)
	v_pk_fma_f16 v52, v26, v45, v52
	v_pk_fma_f16 v50, v26, v46, v50
	;; [unrolled: 1-line block ×6, first 2 shown]
	v_mul_u32_u24_sdwa v42, v48, s29 dst_sel:DWORD dst_unused:UNUSED_PAD src0_sel:WORD_0 src1_sel:DWORD
	v_mul_u32_u24_sdwa v44, v48, s29 dst_sel:DWORD dst_unused:UNUSED_PAD src0_sel:WORD_1 src1_sel:DWORD
	v_pk_fma_f16 v52, v28, v42, v52
	v_pk_fma_f16 v50, v28, v44, v50
	;; [unrolled: 1-line block ×4, first 2 shown]
	ds_read_b128 v[42:45], v36 offset:160
	v_pk_fma_f16 v51, v26, v59, v51
	v_pk_fma_f16 v26, v26, v47, v61
	v_mul_u32_u24_sdwa v47, v49, s29 dst_sel:DWORD dst_unused:UNUSED_PAD src0_sel:WORD_0 src1_sel:DWORD
	v_mul_u32_u24_sdwa v48, v49, s29 dst_sel:DWORD dst_unused:UNUSED_PAD src0_sel:WORD_1 src1_sel:DWORD
	v_pk_fma_f16 v51, v28, v47, v51
	v_pk_fma_f16 v59, v28, v48, v26
	;; [unrolled: 1-line block ×4, first 2 shown]
	ds_read2_b64 v[26:29], v25 offset0:128 offset1:160
	ds_read_b128 v[46:49], v36 offset:176
	s_waitcnt lgkmcnt(2)
	v_mul_u32_u24_sdwa v63, v42, s29 dst_sel:DWORD dst_unused:UNUSED_PAD src0_sel:WORD_0 src1_sel:DWORD
	v_mul_u32_u24_sdwa v42, v42, s29 dst_sel:DWORD dst_unused:UNUSED_PAD src0_sel:WORD_1 src1_sel:DWORD
	v_mul_u32_u24_sdwa v64, v43, s29 dst_sel:DWORD dst_unused:UNUSED_PAD src0_sel:WORD_0 src1_sel:DWORD
	v_mul_u32_u24_sdwa v43, v43, s29 dst_sel:DWORD dst_unused:UNUSED_PAD src0_sel:WORD_1 src1_sel:DWORD
	s_waitcnt lgkmcnt(1)
	v_pk_fma_f16 v52, v26, v63, v52
	v_pk_fma_f16 v50, v26, v42, v50
	;; [unrolled: 1-line block ×8, first 2 shown]
	v_mul_u32_u24_sdwa v43, v44, s29 dst_sel:DWORD dst_unused:UNUSED_PAD src0_sel:WORD_0 src1_sel:DWORD
	v_mul_u32_u24_sdwa v44, v44, s29 dst_sel:DWORD dst_unused:UNUSED_PAD src0_sel:WORD_1 src1_sel:DWORD
	v_mul_u32_u24_sdwa v60, v45, s29 dst_sel:DWORD dst_unused:UNUSED_PAD src0_sel:WORD_0 src1_sel:DWORD
	v_mul_u32_u24_sdwa v45, v45, s29 dst_sel:DWORD dst_unused:UNUSED_PAD src0_sel:WORD_1 src1_sel:DWORD
	v_pk_fma_f16 v52, v28, v43, v52
	v_pk_fma_f16 v50, v28, v44, v50
	;; [unrolled: 1-line block ×8, first 2 shown]
	ds_read2_b64 v[26:29], v25 offset0:192 offset1:224
	s_waitcnt lgkmcnt(1)
	v_mul_u32_u24_sdwa v45, v46, s29 dst_sel:DWORD dst_unused:UNUSED_PAD src0_sel:WORD_0 src1_sel:DWORD
	v_mul_u32_u24_sdwa v46, v46, s29 dst_sel:DWORD dst_unused:UNUSED_PAD src0_sel:WORD_1 src1_sel:DWORD
	v_mul_u32_u24_sdwa v59, v47, s29 dst_sel:DWORD dst_unused:UNUSED_PAD src0_sel:WORD_0 src1_sel:DWORD
	v_mul_u32_u24_sdwa v47, v47, s29 dst_sel:DWORD dst_unused:UNUSED_PAD src0_sel:WORD_1 src1_sel:DWORD
	s_waitcnt lgkmcnt(0)
	v_pk_fma_f16 v52, v26, v45, v52
	v_pk_fma_f16 v50, v26, v46, v50
	;; [unrolled: 1-line block ×6, first 2 shown]
	v_mul_u32_u24_sdwa v44, v48, s29 dst_sel:DWORD dst_unused:UNUSED_PAD src0_sel:WORD_0 src1_sel:DWORD
	v_mul_u32_u24_sdwa v45, v48, s29 dst_sel:DWORD dst_unused:UNUSED_PAD src0_sel:WORD_1 src1_sel:DWORD
	v_mul_u32_u24_sdwa v46, v49, s29 dst_sel:DWORD dst_unused:UNUSED_PAD src0_sel:WORD_0 src1_sel:DWORD
	v_pk_fma_f16 v51, v26, v59, v51
	v_pk_fma_f16 v26, v26, v47, v61
	v_mul_u32_u24_sdwa v47, v49, s29 dst_sel:DWORD dst_unused:UNUSED_PAD src0_sel:WORD_1 src1_sel:DWORD
	v_pk_fma_f16 v52, v28, v44, v52
	v_pk_fma_f16 v50, v28, v45, v50
	;; [unrolled: 1-line block ×5, first 2 shown]
	ds_read_b128 v[42:45], v36 offset:192
	v_pk_fma_f16 v51, v28, v46, v51
	v_pk_fma_f16 v28, v28, v47, v26
	v_add_u32_e32 v26, 0x1800, v32
	v_pk_fma_f16 v27, v29, v47, v27
	ds_read2_b64 v[46:49], v26 offset1:32
	ds_read_b128 v[60:63], v36 offset:208
	s_waitcnt lgkmcnt(2)
	v_mul_u32_u24_sdwa v29, v42, s29 dst_sel:DWORD dst_unused:UNUSED_PAD src0_sel:WORD_0 src1_sel:DWORD
	v_mul_u32_u24_sdwa v65, v43, s29 dst_sel:DWORD dst_unused:UNUSED_PAD src0_sel:WORD_0 src1_sel:DWORD
	v_mul_u32_u24_sdwa v43, v43, s29 dst_sel:DWORD dst_unused:UNUSED_PAD src0_sel:WORD_1 src1_sel:DWORD
	v_mul_u32_u24_sdwa v42, v42, s29 dst_sel:DWORD dst_unused:UNUSED_PAD src0_sel:WORD_1 src1_sel:DWORD
	s_waitcnt lgkmcnt(1)
	v_pk_fma_f16 v52, v46, v29, v52
	v_pk_fma_f16 v88, v46, v43, v28
	v_pk_fma_f16 v59, v47, v29, v59
	v_lshl_add_u64 v[28:29], s[6:7], 0, v[20:21]
	v_pk_fma_f16 v50, v46, v42, v50
	v_pk_fma_f16 v51, v46, v65, v51
	;; [unrolled: 1-line block ×5, first 2 shown]
	v_lshl_add_u64 v[28:29], v[28:29], 0, v[10:11]
	v_lshl_add_u64 v[46:47], s[6:7], 0, v[22:23]
	v_mul_u32_u24_sdwa v90, v44, s29 dst_sel:DWORD dst_unused:UNUSED_PAD src0_sel:WORD_0 src1_sel:DWORD
	v_mul_u32_u24_sdwa v91, v44, s29 dst_sel:DWORD dst_unused:UNUSED_PAD src0_sel:WORD_1 src1_sel:DWORD
	v_mul_u32_u24_sdwa v92, v45, s29 dst_sel:DWORD dst_unused:UNUSED_PAD src0_sel:WORD_0 src1_sel:DWORD
	v_mul_u32_u24_sdwa v93, v45, s29 dst_sel:DWORD dst_unused:UNUSED_PAD src0_sel:WORD_1 src1_sel:DWORD
	ds_read2_b64 v[42:45], v26 offset0:64 offset1:96
	ds_read2_b64 v[64:67], v26 offset0:128 offset1:160
	;; [unrolled: 1-line block ×3, first 2 shown]
	ds_read_b128 v[72:75], v36 offset:224
	ds_read_b128 v[76:79], v36 offset:240
	s_waitcnt lgkmcnt(0)
	s_barrier
	v_lshl_add_u64 v[46:47], v[46:47], 0, v[10:11]
	global_load_dwordx4 v[80:83], v[28:29], off
	global_load_dwordx4 v[84:87], v[46:47], off
	v_pk_fma_f16 v52, v48, v90, v52
	v_pk_fma_f16 v50, v48, v91, v50
	v_pk_fma_f16 v28, v48, v92, v51
	v_pk_fma_f16 v29, v48, v93, v88
	v_pk_fma_f16 v46, v49, v90, v59
	v_pk_fma_f16 v41, v49, v91, v41
	v_pk_fma_f16 v47, v49, v92, v89
	v_pk_fma_f16 v27, v49, v93, v27
	v_mul_u32_u24_sdwa v48, v60, s29 dst_sel:DWORD dst_unused:UNUSED_PAD src0_sel:WORD_0 src1_sel:DWORD
	v_mul_u32_u24_sdwa v49, v60, s29 dst_sel:DWORD dst_unused:UNUSED_PAD src0_sel:WORD_1 src1_sel:DWORD
	v_mul_u32_u24_sdwa v51, v61, s29 dst_sel:DWORD dst_unused:UNUSED_PAD src0_sel:WORD_0 src1_sel:DWORD
	v_mul_u32_u24_sdwa v59, v61, s29 dst_sel:DWORD dst_unused:UNUSED_PAD src0_sel:WORD_1 src1_sel:DWORD
	v_pk_fma_f16 v52, v42, v48, v52
	v_pk_fma_f16 v50, v42, v49, v50
	v_pk_fma_f16 v28, v42, v51, v28
	v_pk_fma_f16 v29, v42, v59, v29
	v_pk_fma_f16 v42, v43, v48, v46
	v_pk_fma_f16 v41, v43, v49, v41
	v_pk_fma_f16 v46, v43, v51, v47
	v_pk_fma_f16 v27, v43, v59, v27
	v_mul_u32_u24_sdwa v43, v62, s29 dst_sel:DWORD dst_unused:UNUSED_PAD src0_sel:WORD_0 src1_sel:DWORD
	v_mul_u32_u24_sdwa v47, v62, s29 dst_sel:DWORD dst_unused:UNUSED_PAD src0_sel:WORD_1 src1_sel:DWORD
	v_mul_u32_u24_sdwa v48, v63, s29 dst_sel:DWORD dst_unused:UNUSED_PAD src0_sel:WORD_0 src1_sel:DWORD
	v_mul_u32_u24_sdwa v49, v63, s29 dst_sel:DWORD dst_unused:UNUSED_PAD src0_sel:WORD_1 src1_sel:DWORD
	;; [unrolled: 12-line block ×6, first 2 shown]
	v_pk_fma_f16 v50, v70, v44, v48
	v_pk_fma_f16 v51, v70, v45, v49
	;; [unrolled: 1-line block ×8, first 2 shown]
	s_waitcnt vmcnt(1)
	ds_write_b128 v37, v[80:83]
	s_waitcnt vmcnt(0)
	ds_write_b128 v38, v[84:87]
	s_waitcnt lgkmcnt(0)
	s_barrier
	ds_read_b128 v[42:45], v36 offset:256
	ds_read2_b64 v[46:49], v32 offset1:32
	ds_read_b128 v[60:63], v36 offset:272
	ds_read_b128 v[64:67], v36 offset:288
	;; [unrolled: 1-line block ×3, first 2 shown]
	s_waitcnt lgkmcnt(4)
	v_mul_u32_u24_sdwa v72, v42, s29 dst_sel:DWORD dst_unused:UNUSED_PAD src0_sel:WORD_0 src1_sel:DWORD
	v_mul_u32_u24_sdwa v42, v42, s29 dst_sel:DWORD dst_unused:UNUSED_PAD src0_sel:WORD_1 src1_sel:DWORD
	v_mul_u32_u24_sdwa v73, v43, s29 dst_sel:DWORD dst_unused:UNUSED_PAD src0_sel:WORD_0 src1_sel:DWORD
	v_mul_u32_u24_sdwa v43, v43, s29 dst_sel:DWORD dst_unused:UNUSED_PAD src0_sel:WORD_1 src1_sel:DWORD
	s_waitcnt lgkmcnt(3)
	v_pk_fma_f16 v50, v46, v72, v50
	v_pk_fma_f16 v51, v46, v42, v51
	;; [unrolled: 1-line block ×8, first 2 shown]
	v_mul_u32_u24_sdwa v43, v44, s29 dst_sel:DWORD dst_unused:UNUSED_PAD src0_sel:WORD_0 src1_sel:DWORD
	v_mul_u32_u24_sdwa v44, v44, s29 dst_sel:DWORD dst_unused:UNUSED_PAD src0_sel:WORD_1 src1_sel:DWORD
	v_mul_u32_u24_sdwa v47, v45, s29 dst_sel:DWORD dst_unused:UNUSED_PAD src0_sel:WORD_0 src1_sel:DWORD
	v_mul_u32_u24_sdwa v45, v45, s29 dst_sel:DWORD dst_unused:UNUSED_PAD src0_sel:WORD_1 src1_sel:DWORD
	v_pk_fma_f16 v50, v48, v43, v50
	v_pk_fma_f16 v51, v48, v44, v51
	;; [unrolled: 1-line block ×8, first 2 shown]
	ds_read2_b64 v[42:45], v32 offset0:64 offset1:96
	s_waitcnt lgkmcnt(3)
	v_mul_u32_u24_sdwa v48, v60, s29 dst_sel:DWORD dst_unused:UNUSED_PAD src0_sel:WORD_0 src1_sel:DWORD
	v_mul_u32_u24_sdwa v49, v60, s29 dst_sel:DWORD dst_unused:UNUSED_PAD src0_sel:WORD_1 src1_sel:DWORD
	v_mul_u32_u24_sdwa v52, v61, s29 dst_sel:DWORD dst_unused:UNUSED_PAD src0_sel:WORD_0 src1_sel:DWORD
	v_mul_u32_u24_sdwa v59, v61, s29 dst_sel:DWORD dst_unused:UNUSED_PAD src0_sel:WORD_1 src1_sel:DWORD
	s_waitcnt lgkmcnt(0)
	v_pk_fma_f16 v50, v42, v48, v50
	v_pk_fma_f16 v51, v42, v49, v51
	;; [unrolled: 1-line block ×8, first 2 shown]
	v_mul_u32_u24_sdwa v43, v62, s29 dst_sel:DWORD dst_unused:UNUSED_PAD src0_sel:WORD_0 src1_sel:DWORD
	v_mul_u32_u24_sdwa v47, v62, s29 dst_sel:DWORD dst_unused:UNUSED_PAD src0_sel:WORD_1 src1_sel:DWORD
	v_mul_u32_u24_sdwa v48, v63, s29 dst_sel:DWORD dst_unused:UNUSED_PAD src0_sel:WORD_0 src1_sel:DWORD
	v_mul_u32_u24_sdwa v49, v63, s29 dst_sel:DWORD dst_unused:UNUSED_PAD src0_sel:WORD_1 src1_sel:DWORD
	v_pk_fma_f16 v50, v44, v43, v50
	v_pk_fma_f16 v51, v44, v47, v51
	;; [unrolled: 1-line block ×8, first 2 shown]
	ds_read2_b64 v[42:45], v32 offset0:128 offset1:160
	v_mul_u32_u24_sdwa v47, v64, s29 dst_sel:DWORD dst_unused:UNUSED_PAD src0_sel:WORD_0 src1_sel:DWORD
	v_mul_u32_u24_sdwa v48, v64, s29 dst_sel:DWORD dst_unused:UNUSED_PAD src0_sel:WORD_1 src1_sel:DWORD
	v_mul_u32_u24_sdwa v49, v65, s29 dst_sel:DWORD dst_unused:UNUSED_PAD src0_sel:WORD_0 src1_sel:DWORD
	v_mul_u32_u24_sdwa v59, v65, s29 dst_sel:DWORD dst_unused:UNUSED_PAD src0_sel:WORD_1 src1_sel:DWORD
	s_waitcnt lgkmcnt(0)
	v_pk_fma_f16 v50, v42, v47, v50
	v_pk_fma_f16 v51, v42, v48, v51
	;; [unrolled: 1-line block ×8, first 2 shown]
	v_mul_u32_u24_sdwa v43, v66, s29 dst_sel:DWORD dst_unused:UNUSED_PAD src0_sel:WORD_0 src1_sel:DWORD
	v_mul_u32_u24_sdwa v47, v66, s29 dst_sel:DWORD dst_unused:UNUSED_PAD src0_sel:WORD_1 src1_sel:DWORD
	v_mul_u32_u24_sdwa v48, v67, s29 dst_sel:DWORD dst_unused:UNUSED_PAD src0_sel:WORD_0 src1_sel:DWORD
	v_mul_u32_u24_sdwa v49, v67, s29 dst_sel:DWORD dst_unused:UNUSED_PAD src0_sel:WORD_1 src1_sel:DWORD
	v_pk_fma_f16 v50, v44, v43, v50
	v_pk_fma_f16 v51, v44, v47, v51
	;; [unrolled: 1-line block ×8, first 2 shown]
	ds_read2_b64 v[42:45], v32 offset0:192 offset1:224
	v_mul_u32_u24_sdwa v47, v68, s29 dst_sel:DWORD dst_unused:UNUSED_PAD src0_sel:WORD_0 src1_sel:DWORD
	v_mul_u32_u24_sdwa v48, v68, s29 dst_sel:DWORD dst_unused:UNUSED_PAD src0_sel:WORD_1 src1_sel:DWORD
	v_mul_u32_u24_sdwa v49, v69, s29 dst_sel:DWORD dst_unused:UNUSED_PAD src0_sel:WORD_0 src1_sel:DWORD
	v_mul_u32_u24_sdwa v59, v69, s29 dst_sel:DWORD dst_unused:UNUSED_PAD src0_sel:WORD_1 src1_sel:DWORD
	s_waitcnt lgkmcnt(0)
	v_pk_fma_f16 v50, v42, v47, v50
	v_pk_fma_f16 v51, v42, v48, v51
	;; [unrolled: 1-line block ×7, first 2 shown]
	v_mul_u32_u24_sdwa v46, v70, s29 dst_sel:DWORD dst_unused:UNUSED_PAD src0_sel:WORD_1 src1_sel:DWORD
	v_pk_fma_f16 v51, v44, v46, v51
	v_pk_fma_f16 v41, v45, v46, v41
	ds_read_b128 v[46:49], v36 offset:320
	v_pk_fma_f16 v27, v43, v59, v27
	v_mul_u32_u24_sdwa v43, v70, s29 dst_sel:DWORD dst_unused:UNUSED_PAD src0_sel:WORD_0 src1_sel:DWORD
	v_mul_u32_u24_sdwa v59, v71, s29 dst_sel:DWORD dst_unused:UNUSED_PAD src0_sel:WORD_0 src1_sel:DWORD
	v_mul_u32_u24_sdwa v60, v71, s29 dst_sel:DWORD dst_unused:UNUSED_PAD src0_sel:WORD_1 src1_sel:DWORD
	v_pk_fma_f16 v50, v44, v43, v50
	v_pk_fma_f16 v28, v44, v59, v28
	;; [unrolled: 1-line block ×6, first 2 shown]
	ds_read2_b64 v[42:45], v24 offset1:32
	ds_read_b128 v[60:63], v36 offset:336
	s_waitcnt lgkmcnt(2)
	v_mul_u32_u24_sdwa v59, v46, s29 dst_sel:DWORD dst_unused:UNUSED_PAD src0_sel:WORD_0 src1_sel:DWORD
	v_mul_u32_u24_sdwa v46, v46, s29 dst_sel:DWORD dst_unused:UNUSED_PAD src0_sel:WORD_1 src1_sel:DWORD
	v_mul_u32_u24_sdwa v65, v47, s29 dst_sel:DWORD dst_unused:UNUSED_PAD src0_sel:WORD_0 src1_sel:DWORD
	v_mul_u32_u24_sdwa v47, v47, s29 dst_sel:DWORD dst_unused:UNUSED_PAD src0_sel:WORD_1 src1_sel:DWORD
	s_waitcnt lgkmcnt(1)
	v_pk_fma_f16 v50, v42, v59, v50
	v_pk_fma_f16 v51, v42, v46, v51
	;; [unrolled: 1-line block ×8, first 2 shown]
	v_mul_u32_u24_sdwa v43, v48, s29 dst_sel:DWORD dst_unused:UNUSED_PAD src0_sel:WORD_0 src1_sel:DWORD
	v_mul_u32_u24_sdwa v47, v48, s29 dst_sel:DWORD dst_unused:UNUSED_PAD src0_sel:WORD_1 src1_sel:DWORD
	v_mul_u32_u24_sdwa v48, v49, s29 dst_sel:DWORD dst_unused:UNUSED_PAD src0_sel:WORD_0 src1_sel:DWORD
	v_mul_u32_u24_sdwa v49, v49, s29 dst_sel:DWORD dst_unused:UNUSED_PAD src0_sel:WORD_1 src1_sel:DWORD
	v_pk_fma_f16 v50, v44, v43, v50
	v_pk_fma_f16 v51, v44, v47, v51
	;; [unrolled: 1-line block ×8, first 2 shown]
	ds_read2_b64 v[42:45], v24 offset0:64 offset1:96
	s_waitcnt lgkmcnt(1)
	v_mul_u32_u24_sdwa v47, v60, s29 dst_sel:DWORD dst_unused:UNUSED_PAD src0_sel:WORD_0 src1_sel:DWORD
	v_mul_u32_u24_sdwa v48, v60, s29 dst_sel:DWORD dst_unused:UNUSED_PAD src0_sel:WORD_1 src1_sel:DWORD
	v_mul_u32_u24_sdwa v49, v61, s29 dst_sel:DWORD dst_unused:UNUSED_PAD src0_sel:WORD_0 src1_sel:DWORD
	v_mul_u32_u24_sdwa v59, v61, s29 dst_sel:DWORD dst_unused:UNUSED_PAD src0_sel:WORD_1 src1_sel:DWORD
	s_waitcnt lgkmcnt(0)
	v_pk_fma_f16 v50, v42, v47, v50
	v_pk_fma_f16 v51, v42, v48, v51
	v_pk_fma_f16 v28, v42, v49, v28
	v_pk_fma_f16 v29, v42, v59, v29
	v_pk_fma_f16 v42, v43, v47, v52
	v_pk_fma_f16 v41, v43, v48, v41
	v_pk_fma_f16 v52, v43, v49, v46
	v_mul_u32_u24_sdwa v46, v62, s29 dst_sel:DWORD dst_unused:UNUSED_PAD src0_sel:WORD_1 src1_sel:DWORD
	v_pk_fma_f16 v51, v44, v46, v51
	v_pk_fma_f16 v41, v45, v46, v41
	ds_read_b128 v[46:49], v36 offset:352
	v_pk_fma_f16 v27, v43, v59, v27
	v_mul_u32_u24_sdwa v43, v62, s29 dst_sel:DWORD dst_unused:UNUSED_PAD src0_sel:WORD_0 src1_sel:DWORD
	v_mul_u32_u24_sdwa v59, v63, s29 dst_sel:DWORD dst_unused:UNUSED_PAD src0_sel:WORD_0 src1_sel:DWORD
	v_mul_u32_u24_sdwa v60, v63, s29 dst_sel:DWORD dst_unused:UNUSED_PAD src0_sel:WORD_1 src1_sel:DWORD
	v_pk_fma_f16 v50, v44, v43, v50
	v_pk_fma_f16 v28, v44, v59, v28
	;; [unrolled: 1-line block ×6, first 2 shown]
	ds_read2_b64 v[42:45], v24 offset0:128 offset1:160
	ds_read_b128 v[60:63], v36 offset:368
	s_waitcnt lgkmcnt(2)
	v_mul_u32_u24_sdwa v59, v46, s29 dst_sel:DWORD dst_unused:UNUSED_PAD src0_sel:WORD_0 src1_sel:DWORD
	v_mul_u32_u24_sdwa v46, v46, s29 dst_sel:DWORD dst_unused:UNUSED_PAD src0_sel:WORD_1 src1_sel:DWORD
	v_mul_u32_u24_sdwa v65, v47, s29 dst_sel:DWORD dst_unused:UNUSED_PAD src0_sel:WORD_0 src1_sel:DWORD
	v_mul_u32_u24_sdwa v47, v47, s29 dst_sel:DWORD dst_unused:UNUSED_PAD src0_sel:WORD_1 src1_sel:DWORD
	s_waitcnt lgkmcnt(1)
	v_pk_fma_f16 v50, v42, v59, v50
	v_pk_fma_f16 v51, v42, v46, v51
	;; [unrolled: 1-line block ×8, first 2 shown]
	v_mul_u32_u24_sdwa v43, v48, s29 dst_sel:DWORD dst_unused:UNUSED_PAD src0_sel:WORD_0 src1_sel:DWORD
	v_mul_u32_u24_sdwa v47, v48, s29 dst_sel:DWORD dst_unused:UNUSED_PAD src0_sel:WORD_1 src1_sel:DWORD
	v_mul_u32_u24_sdwa v48, v49, s29 dst_sel:DWORD dst_unused:UNUSED_PAD src0_sel:WORD_0 src1_sel:DWORD
	v_mul_u32_u24_sdwa v49, v49, s29 dst_sel:DWORD dst_unused:UNUSED_PAD src0_sel:WORD_1 src1_sel:DWORD
	v_pk_fma_f16 v50, v44, v43, v50
	v_pk_fma_f16 v51, v44, v47, v51
	;; [unrolled: 1-line block ×8, first 2 shown]
	ds_read2_b64 v[42:45], v24 offset0:192 offset1:224
	s_waitcnt lgkmcnt(1)
	v_mul_u32_u24_sdwa v24, v60, s29 dst_sel:DWORD dst_unused:UNUSED_PAD src0_sel:WORD_0 src1_sel:DWORD
	v_mul_u32_u24_sdwa v47, v60, s29 dst_sel:DWORD dst_unused:UNUSED_PAD src0_sel:WORD_1 src1_sel:DWORD
	v_mul_u32_u24_sdwa v48, v61, s29 dst_sel:DWORD dst_unused:UNUSED_PAD src0_sel:WORD_0 src1_sel:DWORD
	v_mul_u32_u24_sdwa v49, v61, s29 dst_sel:DWORD dst_unused:UNUSED_PAD src0_sel:WORD_1 src1_sel:DWORD
	s_waitcnt lgkmcnt(0)
	v_pk_fma_f16 v50, v42, v24, v50
	v_pk_fma_f16 v51, v42, v47, v51
	;; [unrolled: 1-line block ×6, first 2 shown]
	v_mul_u32_u24_sdwa v46, v62, s29 dst_sel:DWORD dst_unused:UNUSED_PAD src0_sel:WORD_1 src1_sel:DWORD
	v_pk_fma_f16 v27, v43, v49, v27
	v_pk_fma_f16 v51, v44, v46, v51
	;; [unrolled: 1-line block ×3, first 2 shown]
	ds_read_b128 v[46:49], v36 offset:384
	v_pk_fma_f16 v24, v43, v24, v52
	v_mul_u32_u24_sdwa v43, v62, s29 dst_sel:DWORD dst_unused:UNUSED_PAD src0_sel:WORD_0 src1_sel:DWORD
	v_mul_u32_u24_sdwa v52, v63, s29 dst_sel:DWORD dst_unused:UNUSED_PAD src0_sel:WORD_0 src1_sel:DWORD
	v_mul_u32_u24_sdwa v59, v63, s29 dst_sel:DWORD dst_unused:UNUSED_PAD src0_sel:WORD_1 src1_sel:DWORD
	v_pk_fma_f16 v50, v44, v43, v50
	v_pk_fma_f16 v28, v44, v52, v28
	;; [unrolled: 1-line block ×6, first 2 shown]
	ds_read2_b64 v[42:45], v25 offset1:32
	ds_read_b128 v[60:63], v36 offset:400
	s_waitcnt lgkmcnt(2)
	v_mul_u32_u24_sdwa v59, v46, s29 dst_sel:DWORD dst_unused:UNUSED_PAD src0_sel:WORD_0 src1_sel:DWORD
	v_mul_u32_u24_sdwa v46, v46, s29 dst_sel:DWORD dst_unused:UNUSED_PAD src0_sel:WORD_1 src1_sel:DWORD
	v_mul_u32_u24_sdwa v64, v47, s29 dst_sel:DWORD dst_unused:UNUSED_PAD src0_sel:WORD_0 src1_sel:DWORD
	v_mul_u32_u24_sdwa v47, v47, s29 dst_sel:DWORD dst_unused:UNUSED_PAD src0_sel:WORD_1 src1_sel:DWORD
	s_waitcnt lgkmcnt(1)
	v_pk_fma_f16 v50, v42, v59, v50
	v_pk_fma_f16 v51, v42, v46, v51
	;; [unrolled: 1-line block ×8, first 2 shown]
	v_mul_u32_u24_sdwa v43, v48, s29 dst_sel:DWORD dst_unused:UNUSED_PAD src0_sel:WORD_0 src1_sel:DWORD
	v_mul_u32_u24_sdwa v46, v48, s29 dst_sel:DWORD dst_unused:UNUSED_PAD src0_sel:WORD_1 src1_sel:DWORD
	v_mul_u32_u24_sdwa v47, v49, s29 dst_sel:DWORD dst_unused:UNUSED_PAD src0_sel:WORD_0 src1_sel:DWORD
	v_mul_u32_u24_sdwa v48, v49, s29 dst_sel:DWORD dst_unused:UNUSED_PAD src0_sel:WORD_1 src1_sel:DWORD
	v_pk_fma_f16 v49, v44, v43, v50
	v_pk_fma_f16 v50, v44, v46, v51
	;; [unrolled: 1-line block ×8, first 2 shown]
	ds_read2_b64 v[42:45], v25 offset0:64 offset1:96
	s_waitcnt lgkmcnt(1)
	v_mul_u32_u24_sdwa v47, v60, s29 dst_sel:DWORD dst_unused:UNUSED_PAD src0_sel:WORD_0 src1_sel:DWORD
	v_mul_u32_u24_sdwa v48, v60, s29 dst_sel:DWORD dst_unused:UNUSED_PAD src0_sel:WORD_1 src1_sel:DWORD
	v_mul_u32_u24_sdwa v51, v61, s29 dst_sel:DWORD dst_unused:UNUSED_PAD src0_sel:WORD_0 src1_sel:DWORD
	v_mul_u32_u24_sdwa v52, v61, s29 dst_sel:DWORD dst_unused:UNUSED_PAD src0_sel:WORD_1 src1_sel:DWORD
	s_waitcnt lgkmcnt(0)
	v_pk_fma_f16 v49, v42, v47, v49
	v_pk_fma_f16 v50, v42, v48, v50
	v_pk_fma_f16 v28, v42, v51, v28
	v_pk_fma_f16 v29, v42, v52, v29
	v_pk_fma_f16 v24, v43, v47, v24
	v_pk_fma_f16 v41, v43, v48, v41
	v_pk_fma_f16 v42, v43, v51, v46
	v_pk_fma_f16 v27, v43, v52, v27
	v_mul_u32_u24_sdwa v43, v62, s29 dst_sel:DWORD dst_unused:UNUSED_PAD src0_sel:WORD_0 src1_sel:DWORD
	v_mul_u32_u24_sdwa v46, v62, s29 dst_sel:DWORD dst_unused:UNUSED_PAD src0_sel:WORD_1 src1_sel:DWORD
	v_pk_fma_f16 v59, v44, v43, v49
	v_pk_fma_f16 v50, v44, v46, v50
	;; [unrolled: 1-line block ×3, first 2 shown]
	ds_read_b128 v[46:49], v36 offset:416
	v_mul_u32_u24_sdwa v51, v63, s29 dst_sel:DWORD dst_unused:UNUSED_PAD src0_sel:WORD_0 src1_sel:DWORD
	v_mul_u32_u24_sdwa v52, v63, s29 dst_sel:DWORD dst_unused:UNUSED_PAD src0_sel:WORD_1 src1_sel:DWORD
	v_pk_fma_f16 v28, v44, v51, v28
	v_pk_fma_f16 v29, v44, v52, v29
	;; [unrolled: 1-line block ×5, first 2 shown]
	ds_read2_b64 v[42:45], v25 offset0:128 offset1:160
	ds_read_b128 v[60:63], v36 offset:432
	s_waitcnt lgkmcnt(2)
	v_mul_u32_u24_sdwa v52, v46, s29 dst_sel:DWORD dst_unused:UNUSED_PAD src0_sel:WORD_0 src1_sel:DWORD
	v_mul_u32_u24_sdwa v46, v46, s29 dst_sel:DWORD dst_unused:UNUSED_PAD src0_sel:WORD_1 src1_sel:DWORD
	v_mul_u32_u24_sdwa v64, v47, s29 dst_sel:DWORD dst_unused:UNUSED_PAD src0_sel:WORD_0 src1_sel:DWORD
	v_mul_u32_u24_sdwa v47, v47, s29 dst_sel:DWORD dst_unused:UNUSED_PAD src0_sel:WORD_1 src1_sel:DWORD
	s_waitcnt lgkmcnt(1)
	v_pk_fma_f16 v59, v42, v52, v59
	v_pk_fma_f16 v50, v42, v46, v50
	;; [unrolled: 1-line block ×8, first 2 shown]
	v_mul_u32_u24_sdwa v43, v48, s29 dst_sel:DWORD dst_unused:UNUSED_PAD src0_sel:WORD_0 src1_sel:DWORD
	v_mul_u32_u24_sdwa v46, v48, s29 dst_sel:DWORD dst_unused:UNUSED_PAD src0_sel:WORD_1 src1_sel:DWORD
	v_mul_u32_u24_sdwa v47, v49, s29 dst_sel:DWORD dst_unused:UNUSED_PAD src0_sel:WORD_0 src1_sel:DWORD
	v_mul_u32_u24_sdwa v48, v49, s29 dst_sel:DWORD dst_unused:UNUSED_PAD src0_sel:WORD_1 src1_sel:DWORD
	v_pk_fma_f16 v49, v44, v43, v59
	v_pk_fma_f16 v50, v44, v46, v50
	;; [unrolled: 1-line block ×8, first 2 shown]
	ds_read2_b64 v[42:45], v25 offset0:192 offset1:224
	s_waitcnt lgkmcnt(1)
	v_mul_u32_u24_sdwa v25, v60, s29 dst_sel:DWORD dst_unused:UNUSED_PAD src0_sel:WORD_0 src1_sel:DWORD
	v_mul_u32_u24_sdwa v47, v60, s29 dst_sel:DWORD dst_unused:UNUSED_PAD src0_sel:WORD_1 src1_sel:DWORD
	v_mul_u32_u24_sdwa v48, v61, s29 dst_sel:DWORD dst_unused:UNUSED_PAD src0_sel:WORD_0 src1_sel:DWORD
	v_mul_u32_u24_sdwa v51, v61, s29 dst_sel:DWORD dst_unused:UNUSED_PAD src0_sel:WORD_1 src1_sel:DWORD
	s_waitcnt lgkmcnt(0)
	v_pk_fma_f16 v49, v42, v25, v49
	v_pk_fma_f16 v50, v42, v47, v50
	;; [unrolled: 1-line block ×4, first 2 shown]
	v_mul_u32_u24_sdwa v42, v62, s29 dst_sel:DWORD dst_unused:UNUSED_PAD src0_sel:WORD_0 src1_sel:DWORD
	v_pk_fma_f16 v24, v43, v25, v24
	v_pk_fma_f16 v25, v43, v47, v41
	;; [unrolled: 1-line block ×4, first 2 shown]
	ds_read_b128 v[46:49], v36 offset:448
	v_pk_fma_f16 v27, v43, v51, v27
	v_mul_u32_u24_sdwa v43, v62, s29 dst_sel:DWORD dst_unused:UNUSED_PAD src0_sel:WORD_1 src1_sel:DWORD
	v_mul_u32_u24_sdwa v51, v63, s29 dst_sel:DWORD dst_unused:UNUSED_PAD src0_sel:WORD_0 src1_sel:DWORD
	v_mul_u32_u24_sdwa v52, v63, s29 dst_sel:DWORD dst_unused:UNUSED_PAD src0_sel:WORD_1 src1_sel:DWORD
	v_pk_fma_f16 v50, v44, v43, v50
	v_pk_fma_f16 v28, v44, v51, v28
	;; [unrolled: 1-line block ×7, first 2 shown]
	ds_read2_b64 v[42:45], v26 offset1:32
	ds_read_b128 v[60:63], v36 offset:464
	s_waitcnt lgkmcnt(2)
	v_mul_u32_u24_sdwa v51, v46, s29 dst_sel:DWORD dst_unused:UNUSED_PAD src0_sel:WORD_0 src1_sel:DWORD
	v_mul_u32_u24_sdwa v46, v46, s29 dst_sel:DWORD dst_unused:UNUSED_PAD src0_sel:WORD_1 src1_sel:DWORD
	v_mul_u32_u24_sdwa v52, v47, s29 dst_sel:DWORD dst_unused:UNUSED_PAD src0_sel:WORD_0 src1_sel:DWORD
	v_mul_u32_u24_sdwa v47, v47, s29 dst_sel:DWORD dst_unused:UNUSED_PAD src0_sel:WORD_1 src1_sel:DWORD
	s_waitcnt lgkmcnt(1)
	v_pk_fma_f16 v59, v42, v51, v59
	v_pk_fma_f16 v50, v42, v46, v50
	;; [unrolled: 1-line block ×8, first 2 shown]
	v_mul_u32_u24_sdwa v42, v48, s29 dst_sel:DWORD dst_unused:UNUSED_PAD src0_sel:WORD_0 src1_sel:DWORD
	v_mul_u32_u24_sdwa v43, v48, s29 dst_sel:DWORD dst_unused:UNUSED_PAD src0_sel:WORD_1 src1_sel:DWORD
	v_mul_u32_u24_sdwa v46, v49, s29 dst_sel:DWORD dst_unused:UNUSED_PAD src0_sel:WORD_0 src1_sel:DWORD
	v_mul_u32_u24_sdwa v47, v49, s29 dst_sel:DWORD dst_unused:UNUSED_PAD src0_sel:WORD_1 src1_sel:DWORD
	v_pk_fma_f16 v48, v44, v42, v59
	v_pk_fma_f16 v49, v44, v43, v50
	;; [unrolled: 1-line block ×8, first 2 shown]
	ds_read2_b64 v[42:45], v26 offset0:64 offset1:96
	s_waitcnt lgkmcnt(1)
	v_mul_u32_u24_sdwa v46, v60, s29 dst_sel:DWORD dst_unused:UNUSED_PAD src0_sel:WORD_0 src1_sel:DWORD
	v_mul_u32_u24_sdwa v47, v60, s29 dst_sel:DWORD dst_unused:UNUSED_PAD src0_sel:WORD_1 src1_sel:DWORD
	v_mul_u32_u24_sdwa v50, v61, s29 dst_sel:DWORD dst_unused:UNUSED_PAD src0_sel:WORD_0 src1_sel:DWORD
	v_mul_u32_u24_sdwa v51, v61, s29 dst_sel:DWORD dst_unused:UNUSED_PAD src0_sel:WORD_1 src1_sel:DWORD
	s_waitcnt lgkmcnt(0)
	v_pk_fma_f16 v48, v42, v46, v48
	v_pk_fma_f16 v49, v42, v47, v49
	;; [unrolled: 1-line block ×8, first 2 shown]
	v_mul_u32_u24_sdwa v42, v62, s29 dst_sel:DWORD dst_unused:UNUSED_PAD src0_sel:WORD_0 src1_sel:DWORD
	v_mul_u32_u24_sdwa v43, v62, s29 dst_sel:DWORD dst_unused:UNUSED_PAD src0_sel:WORD_1 src1_sel:DWORD
	v_pk_fma_f16 v52, v44, v42, v48
	v_pk_fma_f16 v59, v44, v43, v49
	ds_read_b128 v[46:49], v36 offset:480
	v_mul_u32_u24_sdwa v50, v63, s29 dst_sel:DWORD dst_unused:UNUSED_PAD src0_sel:WORD_0 src1_sel:DWORD
	v_mul_u32_u24_sdwa v51, v63, s29 dst_sel:DWORD dst_unused:UNUSED_PAD src0_sel:WORD_1 src1_sel:DWORD
	v_pk_fma_f16 v28, v44, v50, v28
	v_pk_fma_f16 v29, v44, v51, v29
	;; [unrolled: 1-line block ×6, first 2 shown]
	ds_read2_b64 v[42:45], v26 offset0:128 offset1:160
	ds_read_b128 v[60:63], v36 offset:496
	s_waitcnt lgkmcnt(2)
	v_mul_u32_u24_sdwa v50, v46, s29 dst_sel:DWORD dst_unused:UNUSED_PAD src0_sel:WORD_0 src1_sel:DWORD
	v_mul_u32_u24_sdwa v46, v46, s29 dst_sel:DWORD dst_unused:UNUSED_PAD src0_sel:WORD_1 src1_sel:DWORD
	v_mul_u32_u24_sdwa v51, v47, s29 dst_sel:DWORD dst_unused:UNUSED_PAD src0_sel:WORD_0 src1_sel:DWORD
	v_mul_u32_u24_sdwa v47, v47, s29 dst_sel:DWORD dst_unused:UNUSED_PAD src0_sel:WORD_1 src1_sel:DWORD
	s_waitcnt lgkmcnt(1)
	v_pk_fma_f16 v52, v42, v50, v52
	v_pk_fma_f16 v59, v42, v46, v59
	;; [unrolled: 1-line block ×8, first 2 shown]
	v_mul_u32_u24_sdwa v42, v48, s29 dst_sel:DWORD dst_unused:UNUSED_PAD src0_sel:WORD_0 src1_sel:DWORD
	v_mul_u32_u24_sdwa v43, v48, s29 dst_sel:DWORD dst_unused:UNUSED_PAD src0_sel:WORD_1 src1_sel:DWORD
	v_mul_u32_u24_sdwa v46, v49, s29 dst_sel:DWORD dst_unused:UNUSED_PAD src0_sel:WORD_0 src1_sel:DWORD
	v_mul_u32_u24_sdwa v47, v49, s29 dst_sel:DWORD dst_unused:UNUSED_PAD src0_sel:WORD_1 src1_sel:DWORD
	v_pk_fma_f16 v48, v44, v42, v52
	v_pk_fma_f16 v49, v44, v43, v59
	;; [unrolled: 1-line block ×7, first 2 shown]
	ds_read2_b64 v[24:27], v26 offset0:192 offset1:224
	s_waitcnt lgkmcnt(0)
	s_barrier
	s_load_dword s6, s[4:5], 0x4
	v_pk_fma_f16 v41, v45, v46, v41
	v_mul_u32_u24_sdwa v45, v60, s29 dst_sel:DWORD dst_unused:UNUSED_PAD src0_sel:WORD_0 src1_sel:DWORD
	v_mul_u32_u24_sdwa v46, v60, s29 dst_sel:DWORD dst_unused:UNUSED_PAD src0_sel:WORD_1 src1_sel:DWORD
	v_mul_u32_u24_sdwa v47, v61, s29 dst_sel:DWORD dst_unused:UNUSED_PAD src0_sel:WORD_0 src1_sel:DWORD
	v_mul_u32_u24_sdwa v50, v61, s29 dst_sel:DWORD dst_unused:UNUSED_PAD src0_sel:WORD_1 src1_sel:DWORD
	s_waitcnt lgkmcnt(0)
	s_lshl_b32 s6, s6, 6
	v_pk_fma_f16 v48, v24, v45, v48
	v_pk_fma_f16 v49, v24, v46, v49
	;; [unrolled: 1-line block ×8, first 2 shown]
	v_mul_u32_u24_sdwa v25, v62, s29 dst_sel:DWORD dst_unused:UNUSED_PAD src0_sel:WORD_0 src1_sel:DWORD
	v_mul_u32_u24_sdwa v47, v62, s29 dst_sel:DWORD dst_unused:UNUSED_PAD src0_sel:WORD_1 src1_sel:DWORD
	v_mul_u32_u24_sdwa v51, v63, s29 dst_sel:DWORD dst_unused:UNUSED_PAD src0_sel:WORD_0 src1_sel:DWORD
	v_mul_u32_u24_sdwa v52, v63, s29 dst_sel:DWORD dst_unused:UNUSED_PAD src0_sel:WORD_1 src1_sel:DWORD
	s_add_i32 s2, s6, s2
	v_pk_fma_f16 v46, v26, v25, v48
	v_pk_fma_f16 v44, v26, v47, v49
	;; [unrolled: 1-line block ×7, first 2 shown]
	s_cmp_ge_i32 s2, s30
	v_pk_fma_f16 v41, v27, v52, v50
	s_cbranch_scc1 .LBB76_7
; %bb.62:                               ;   in Loop: Header=BB76_29 Depth=1
	v_mov_b32_e32 v24, v0
	v_mov_b32_e32 v27, v1
	;; [unrolled: 1-line block ×4, first 2 shown]
	s_branch .LBB76_29
	.section	.rodata,"a",@progbits
	.p2align	6, 0x0
	.amdhsa_kernel _ZL15flash_attn_tileILi128ELi128ELi8ELi4ELb1EEvPKcS1_S1_S1_S1_PKiPfP15HIP_vector_typeIfLj2EEffffjfiS5_IjLj3EEiiiiiiiiiiiliiliiiiil
		.amdhsa_group_segment_fixed_size 21504
		.amdhsa_private_segment_fixed_size 0
		.amdhsa_kernarg_size 464
		.amdhsa_user_sgpr_count 2
		.amdhsa_user_sgpr_dispatch_ptr 0
		.amdhsa_user_sgpr_queue_ptr 0
		.amdhsa_user_sgpr_kernarg_segment_ptr 1
		.amdhsa_user_sgpr_dispatch_id 0
		.amdhsa_user_sgpr_kernarg_preload_length 0
		.amdhsa_user_sgpr_kernarg_preload_offset 0
		.amdhsa_user_sgpr_private_segment_size 0
		.amdhsa_uses_dynamic_stack 0
		.amdhsa_enable_private_segment 0
		.amdhsa_system_sgpr_workgroup_id_x 1
		.amdhsa_system_sgpr_workgroup_id_y 1
		.amdhsa_system_sgpr_workgroup_id_z 1
		.amdhsa_system_sgpr_workgroup_info 0
		.amdhsa_system_vgpr_workitem_id 1
		.amdhsa_next_free_vgpr 94
		.amdhsa_next_free_sgpr 75
		.amdhsa_accum_offset 96
		.amdhsa_reserve_vcc 1
		.amdhsa_float_round_mode_32 0
		.amdhsa_float_round_mode_16_64 0
		.amdhsa_float_denorm_mode_32 3
		.amdhsa_float_denorm_mode_16_64 3
		.amdhsa_dx10_clamp 1
		.amdhsa_ieee_mode 1
		.amdhsa_fp16_overflow 0
		.amdhsa_tg_split 0
		.amdhsa_exception_fp_ieee_invalid_op 0
		.amdhsa_exception_fp_denorm_src 0
		.amdhsa_exception_fp_ieee_div_zero 0
		.amdhsa_exception_fp_ieee_overflow 0
		.amdhsa_exception_fp_ieee_underflow 0
		.amdhsa_exception_fp_ieee_inexact 0
		.amdhsa_exception_int_div_zero 0
	.end_amdhsa_kernel
	.section	.text._ZL15flash_attn_tileILi128ELi128ELi8ELi4ELb1EEvPKcS1_S1_S1_S1_PKiPfP15HIP_vector_typeIfLj2EEffffjfiS5_IjLj3EEiiiiiiiiiiiliiliiiiil,"axG",@progbits,_ZL15flash_attn_tileILi128ELi128ELi8ELi4ELb1EEvPKcS1_S1_S1_S1_PKiPfP15HIP_vector_typeIfLj2EEffffjfiS5_IjLj3EEiiiiiiiiiiiliiliiiiil,comdat
.Lfunc_end76:
	.size	_ZL15flash_attn_tileILi128ELi128ELi8ELi4ELb1EEvPKcS1_S1_S1_S1_PKiPfP15HIP_vector_typeIfLj2EEffffjfiS5_IjLj3EEiiiiiiiiiiiliiliiiiil, .Lfunc_end76-_ZL15flash_attn_tileILi128ELi128ELi8ELi4ELb1EEvPKcS1_S1_S1_S1_PKiPfP15HIP_vector_typeIfLj2EEffffjfiS5_IjLj3EEiiiiiiiiiiiliiliiiiil
                                        ; -- End function
	.set _ZL15flash_attn_tileILi128ELi128ELi8ELi4ELb1EEvPKcS1_S1_S1_S1_PKiPfP15HIP_vector_typeIfLj2EEffffjfiS5_IjLj3EEiiiiiiiiiiiliiliiiiil.num_vgpr, 94
	.set _ZL15flash_attn_tileILi128ELi128ELi8ELi4ELb1EEvPKcS1_S1_S1_S1_PKiPfP15HIP_vector_typeIfLj2EEffffjfiS5_IjLj3EEiiiiiiiiiiiliiliiiiil.num_agpr, 0
	.set _ZL15flash_attn_tileILi128ELi128ELi8ELi4ELb1EEvPKcS1_S1_S1_S1_PKiPfP15HIP_vector_typeIfLj2EEffffjfiS5_IjLj3EEiiiiiiiiiiiliiliiiiil.numbered_sgpr, 40
	.set _ZL15flash_attn_tileILi128ELi128ELi8ELi4ELb1EEvPKcS1_S1_S1_S1_PKiPfP15HIP_vector_typeIfLj2EEffffjfiS5_IjLj3EEiiiiiiiiiiiliiliiiiil.num_named_barrier, 0
	.set _ZL15flash_attn_tileILi128ELi128ELi8ELi4ELb1EEvPKcS1_S1_S1_S1_PKiPfP15HIP_vector_typeIfLj2EEffffjfiS5_IjLj3EEiiiiiiiiiiiliiliiiiil.private_seg_size, 0
	.set _ZL15flash_attn_tileILi128ELi128ELi8ELi4ELb1EEvPKcS1_S1_S1_S1_PKiPfP15HIP_vector_typeIfLj2EEffffjfiS5_IjLj3EEiiiiiiiiiiiliiliiiiil.uses_vcc, 1
	.set _ZL15flash_attn_tileILi128ELi128ELi8ELi4ELb1EEvPKcS1_S1_S1_S1_PKiPfP15HIP_vector_typeIfLj2EEffffjfiS5_IjLj3EEiiiiiiiiiiiliiliiiiil.uses_flat_scratch, 0
	.set _ZL15flash_attn_tileILi128ELi128ELi8ELi4ELb1EEvPKcS1_S1_S1_S1_PKiPfP15HIP_vector_typeIfLj2EEffffjfiS5_IjLj3EEiiiiiiiiiiiliiliiiiil.has_dyn_sized_stack, 0
	.set _ZL15flash_attn_tileILi128ELi128ELi8ELi4ELb1EEvPKcS1_S1_S1_S1_PKiPfP15HIP_vector_typeIfLj2EEffffjfiS5_IjLj3EEiiiiiiiiiiiliiliiiiil.has_recursion, 0
	.set _ZL15flash_attn_tileILi128ELi128ELi8ELi4ELb1EEvPKcS1_S1_S1_S1_PKiPfP15HIP_vector_typeIfLj2EEffffjfiS5_IjLj3EEiiiiiiiiiiiliiliiiiil.has_indirect_call, 0
	.section	.AMDGPU.csdata,"",@progbits
; Kernel info:
; codeLenInByte = 25368
; TotalNumSgprs: 46
; NumVgprs: 94
; NumAgprs: 0
; TotalNumVgprs: 94
; ScratchSize: 0
; MemoryBound: 0
; FloatMode: 240
; IeeeMode: 1
; LDSByteSize: 21504 bytes/workgroup (compile time only)
; SGPRBlocks: 10
; VGPRBlocks: 11
; NumSGPRsForWavesPerEU: 81
; NumVGPRsForWavesPerEU: 94
; AccumOffset: 96
; Occupancy: 5
; WaveLimiterHint : 1
; COMPUTE_PGM_RSRC2:SCRATCH_EN: 0
; COMPUTE_PGM_RSRC2:USER_SGPR: 2
; COMPUTE_PGM_RSRC2:TRAP_HANDLER: 0
; COMPUTE_PGM_RSRC2:TGID_X_EN: 1
; COMPUTE_PGM_RSRC2:TGID_Y_EN: 1
; COMPUTE_PGM_RSRC2:TGID_Z_EN: 1
; COMPUTE_PGM_RSRC2:TIDIG_COMP_CNT: 1
; COMPUTE_PGM_RSRC3_GFX90A:ACCUM_OFFSET: 23
; COMPUTE_PGM_RSRC3_GFX90A:TG_SPLIT: 0
	.section	.text._ZL15flash_attn_tileILi128ELi128ELi4ELi4ELb1EEvPKcS1_S1_S1_S1_PKiPfP15HIP_vector_typeIfLj2EEffffjfiS5_IjLj3EEiiiiiiiiiiiliiliiiiil,"axG",@progbits,_ZL15flash_attn_tileILi128ELi128ELi4ELi4ELb1EEvPKcS1_S1_S1_S1_PKiPfP15HIP_vector_typeIfLj2EEffffjfiS5_IjLj3EEiiiiiiiiiiiliiliiiiil,comdat
	.globl	_ZL15flash_attn_tileILi128ELi128ELi4ELi4ELb1EEvPKcS1_S1_S1_S1_PKiPfP15HIP_vector_typeIfLj2EEffffjfiS5_IjLj3EEiiiiiiiiiiiliiliiiiil ; -- Begin function _ZL15flash_attn_tileILi128ELi128ELi4ELi4ELb1EEvPKcS1_S1_S1_S1_PKiPfP15HIP_vector_typeIfLj2EEffffjfiS5_IjLj3EEiiiiiiiiiiiliiliiiiil
	.p2align	8
	.type	_ZL15flash_attn_tileILi128ELi128ELi4ELi4ELb1EEvPKcS1_S1_S1_S1_PKiPfP15HIP_vector_typeIfLj2EEffffjfiS5_IjLj3EEiiiiiiiiiiiliiliiiiil,@function
_ZL15flash_attn_tileILi128ELi128ELi4ELi4ELb1EEvPKcS1_S1_S1_S1_PKiPfP15HIP_vector_typeIfLj2EEffffjfiS5_IjLj3EEiiiiiiiiiiiliiliiiiil: ; @_ZL15flash_attn_tileILi128ELi128ELi4ELi4ELb1EEvPKcS1_S1_S1_S1_PKiPfP15HIP_vector_typeIfLj2EEffffjfiS5_IjLj3EEiiiiiiiiiiiliiliiiiil
; %bb.0:
	s_load_dwordx4 s[20:23], s[0:1], 0x5c
	s_load_dwordx2 s[24:25], s[0:1], 0x80
	s_load_dwordx2 s[28:29], s[0:1], 0xb8
	s_mov_b64 s[26:27], 0
	s_waitcnt lgkmcnt(0)
	s_ashr_i32 s5, s23, 31
	s_lshr_b32 s5, s5, 30
	s_add_i32 s5, s23, s5
	s_ashr_i32 s5, s5, 2
	v_cvt_f32_u32_e32 v1, s5
	s_sub_i32 s6, 0, s5
	v_rcp_iflag_f32_e32 v1, v1
	s_nop 0
	v_mul_f32_e32 v1, 0x4f7ffffe, v1
	v_cvt_u32_f32_e32 v1, v1
	s_nop 0
	v_readfirstlane_b32 s7, v1
	s_mul_i32 s6, s6, s7
	s_mul_hi_u32 s6, s7, s6
	s_add_i32 s7, s7, s6
	s_mul_hi_u32 s6, s4, s7
	s_mul_i32 s7, s6, s5
	s_sub_i32 s7, s4, s7
	s_add_i32 s8, s6, 1
	s_sub_i32 s9, s7, s5
	s_cmp_ge_u32 s7, s5
	s_cselect_b32 s6, s8, s6
	s_cselect_b32 s7, s9, s7
	s_add_i32 s8, s6, 1
	s_cmp_ge_u32 s7, s5
	s_cselect_b32 s30, s8, s6
	s_abs_i32 s5, s25
	v_cvt_f32_u32_e32 v1, s5
	s_lshl_b32 s4, s4, 2
	s_mul_i32 s8, s30, s23
	s_xor_b32 s6, s23, s25
	v_rcp_iflag_f32_e32 v1, v1
	s_sub_i32 s9, 0, s5
	s_sub_i32 s25, s4, s8
	s_abs_i32 s7, s23
	v_mul_f32_e32 v1, 0x4f7ffffe, v1
	v_cvt_u32_f32_e32 v1, v1
	s_ashr_i32 s6, s6, 31
	v_readfirstlane_b32 s4, v1
	s_mul_i32 s9, s9, s4
	s_mul_hi_u32 s8, s4, s9
	s_add_i32 s4, s4, s8
	s_mul_hi_u32 s4, s7, s4
	s_mul_i32 s8, s4, s5
	s_sub_i32 s7, s7, s8
	s_add_i32 s9, s4, 1
	s_sub_i32 s8, s7, s5
	s_cmp_ge_u32 s7, s5
	s_cselect_b32 s4, s9, s4
	s_cselect_b32 s7, s8, s7
	s_add_i32 s8, s4, 1
	s_cmp_ge_u32 s7, s5
	s_cselect_b32 s4, s8, s4
	s_xor_b32 s4, s4, s6
	s_sub_i32 s33, s4, s6
	s_abs_i32 s31, s33
	v_cvt_f32_u32_e32 v1, s31
	s_load_dwordx16 s[4:19], s[0:1], 0x0
	v_rcp_iflag_f32_e32 v1, v1
	s_waitcnt lgkmcnt(0)
	s_cmp_eq_u64 s[10:11], 0
	v_mul_f32_e32 v1, 0x4f7ffffe, v1
	v_cvt_u32_f32_e32 v1, v1
	s_nop 0
	v_readfirstlane_b32 s34, v1
	s_cbranch_scc1 .LBB77_2
; %bb.1:
	s_abs_i32 s28, s28
	v_cvt_f32_u32_e32 v1, s28
	s_sub_i32 s37, 0, s28
	s_abs_i32 s36, s30
	s_ashr_i32 s35, s30, 31
	v_rcp_iflag_f32_e32 v1, v1
	s_load_dwordx2 s[26:27], s[0:1], 0xc8
	v_mul_f32_e32 v1, 0x4f7ffffe, v1
	v_cvt_u32_f32_e32 v1, v1
	s_nop 0
	v_readfirstlane_b32 s38, v1
	s_mul_i32 s37, s37, s38
	s_mul_hi_u32 s37, s38, s37
	s_add_i32 s38, s38, s37
	s_mul_hi_u32 s37, s36, s38
	s_mul_i32 s37, s37, s28
	s_sub_i32 s36, s36, s37
	s_sub_i32 s37, s36, s28
	s_cmp_ge_u32 s36, s28
	s_cselect_b32 s36, s37, s36
	s_sub_i32 s37, s36, s28
	s_cmp_ge_u32 s36, s28
	s_cselect_b32 s28, s37, s36
	s_xor_b32 s28, s28, s35
	s_sub_i32 s28, s28, s35
	s_ashr_i32 s35, s28, 31
	s_waitcnt lgkmcnt(0)
	s_mul_hi_u32 s36, s26, s28
	s_mul_i32 s35, s26, s35
	s_mul_i32 s27, s27, s28
	s_add_i32 s35, s36, s35
	s_add_i32 s35, s35, s27
	s_mul_i32 s26, s26, s28
	s_add_u32 s26, s10, s26
	s_addc_u32 s27, s11, s35
.LBB77_2:
	s_load_dwordx4 s[36:39], s[0:1], 0x70
	v_lshrrev_b32_e32 v1, 10, v0
	v_bfe_u32 v1, v1, 1, 9
	v_lshl_add_u32 v1, s2, 2, v1
	v_mul_hi_u32 v3, s20, v1
	s_waitcnt lgkmcnt(0)
	s_mul_i32 s10, s30, s38
	s_ashr_i32 s28, s10, 31
	s_mul_i32 s11, s25, s37
	s_add_u32 s4, s4, s10
	s_addc_u32 s5, s5, s28
	s_ashr_i32 s10, s11, 31
	v_add_u32_e32 v3, v1, v3
	s_add_u32 s4, s4, s11
	v_lshrrev_b32_e32 v3, s21, v3
	s_addc_u32 s5, s5, s10
	s_ashr_i32 s11, s37, 31
	s_mov_b32 s10, s37
	v_mul_lo_u32 v3, v3, s22
	s_ashr_i32 s37, s36, 31
	v_sub_u32_e32 v3, v1, v3
	s_lshr_b64 s[20:21], s[36:37], 2
	v_mad_u64_u32 v[6:7], s[20:21], s20, v3, 0
	s_lshr_b64 s[38:39], s[10:11], 2
	v_mov_b32_e32 v8, v7
	s_lshr_b32 s10, s37, 2
	v_bfe_u32 v2, v0, 10, 10
	v_mad_u64_u32 v[8:9], s[20:21], s10, v3, v[8:9]
	v_lshlrev_b32_e32 v4, 1, v2
	v_mov_b32_e32 v7, v8
	v_and_b32_e32 v0, 0x3ff, v0
	v_lshl_add_u64 v[6:7], v[6:7], 2, s[4:5]
	v_lshlrev_b32_e32 v8, 4, v0
	v_mov_b32_e32 v9, 0
	v_and_b32_e32 v26, 2, v4
	s_lshr_b32 s10, s11, 2
	v_lshl_add_u64 v[10:11], v[6:7], 0, v[8:9]
	v_mul_lo_u32 v5, s10, v26
	v_mad_u64_u32 v[6:7], s[4:5], s38, v26, 0
	v_or_b32_e32 v7, v7, v5
	v_bitop3_b32 v5, v4, 3, 1 bitop3:0xc8
	v_mad_u64_u32 v[12:13], s[4:5], s38, v5, 0
	v_mov_b32_e32 v14, v13
	v_mad_u64_u32 v[14:15], s[4:5], s10, v5, v[14:15]
	v_lshl_add_u64 v[6:7], v[6:7], 2, v[10:11]
	v_mov_b32_e32 v13, v14
	global_load_dwordx4 v[6:9], v[6:7], off
	v_lshl_add_u64 v[10:11], v[12:13], 2, v[10:11]
	global_load_dwordx4 v[10:13], v[10:11], off
	s_load_dword s4, s[0:1], 0x40
	v_lshlrev_b32_e32 v28, 3, v0
	v_lshlrev_b32_e32 v14, 9, v2
	v_add_u32_e32 v5, 0x4400, v28
	v_or_b32_e32 v15, 1, v4
	v_add_u32_e32 v16, v5, v14
	s_cmp_eq_u64 s[14:15], 0
	v_lshl_add_u32 v5, v15, 8, v5
	s_waitcnt vmcnt(1) lgkmcnt(0)
	v_fma_mixlo_f16 v6, s4, v6, 0
	v_fma_mixlo_f16 v7, s4, v7, 0
	;; [unrolled: 1-line block ×4, first 2 shown]
	s_waitcnt vmcnt(0)
	v_fma_mixlo_f16 v10, s4, v10, 0
	v_fma_mixlo_f16 v11, s4, v11, 0
	v_lshlrev_b32_e32 v7, 16, v7
	v_and_b32_e32 v6, 0xffff, v6
	v_fma_mixlo_f16 v12, s4, v12, 0
	v_fma_mixlo_f16 v13, s4, v13, 0
	v_lshlrev_b32_e32 v9, 16, v9
	v_and_b32_e32 v8, 0xffff, v8
	v_lshlrev_b32_e32 v11, 16, v11
	v_and_b32_e32 v10, 0xffff, v10
	v_or_b32_e32 v6, v7, v6
	v_lshlrev_b32_e32 v13, 16, v13
	v_and_b32_e32 v12, 0xffff, v12
	v_or3_b32 v7, v9, v8, 0
	v_or_b32_e32 v8, v11, v10
	v_or3_b32 v6, 0, 0, v6
	v_or3_b32 v9, v13, v12, 0
	;; [unrolled: 1-line block ×3, first 2 shown]
	ds_write_b64 v16, v[6:7]
	ds_write_b64 v5, v[8:9]
	s_waitcnt lgkmcnt(0)
	s_barrier
	s_cbranch_scc1 .LBB77_4
; %bb.3:
	s_load_dword s4, s[0:1], 0xd0
	s_mov_b32 s5, 0
	s_waitcnt lgkmcnt(0)
	s_mul_i32 s4, s4, s30
	s_add_i32 s4, s4, s2
	s_lshl_b64 s[4:5], s[4:5], 2
	s_add_u32 s4, s14, s4
	s_addc_u32 s5, s15, s5
	s_load_dword s24, s[4:5], 0x0
.LBB77_4:
	s_lshl_b32 s2, s3, 6
	s_waitcnt lgkmcnt(0)
	s_cmp_lt_i32 s2, s24
	v_mbcnt_lo_u32_b32 v24, -1, 0
	s_cbranch_scc1 .LBB77_19
; %bb.5:
	v_mbcnt_hi_u32_b32 v15, -1, v24
	v_and_b32_e32 v5, 0x60, v15
	v_add_u32_e32 v49, 32, v5
	v_xor_b32_e32 v54, 16, v15
	v_xor_b32_e32 v50, 8, v15
	;; [unrolled: 1-line block ×5, first 2 shown]
	v_lshlrev_b32_e32 v27, 2, v0
	s_cbranch_execz .LBB77_20
; %bb.6:
	v_mov_b32_e32 v3, 0
	v_mov_b32_e32 v25, 0xfeffffff
	;; [unrolled: 1-line block ×8, first 2 shown]
.LBB77_7:
	v_cmp_lt_i32_e32 vcc, v54, v49
	s_cmp_lg_u64 s[12:13], 0
	s_cselect_b64 s[4:5], -1, 0
	v_cndmask_b32_e32 v4, v15, v54, vcc
	v_lshlrev_b32_e32 v5, 2, v4
	ds_bpermute_b32 v4, v5, v2
	ds_bpermute_b32 v5, v5, v3
	v_cmp_lt_i32_e32 vcc, v50, v49
	s_cmp_eq_u32 s3, 0
	s_cselect_b64 s[6:7], -1, 0
	v_cndmask_b32_e32 v6, v15, v50, vcc
	v_lshlrev_b32_e32 v6, 2, v6
	s_waitcnt lgkmcnt(0)
	v_pk_add_f32 v[2:3], v[2:3], v[4:5]
	ds_bpermute_b32 v4, v6, v2
	ds_bpermute_b32 v5, v6, v3
	v_cmp_lt_i32_e32 vcc, v51, v49
	s_and_b64 s[4:5], s[6:7], s[4:5]
	s_waitcnt lgkmcnt(0)
	v_pk_add_f32 v[2:3], v[2:3], v[4:5]
	v_cndmask_b32_e32 v6, v15, v51, vcc
	v_lshlrev_b32_e32 v6, 2, v6
	ds_bpermute_b32 v4, v6, v2
	ds_bpermute_b32 v5, v6, v3
	v_cmp_lt_i32_e32 vcc, v52, v49
	s_waitcnt lgkmcnt(0)
	v_pk_add_f32 v[2:3], v[2:3], v[4:5]
	v_cndmask_b32_e32 v6, v15, v52, vcc
	v_lshlrev_b32_e32 v6, 2, v6
	ds_bpermute_b32 v4, v6, v2
	ds_bpermute_b32 v5, v6, v3
	v_cmp_lt_i32_e32 vcc, v53, v49
	s_waitcnt lgkmcnt(0)
	v_pk_add_f32 v[2:3], v[2:3], v[4:5]
	v_cndmask_b32_e32 v6, v15, v53, vcc
	v_lshlrev_b32_e32 v6, 2, v6
	ds_bpermute_b32 v4, v6, v2
	ds_bpermute_b32 v5, v6, v3
	s_and_b64 vcc, exec, s[4:5]
	s_waitcnt lgkmcnt(0)
	v_pk_add_f32 v[2:3], v[2:3], v[4:5]
	s_cbranch_vccz .LBB77_9
; %bb.8:
	v_add_u32_e32 v4, s25, v26
	v_ashrrev_i32_e32 v5, 31, v4
	v_lshl_add_u64 v[4:5], v[4:5], 2, s[12:13]
	global_load_dwordx2 v[4:5], v[4:5], off
	v_max_f32_e32 v6, v24, v24
	v_max_f32_e32 v7, v25, v25
	s_mov_b32 s2, 0x3fb8aa3b
	s_mov_b32 s4, 0xc2ce8ed0
	;; [unrolled: 1-line block ×3, first 2 shown]
	v_mov_b32_e32 v9, 0x7f800000
	s_waitcnt vmcnt(0)
	v_max_f32_e32 v8, v4, v4
	v_max_f32_e32 v6, v6, v8
	;; [unrolled: 1-line block ×3, first 2 shown]
	v_sub_f32_e32 v8, v24, v6
	v_max_f32_e32 v7, v7, v10
	v_sub_f32_e32 v10, v4, v6
	v_mul_f32_e32 v4, 0x3fb8aa3b, v8
	v_sub_f32_e32 v11, v25, v7
	v_sub_f32_e32 v12, v5, v7
	v_mul_f32_e32 v5, 0x3fb8aa3b, v10
	v_fma_f32 v15, v8, s2, -v4
	v_rndne_f32_e32 v16, v4
	v_mul_f32_e32 v13, 0x3fb8aa3b, v11
	v_fma_f32 v17, v10, s2, -v5
	v_rndne_f32_e32 v18, v5
	v_fmac_f32_e32 v15, 0x32a5705f, v8
	v_sub_f32_e32 v4, v4, v16
	v_mul_f32_e32 v14, 0x3fb8aa3b, v12
	v_fma_f32 v19, v11, s2, -v13
	v_rndne_f32_e32 v20, v13
	v_fmac_f32_e32 v17, 0x32a5705f, v10
	v_sub_f32_e32 v5, v5, v18
	v_add_f32_e32 v4, v4, v15
	v_fma_f32 v21, v12, s2, -v14
	v_rndne_f32_e32 v22, v14
	v_cvt_i32_f32_e32 v16, v16
	v_fmac_f32_e32 v19, 0x32a5705f, v11
	v_sub_f32_e32 v13, v13, v20
	v_add_f32_e32 v5, v5, v17
	v_exp_f32_e32 v4, v4
	v_cvt_i32_f32_e32 v18, v18
	v_fmac_f32_e32 v21, 0x32a5705f, v12
	v_sub_f32_e32 v14, v14, v22
	v_add_f32_e32 v13, v13, v19
	v_exp_f32_e32 v5, v5
	v_cvt_i32_f32_e32 v20, v20
	v_add_f32_e32 v14, v14, v21
	v_exp_f32_e32 v13, v13
	v_cvt_i32_f32_e32 v22, v22
	v_exp_f32_e32 v14, v14
	v_ldexp_f32 v4, v4, v16
	v_cmp_ngt_f32_e32 vcc, s4, v8
	v_ldexp_f32 v5, v5, v18
	v_ldexp_f32 v13, v13, v20
	v_cndmask_b32_e32 v4, 0, v4, vcc
	v_cmp_ngt_f32_e32 vcc, s4, v10
	v_ldexp_f32 v14, v14, v22
	v_mov_b64_e32 v[24:25], v[6:7]
	v_cndmask_b32_e32 v5, 0, v5, vcc
	v_cmp_ngt_f32_e32 vcc, s4, v11
	s_nop 1
	v_cndmask_b32_e32 v13, 0, v13, vcc
	v_cmp_ngt_f32_e32 vcc, s4, v12
	s_nop 1
	v_cndmask_b32_e32 v14, 0, v14, vcc
	v_cmp_nlt_f32_e32 vcc, s5, v8
	s_nop 1
	v_cndmask_b32_e32 v4, v9, v4, vcc
	v_cmp_nlt_f32_e32 vcc, s5, v10
	v_cvt_f16_f32_e32 v10, v4
	s_nop 0
	v_cndmask_b32_e32 v8, v9, v5, vcc
	v_cmp_nlt_f32_e32 vcc, s5, v11
	s_nop 1
	v_cndmask_b32_e32 v5, v9, v13, vcc
	v_cvt_f16_f32_e32 v11, v5
	v_cmp_nlt_f32_e32 vcc, s5, v12
	s_nop 1
	v_cndmask_b32_e32 v9, v9, v14, vcc
	v_pk_fma_f32 v[2:3], v[2:3], v[4:5], v[8:9]
	v_mul_u32_u24_e32 v4, 0x10001, v10
	v_mul_u32_u24_e32 v5, 0x10001, v11
	v_pk_mul_f16 v43, v43, v4
	v_pk_mul_f16 v44, v44, v4
	;; [unrolled: 1-line block ×4, first 2 shown]
.LBB77_9:
	v_cmp_gt_i32_e32 vcc, s22, v1
	s_and_saveexec_b64 s[4:5], vcc
	s_cbranch_execz .LBB77_18
; %bb.10:
	s_load_dword s6, s[0:1], 0xd4
	v_mov_b32_e32 v4, 1.0
	s_waitcnt lgkmcnt(0)
	s_cmp_lg_u32 s6, 1
	s_cselect_b64 s[0:1], -1, 0
	s_cmp_eq_u32 s6, 1
	s_cselect_b64 s[4:5], -1, 0
	s_and_b64 vcc, exec, s[0:1]
	s_cbranch_vccnz .LBB77_12
; %bb.11:
	v_div_scale_f32 v4, s[8:9], v2, v2, 1.0
	v_rcp_f32_e32 v5, v4
	v_div_scale_f32 v6, vcc, 1.0, v2, 1.0
	v_fma_f32 v7, -v4, v5, 1.0
	v_fmac_f32_e32 v5, v7, v5
	v_mul_f32_e32 v7, v6, v5
	v_fma_f32 v8, -v4, v7, v6
	v_fmac_f32_e32 v7, v8, v5
	v_fma_f32 v4, -v4, v7, v6
	v_div_fmas_f32 v4, v4, v5, v7
	v_div_fixup_f32 v4, v4, v2, 1.0
.LBB77_12:
	s_mul_i32 s30, s30, s22
	v_add_u32_e32 v1, s30, v1
	v_mul_lo_u32 v1, v1, s23
	v_add3_u32 v1, s25, v26, v1
	v_cvt_f32_f16_sdwa v9, v43 dst_sel:DWORD dst_unused:UNUSED_PAD src0_sel:WORD_1
	v_cvt_f32_f16_e32 v8, v43
	v_cvt_f32_f16_sdwa v11, v44 dst_sel:DWORD dst_unused:UNUSED_PAD src0_sel:WORD_1
	v_cvt_f32_f16_e32 v10, v44
	v_cmp_eq_u32_e32 vcc, 0, v0
	v_mul_lo_u32 v0, s6, v1
	v_add_u32_e32 v0, s3, v0
	v_lshl_add_u32 v6, v0, 7, v27
	v_mov_b32_e32 v7, 0
	s_and_b64 s[0:1], vcc, s[0:1]
	v_lshl_add_u64 v[12:13], v[6:7], 2, s[16:17]
	v_pk_mul_f32 v[6:7], v[4:5], v[8:9] op_sel_hi:[0,1]
	v_pk_mul_f32 v[8:9], v[4:5], v[10:11] op_sel_hi:[0,1]
	global_store_dwordx4 v[12:13], v[6:9], off
	s_and_saveexec_b64 s[2:3], s[0:1]
	s_cbranch_execz .LBB77_14
; %bb.13:
	v_ashrrev_i32_e32 v1, 31, v0
	v_lshl_add_u64 v[4:5], v[0:1], 3, s[18:19]
	v_mov_b32_e32 v6, v24
	v_mov_b32_e32 v7, v2
	global_store_dwordx2 v[4:5], v[6:7], off
.LBB77_14:
	s_or_b64 exec, exec, s[2:3]
	s_andn2_b64 vcc, exec, s[4:5]
	v_mov_b32_e32 v2, 1.0
	s_cbranch_vccnz .LBB77_16
; %bb.15:
	v_div_scale_f32 v1, s[2:3], v3, v3, 1.0
	v_rcp_f32_e32 v2, v1
	v_div_scale_f32 v4, vcc, 1.0, v3, 1.0
	v_fma_f32 v5, -v1, v2, 1.0
	v_fmac_f32_e32 v2, v5, v2
	v_mul_f32_e32 v5, v4, v2
	v_fma_f32 v6, -v1, v5, v4
	v_fmac_f32_e32 v5, v6, v2
	v_fma_f32 v1, -v1, v5, v4
	v_div_fmas_f32 v1, v1, v2, v5
	v_div_fixup_f32 v2, v1, v3, 1.0
.LBB77_16:
	v_cvt_f32_f16_sdwa v7, v41 dst_sel:DWORD dst_unused:UNUSED_PAD src0_sel:WORD_1
	v_cvt_f32_f16_e32 v6, v41
	v_cvt_f32_f16_sdwa v9, v42 dst_sel:DWORD dst_unused:UNUSED_PAD src0_sel:WORD_1
	v_cvt_f32_f16_e32 v8, v42
	v_add_u32_e32 v0, s6, v0
	v_lshl_add_u32 v4, v0, 7, v27
	v_mov_b32_e32 v5, 0
	v_lshl_add_u64 v[10:11], v[4:5], 2, s[16:17]
	v_pk_mul_f32 v[4:5], v[2:3], v[6:7] op_sel_hi:[0,1]
	v_pk_mul_f32 v[6:7], v[2:3], v[8:9] op_sel_hi:[0,1]
	global_store_dwordx4 v[10:11], v[4:7], off
	s_and_b64 exec, exec, s[0:1]
	s_cbranch_execz .LBB77_18
; %bb.17:
	v_ashrrev_i32_e32 v1, 31, v0
	v_lshl_add_u64 v[0:1], v[0:1], 3, s[18:19]
	v_mov_b32_e32 v2, v25
	global_store_dwordx2 v[0:1], v[2:3], off
.LBB77_18:
	s_endpgm
.LBB77_19:
                                        ; implicit-def: $vgpr15
                                        ; implicit-def: $vgpr49
                                        ; implicit-def: $vgpr54
                                        ; implicit-def: $vgpr50
                                        ; implicit-def: $vgpr51
                                        ; implicit-def: $vgpr52
                                        ; implicit-def: $vgpr53
	v_lshlrev_b32_e32 v27, 2, v0
.LBB77_20:
	s_sub_i32 s4, 0, s31
	s_mul_i32 s4, s4, s34
	s_mul_hi_u32 s4, s34, s4
	s_add_i32 s34, s34, s4
	s_load_dwordx4 s[36:39], s[0:1], 0x98
	s_load_dword s10, s[0:1], 0x54
	s_load_dwordx2 s[4:5], s[0:1], 0x8c
	s_ashr_i32 s28, s33, 31
	s_abs_i32 s15, s25
	s_waitcnt lgkmcnt(0)
	s_ashr_i32 s11, s38, 2
	s_mul_hi_u32 s33, s36, s30
	s_ashr_i32 s14, s4, 2
	s_ashr_i32 s4, s30, 31
	s_mul_i32 s38, s36, s4
	s_add_i32 s33, s33, s38
	s_mul_i32 s37, s37, s30
	s_ashr_i32 s21, s25, 31
	s_ashr_i32 s29, s29, 1
	s_add_i32 s33, s33, s37
	s_mul_i32 s36, s36, s30
	s_mul_hi_u32 s20, s15, s34
	s_add_u32 s6, s6, s36
	s_addc_u32 s7, s7, s33
	s_xor_b32 s21, s21, s28
	s_mul_i32 s28, s20, s31
	s_sub_i32 s15, s15, s28
	s_add_i32 s28, s20, 1
	s_sub_i32 s33, s15, s31
	s_cmp_ge_u32 s15, s31
	s_cselect_b32 s20, s28, s20
	s_cselect_b32 s15, s33, s15
	s_add_i32 s28, s20, 1
	s_cmp_ge_u32 s15, s31
	s_load_dwordx2 s[34:35], s[0:1], 0xa8
	s_cselect_b32 s15, s28, s20
	s_xor_b32 s15, s15, s21
	s_sub_i32 s21, s15, s21
	s_mul_i32 s5, s21, s5
	s_ashr_i32 s20, s5, 31
	s_add_u32 s15, s6, s5
	s_waitcnt lgkmcnt(0)
	s_mul_hi_u32 s5, s34, s30
	s_mul_i32 s4, s34, s4
	s_addc_u32 s20, s7, s20
	s_add_i32 s4, s5, s4
	s_mul_i32 s5, s35, s30
	s_add_i32 s4, s4, s5
	s_mul_i32 s5, s34, s30
	s_add_u32 s5, s8, s5
	s_mul_i32 s21, s21, s39
	s_addc_u32 s4, s9, s4
	s_ashr_i32 s6, s21, 31
	v_lshrrev_b32_e32 v5, 4, v0
	s_add_u32 s8, s5, s21
	v_add_u32_e32 v16, v5, v4
	v_and_b32_e32 v4, 60, v27
	s_addc_u32 s9, s4, s6
	v_lshlrev_b32_e32 v17, 2, v4
	s_movk_i32 s4, 0x110
	v_mad_u32_u24 v29, v16, s4, v17
	v_mul_lo_u32 v6, s14, v16
	s_lshl_b32 s4, s14, 4
	v_add_u32_e32 v8, s4, v6
	v_add_u32_e32 v10, s4, v8
	;; [unrolled: 1-line block ×4, first 2 shown]
	v_mad_u64_u32 v[14:15], s[4:5], v3, s29, v[0:1]
	v_lshl_or_b32 v35, v16, 8, v17
	v_mul_lo_u32 v16, s11, v16
	s_lshl_b32 s4, s11, 4
	v_add_u32_e32 v18, s4, v16
	v_mov_b32_e32 v3, 0x5400
	v_add_u32_e32 v20, s4, v18
	v_mov_b32_e32 v5, 0
	v_lshl_add_u32 v34, v2, 8, v3
	v_add_u32_e32 v22, s4, v20
	s_add_u32 s4, s0, 0xd0
                                        ; implicit-def: $vgpr2
                                        ; implicit-def: $vgpr2
	;; [unrolled: 1-line block ×3, first 2 shown]
	v_ashrrev_i32_e32 v7, 31, v6
	v_ashrrev_i32_e32 v9, 31, v8
	v_add_u32_e32 v30, 0x2200, v29
	v_ashrrev_i32_e32 v11, 31, v10
	v_add_u32_e32 v31, 0x3300, v29
	v_ashrrev_i32_e32 v13, 31, v12
	v_mul_u32_u24_e32 v33, 0x110, v0
	v_ashrrev_i32_e32 v17, 31, v16
	v_add_u32_e32 v36, 0x1000, v35
	v_ashrrev_i32_e32 v19, 31, v18
	v_add_u32_e32 v37, 0x2000, v35
	;; [unrolled: 2-line block ×3, first 2 shown]
	v_ashrrev_i32_e32 v23, 31, v22
	s_addc_u32 s5, s1, 0
	v_mov_b32_e32 v46, 0xfeffffff
	v_lshlrev_b32_e32 v4, 2, v4
	s_mov_b32 s21, 0x3f200000
	s_mov_b32 s28, 0x3fb8aa3b
	s_mov_b32 s29, 0xc2ce8ed0
	s_mov_b32 s31, 0x42b17218
	v_mov_b32_e32 v39, 0x3ca908c9
	s_brev_b32 s33, -2
	s_mov_b32 s34, 0x10001
	v_mov_b32_e32 v40, 0x7f800000
	v_mbcnt_hi_u32_b32 v15, -1, v24
	v_mov_b32_e32 v42, v5
	v_mov_b32_e32 v41, v5
	;; [unrolled: 1-line block ×7, first 2 shown]
.LBB77_21:                              ; =>This Inner Loop Header: Depth=1
	s_mul_hi_i32 s7, s2, s14
	s_mul_i32 s6, s2, s14
	s_lshl_b64 s[6:7], s[6:7], 2
	s_add_u32 s6, s15, s6
	s_addc_u32 s7, s20, s7
	v_lshl_add_u64 v[24:25], v[6:7], 2, s[6:7]
	v_lshl_add_u64 v[24:25], v[24:25], 0, v[4:5]
	;; [unrolled: 1-line block ×4, first 2 shown]
	global_load_dwordx4 v[50:53], v[24:25], off
	global_load_dwordx4 v[54:57], v[48:49], off
	v_lshl_add_u64 v[24:25], v[10:11], 2, s[6:7]
	v_lshl_add_u64 v[24:25], v[24:25], 0, v[4:5]
	;; [unrolled: 1-line block ×4, first 2 shown]
	global_load_dwordx4 v[58:61], v[24:25], off
	global_load_dwordx4 v[62:65], v[48:49], off
	v_add_u32_e32 v24, 0x1100, v29
	v_mov_b32_e32 v49, 0
	v_mov_b32_e32 v47, 0
	;; [unrolled: 1-line block ×3, first 2 shown]
	s_waitcnt vmcnt(3)
	ds_write_b128 v29, v[50:53]
	s_waitcnt vmcnt(2)
	ds_write_b128 v24, v[54:57]
	;; [unrolled: 2-line block ×4, first 2 shown]
	s_waitcnt lgkmcnt(0)
	s_barrier
	ds_read_b128 v[52:55], v33
	ds_read_b128 v[56:59], v32
	ds_read_b128 v[60:63], v33 offset:8704
	ds_read_b128 v[64:67], v32 offset:256
	s_waitcnt lgkmcnt(2)
	;;#ASMSTART
	v_dot2_f32_f16 v49, v52, v56, v49
	;;#ASMEND
	s_nop 0
	;;#ASMSTART
	v_dot2_f32_f16 v49, v53, v57, v49
	;;#ASMEND
	v_mov_b32_e32 v50, 0
	;;#ASMSTART
	v_dot2_f32_f16 v49, v54, v58, v49
	;;#ASMEND
                                        ; implicit-def: $vgpr51
	s_nop 0
	;;#ASMSTART
	v_dot2_f32_f16 v49, v55, v59, v49
	;;#ASMEND
	s_waitcnt lgkmcnt(0)
	;;#ASMSTART
	v_dot2_f32_f16 v47, v52, v64, v47
	;;#ASMEND
	s_nop 0
	;;#ASMSTART
	v_dot2_f32_f16 v47, v53, v65, v47
	;;#ASMEND
	s_nop 0
	;;#ASMSTART
	v_dot2_f32_f16 v47, v54, v66, v47
	;;#ASMEND
	s_nop 0
	;;#ASMSTART
	v_dot2_f32_f16 v47, v55, v67, v47
	;;#ASMEND
	;;#ASMSTART
	v_dot2_f32_f16 v50, v60, v56, v50
	;;#ASMEND
	s_nop 0
	;;#ASMSTART
	v_dot2_f32_f16 v50, v61, v57, v50
	;;#ASMEND
	s_nop 0
	;;#ASMSTART
	v_dot2_f32_f16 v50, v62, v58, v50
	;;#ASMEND
	s_nop 0
	;;#ASMSTART
	v_dot2_f32_f16 v50, v63, v59, v50
	;;#ASMEND
	;; [unrolled: 15-line block ×3, first 2 shown]
	ds_read_b128 v[52:55], v32 offset:16
	ds_read_b128 v[56:59], v33 offset:16
	;; [unrolled: 1-line block ×4, first 2 shown]
	s_waitcnt lgkmcnt(2)
	;;#ASMSTART
	v_dot2_f32_f16 v49, v56, v52, v49
	;;#ASMEND
	s_nop 0
	;;#ASMSTART
	v_dot2_f32_f16 v49, v57, v53, v49
	;;#ASMEND
	s_nop 0
	;; [unrolled: 4-line block ×3, first 2 shown]
	;;#ASMSTART
	v_dot2_f32_f16 v49, v59, v55, v49
	;;#ASMEND
	s_waitcnt lgkmcnt(0)
	;;#ASMSTART
	v_dot2_f32_f16 v47, v56, v64, v47
	;;#ASMEND
	s_nop 0
	;;#ASMSTART
	v_dot2_f32_f16 v47, v57, v65, v47
	;;#ASMEND
	s_nop 0
	;;#ASMSTART
	v_dot2_f32_f16 v47, v58, v66, v47
	;;#ASMEND
	s_nop 0
	;;#ASMSTART
	v_dot2_f32_f16 v47, v59, v67, v47
	;;#ASMEND
	;;#ASMSTART
	v_dot2_f32_f16 v50, v60, v52, v50
	;;#ASMEND
	s_nop 0
	;;#ASMSTART
	v_dot2_f32_f16 v50, v61, v53, v50
	;;#ASMEND
	s_nop 0
	;;#ASMSTART
	v_dot2_f32_f16 v50, v62, v54, v50
	;;#ASMEND
	s_nop 0
	;;#ASMSTART
	v_dot2_f32_f16 v50, v63, v55, v50
	;;#ASMEND
	;; [unrolled: 15-line block ×3, first 2 shown]
	ds_read_b128 v[52:55], v32 offset:32
	ds_read_b128 v[56:59], v33 offset:32
	ds_read_b128 v[60:63], v33 offset:8736
	ds_read_b128 v[64:67], v32 offset:288
	s_waitcnt lgkmcnt(2)
	;;#ASMSTART
	v_dot2_f32_f16 v49, v56, v52, v49
	;;#ASMEND
	s_nop 0
	;;#ASMSTART
	v_dot2_f32_f16 v49, v57, v53, v49
	;;#ASMEND
	s_nop 0
	;; [unrolled: 4-line block ×3, first 2 shown]
	;;#ASMSTART
	v_dot2_f32_f16 v49, v59, v55, v49
	;;#ASMEND
	s_waitcnt lgkmcnt(0)
	;;#ASMSTART
	v_dot2_f32_f16 v47, v56, v64, v47
	;;#ASMEND
	s_nop 0
	;;#ASMSTART
	v_dot2_f32_f16 v47, v57, v65, v47
	;;#ASMEND
	s_nop 0
	;;#ASMSTART
	v_dot2_f32_f16 v47, v58, v66, v47
	;;#ASMEND
	s_nop 0
	;;#ASMSTART
	v_dot2_f32_f16 v47, v59, v67, v47
	;;#ASMEND
	;;#ASMSTART
	v_dot2_f32_f16 v50, v60, v52, v50
	;;#ASMEND
	s_nop 0
	;;#ASMSTART
	v_dot2_f32_f16 v50, v61, v53, v50
	;;#ASMEND
	s_nop 0
	;;#ASMSTART
	v_dot2_f32_f16 v50, v62, v54, v50
	;;#ASMEND
	s_nop 0
	;;#ASMSTART
	v_dot2_f32_f16 v50, v63, v55, v50
	;;#ASMEND
	;; [unrolled: 15-line block ×3, first 2 shown]
	ds_read_b128 v[52:55], v32 offset:48
	ds_read_b128 v[56:59], v33 offset:48
	ds_read_b128 v[60:63], v33 offset:8752
	ds_read_b128 v[64:67], v32 offset:304
	s_waitcnt lgkmcnt(2)
	;;#ASMSTART
	v_dot2_f32_f16 v49, v56, v52, v49
	;;#ASMEND
	s_nop 0
	;;#ASMSTART
	v_dot2_f32_f16 v49, v57, v53, v49
	;;#ASMEND
	s_nop 0
	;; [unrolled: 4-line block ×3, first 2 shown]
	;;#ASMSTART
	v_dot2_f32_f16 v49, v59, v55, v49
	;;#ASMEND
	s_waitcnt lgkmcnt(0)
	;;#ASMSTART
	v_dot2_f32_f16 v47, v56, v64, v47
	;;#ASMEND
	s_nop 0
	;;#ASMSTART
	v_dot2_f32_f16 v47, v57, v65, v47
	;;#ASMEND
	s_nop 0
	;;#ASMSTART
	v_dot2_f32_f16 v47, v58, v66, v47
	;;#ASMEND
	s_nop 0
	;;#ASMSTART
	v_dot2_f32_f16 v47, v59, v67, v47
	;;#ASMEND
	;;#ASMSTART
	v_dot2_f32_f16 v50, v60, v52, v50
	;;#ASMEND
	s_nop 0
	;;#ASMSTART
	v_dot2_f32_f16 v50, v61, v53, v50
	;;#ASMEND
	s_nop 0
	;;#ASMSTART
	v_dot2_f32_f16 v50, v62, v54, v50
	;;#ASMEND
	s_nop 0
	;;#ASMSTART
	v_dot2_f32_f16 v50, v63, v55, v50
	;;#ASMEND
	;; [unrolled: 15-line block ×3, first 2 shown]
	ds_read_b128 v[52:55], v32 offset:64
	ds_read_b128 v[56:59], v33 offset:64
	;; [unrolled: 1-line block ×4, first 2 shown]
	s_waitcnt lgkmcnt(2)
	;;#ASMSTART
	v_dot2_f32_f16 v49, v56, v52, v49
	;;#ASMEND
	s_nop 0
	;;#ASMSTART
	v_dot2_f32_f16 v49, v57, v53, v49
	;;#ASMEND
	s_nop 0
	;; [unrolled: 4-line block ×3, first 2 shown]
	;;#ASMSTART
	v_dot2_f32_f16 v49, v59, v55, v49
	;;#ASMEND
	s_waitcnt lgkmcnt(0)
	;;#ASMSTART
	v_dot2_f32_f16 v47, v56, v64, v47
	;;#ASMEND
	s_nop 0
	;;#ASMSTART
	v_dot2_f32_f16 v47, v57, v65, v47
	;;#ASMEND
	s_nop 0
	;;#ASMSTART
	v_dot2_f32_f16 v47, v58, v66, v47
	;;#ASMEND
	s_nop 0
	;;#ASMSTART
	v_dot2_f32_f16 v47, v59, v67, v47
	;;#ASMEND
	;;#ASMSTART
	v_dot2_f32_f16 v50, v60, v52, v50
	;;#ASMEND
	s_nop 0
	;;#ASMSTART
	v_dot2_f32_f16 v50, v61, v53, v50
	;;#ASMEND
	s_nop 0
	;;#ASMSTART
	v_dot2_f32_f16 v50, v62, v54, v50
	;;#ASMEND
	s_nop 0
	;;#ASMSTART
	v_dot2_f32_f16 v50, v63, v55, v50
	;;#ASMEND
	;; [unrolled: 15-line block ×3, first 2 shown]
	ds_read_b128 v[52:55], v32 offset:80
	ds_read_b128 v[56:59], v33 offset:80
	;; [unrolled: 1-line block ×4, first 2 shown]
	s_waitcnt lgkmcnt(2)
	;;#ASMSTART
	v_dot2_f32_f16 v49, v56, v52, v49
	;;#ASMEND
	s_nop 0
	;;#ASMSTART
	v_dot2_f32_f16 v49, v57, v53, v49
	;;#ASMEND
	s_nop 0
	;; [unrolled: 4-line block ×3, first 2 shown]
	;;#ASMSTART
	v_dot2_f32_f16 v49, v59, v55, v49
	;;#ASMEND
	s_waitcnt lgkmcnt(0)
	;;#ASMSTART
	v_dot2_f32_f16 v47, v56, v64, v47
	;;#ASMEND
	s_nop 0
	;;#ASMSTART
	v_dot2_f32_f16 v47, v57, v65, v47
	;;#ASMEND
	s_nop 0
	;;#ASMSTART
	v_dot2_f32_f16 v47, v58, v66, v47
	;;#ASMEND
	s_nop 0
	;;#ASMSTART
	v_dot2_f32_f16 v47, v59, v67, v47
	;;#ASMEND
	;;#ASMSTART
	v_dot2_f32_f16 v50, v60, v52, v50
	;;#ASMEND
	s_nop 0
	;;#ASMSTART
	v_dot2_f32_f16 v50, v61, v53, v50
	;;#ASMEND
	s_nop 0
	;;#ASMSTART
	v_dot2_f32_f16 v50, v62, v54, v50
	;;#ASMEND
	s_nop 0
	;;#ASMSTART
	v_dot2_f32_f16 v50, v63, v55, v50
	;;#ASMEND
	;; [unrolled: 15-line block ×3, first 2 shown]
	ds_read_b128 v[52:55], v32 offset:96
	ds_read_b128 v[56:59], v33 offset:96
	ds_read_b128 v[60:63], v33 offset:8800
	ds_read_b128 v[64:67], v32 offset:352
	s_waitcnt lgkmcnt(2)
	;;#ASMSTART
	v_dot2_f32_f16 v49, v56, v52, v49
	;;#ASMEND
	s_nop 0
	;;#ASMSTART
	v_dot2_f32_f16 v49, v57, v53, v49
	;;#ASMEND
	s_nop 0
	;; [unrolled: 4-line block ×3, first 2 shown]
	;;#ASMSTART
	v_dot2_f32_f16 v49, v59, v55, v49
	;;#ASMEND
	s_waitcnt lgkmcnt(0)
	;;#ASMSTART
	v_dot2_f32_f16 v47, v56, v64, v47
	;;#ASMEND
	s_nop 0
	;;#ASMSTART
	v_dot2_f32_f16 v47, v57, v65, v47
	;;#ASMEND
	s_nop 0
	;;#ASMSTART
	v_dot2_f32_f16 v47, v58, v66, v47
	;;#ASMEND
	s_nop 0
	;;#ASMSTART
	v_dot2_f32_f16 v47, v59, v67, v47
	;;#ASMEND
	;;#ASMSTART
	v_dot2_f32_f16 v50, v60, v52, v50
	;;#ASMEND
	s_nop 0
	;;#ASMSTART
	v_dot2_f32_f16 v50, v61, v53, v50
	;;#ASMEND
	s_nop 0
	;;#ASMSTART
	v_dot2_f32_f16 v50, v62, v54, v50
	;;#ASMEND
	s_nop 0
	;;#ASMSTART
	v_dot2_f32_f16 v50, v63, v55, v50
	;;#ASMEND
	;; [unrolled: 15-line block ×3, first 2 shown]
	ds_read_b128 v[52:55], v32 offset:112
	ds_read_b128 v[56:59], v33 offset:112
	;; [unrolled: 1-line block ×4, first 2 shown]
	s_waitcnt lgkmcnt(2)
	;;#ASMSTART
	v_dot2_f32_f16 v49, v56, v52, v49
	;;#ASMEND
	s_nop 0
	;;#ASMSTART
	v_dot2_f32_f16 v49, v57, v53, v49
	;;#ASMEND
	s_nop 0
	;;#ASMSTART
	v_dot2_f32_f16 v49, v58, v54, v49
	;;#ASMEND
	s_nop 0
	;;#ASMSTART
	v_dot2_f32_f16 v49, v59, v55, v49
	;;#ASMEND
	s_waitcnt lgkmcnt(0)
	;;#ASMSTART
	v_dot2_f32_f16 v47, v56, v64, v47
	;;#ASMEND
	s_nop 0
	;;#ASMSTART
	v_dot2_f32_f16 v47, v57, v65, v47
	;;#ASMEND
	s_nop 0
	;;#ASMSTART
	v_dot2_f32_f16 v47, v58, v66, v47
	;;#ASMEND
	s_nop 0
	;;#ASMSTART
	v_dot2_f32_f16 v47, v59, v67, v47
	;;#ASMEND
	;;#ASMSTART
	v_dot2_f32_f16 v50, v60, v52, v50
	;;#ASMEND
	s_nop 0
	;;#ASMSTART
	v_dot2_f32_f16 v50, v61, v53, v50
	;;#ASMEND
	s_nop 0
	;;#ASMSTART
	v_dot2_f32_f16 v50, v62, v54, v50
	;;#ASMEND
	s_nop 0
	;;#ASMSTART
	v_dot2_f32_f16 v50, v63, v55, v50
	;;#ASMEND
	;; [unrolled: 15-line block ×3, first 2 shown]
	ds_read_b128 v[52:55], v32 offset:128
	ds_read_b128 v[56:59], v33 offset:128
	ds_read_b128 v[60:63], v33 offset:8832
	ds_read_b128 v[64:67], v32 offset:384
	s_waitcnt lgkmcnt(2)
	;;#ASMSTART
	v_dot2_f32_f16 v49, v56, v52, v49
	;;#ASMEND
	s_nop 0
	;;#ASMSTART
	v_dot2_f32_f16 v49, v57, v53, v49
	;;#ASMEND
	s_nop 0
	;;#ASMSTART
	v_dot2_f32_f16 v49, v58, v54, v49
	;;#ASMEND
	s_nop 0
	;;#ASMSTART
	v_dot2_f32_f16 v49, v59, v55, v49
	;;#ASMEND
	s_waitcnt lgkmcnt(0)
	;;#ASMSTART
	v_dot2_f32_f16 v47, v56, v64, v47
	;;#ASMEND
	s_nop 0
	;;#ASMSTART
	v_dot2_f32_f16 v47, v57, v65, v47
	;;#ASMEND
	s_nop 0
	;;#ASMSTART
	v_dot2_f32_f16 v47, v58, v66, v47
	;;#ASMEND
	s_nop 0
	;;#ASMSTART
	v_dot2_f32_f16 v47, v59, v67, v47
	;;#ASMEND
	;;#ASMSTART
	v_dot2_f32_f16 v50, v60, v52, v50
	;;#ASMEND
	s_nop 0
	;;#ASMSTART
	v_dot2_f32_f16 v50, v61, v53, v50
	;;#ASMEND
	s_nop 0
	;;#ASMSTART
	v_dot2_f32_f16 v50, v62, v54, v50
	;;#ASMEND
	s_nop 0
	;;#ASMSTART
	v_dot2_f32_f16 v50, v63, v55, v50
	;;#ASMEND
	;; [unrolled: 15-line block ×3, first 2 shown]
	ds_read_b128 v[52:55], v32 offset:144
	ds_read_b128 v[56:59], v33 offset:144
	;; [unrolled: 1-line block ×4, first 2 shown]
	s_waitcnt lgkmcnt(2)
	;;#ASMSTART
	v_dot2_f32_f16 v49, v56, v52, v49
	;;#ASMEND
	s_nop 0
	;;#ASMSTART
	v_dot2_f32_f16 v49, v57, v53, v49
	;;#ASMEND
	s_nop 0
	;; [unrolled: 4-line block ×3, first 2 shown]
	;;#ASMSTART
	v_dot2_f32_f16 v49, v59, v55, v49
	;;#ASMEND
	s_waitcnt lgkmcnt(0)
	;;#ASMSTART
	v_dot2_f32_f16 v47, v56, v64, v47
	;;#ASMEND
	s_nop 0
	;;#ASMSTART
	v_dot2_f32_f16 v47, v57, v65, v47
	;;#ASMEND
	s_nop 0
	;;#ASMSTART
	v_dot2_f32_f16 v47, v58, v66, v47
	;;#ASMEND
	s_nop 0
	;;#ASMSTART
	v_dot2_f32_f16 v47, v59, v67, v47
	;;#ASMEND
	;;#ASMSTART
	v_dot2_f32_f16 v50, v60, v52, v50
	;;#ASMEND
	s_nop 0
	;;#ASMSTART
	v_dot2_f32_f16 v50, v61, v53, v50
	;;#ASMEND
	s_nop 0
	;;#ASMSTART
	v_dot2_f32_f16 v50, v62, v54, v50
	;;#ASMEND
	s_nop 0
	;;#ASMSTART
	v_dot2_f32_f16 v50, v63, v55, v50
	;;#ASMEND
	;;#ASMSTART
	v_dot2_f32_f16 v48, v60, v64, v48
	;;#ASMEND
	s_nop 0
	;;#ASMSTART
	v_dot2_f32_f16 v48, v61, v65, v48
	;;#ASMEND
	s_nop 0
	;;#ASMSTART
	v_dot2_f32_f16 v48, v62, v66, v48
	;;#ASMEND
	s_nop 0
	;;#ASMSTART
	v_dot2_f32_f16 v48, v63, v67, v48
	;;#ASMEND
	ds_read_b128 v[52:55], v32 offset:160
	ds_read_b128 v[56:59], v33 offset:160
	;; [unrolled: 1-line block ×4, first 2 shown]
	s_waitcnt lgkmcnt(2)
	;;#ASMSTART
	v_dot2_f32_f16 v49, v56, v52, v49
	;;#ASMEND
	s_nop 0
	;;#ASMSTART
	v_dot2_f32_f16 v49, v57, v53, v49
	;;#ASMEND
	s_nop 0
	;; [unrolled: 4-line block ×3, first 2 shown]
	;;#ASMSTART
	v_dot2_f32_f16 v49, v59, v55, v49
	;;#ASMEND
	s_waitcnt lgkmcnt(0)
	;;#ASMSTART
	v_dot2_f32_f16 v47, v56, v64, v47
	;;#ASMEND
	s_nop 0
	;;#ASMSTART
	v_dot2_f32_f16 v47, v57, v65, v47
	;;#ASMEND
	s_nop 0
	;;#ASMSTART
	v_dot2_f32_f16 v47, v58, v66, v47
	;;#ASMEND
	s_nop 0
	;;#ASMSTART
	v_dot2_f32_f16 v47, v59, v67, v47
	;;#ASMEND
	;;#ASMSTART
	v_dot2_f32_f16 v50, v60, v52, v50
	;;#ASMEND
	s_nop 0
	;;#ASMSTART
	v_dot2_f32_f16 v50, v61, v53, v50
	;;#ASMEND
	s_nop 0
	;;#ASMSTART
	v_dot2_f32_f16 v50, v62, v54, v50
	;;#ASMEND
	s_nop 0
	;;#ASMSTART
	v_dot2_f32_f16 v50, v63, v55, v50
	;;#ASMEND
	;; [unrolled: 15-line block ×3, first 2 shown]
	ds_read_b128 v[52:55], v32 offset:176
	ds_read_b128 v[56:59], v33 offset:176
	;; [unrolled: 1-line block ×4, first 2 shown]
	s_waitcnt lgkmcnt(2)
	;;#ASMSTART
	v_dot2_f32_f16 v49, v56, v52, v49
	;;#ASMEND
	s_nop 0
	;;#ASMSTART
	v_dot2_f32_f16 v49, v57, v53, v49
	;;#ASMEND
	s_nop 0
	;; [unrolled: 4-line block ×3, first 2 shown]
	;;#ASMSTART
	v_dot2_f32_f16 v49, v59, v55, v49
	;;#ASMEND
	s_waitcnt lgkmcnt(0)
	;;#ASMSTART
	v_dot2_f32_f16 v47, v56, v64, v47
	;;#ASMEND
	s_nop 0
	;;#ASMSTART
	v_dot2_f32_f16 v47, v57, v65, v47
	;;#ASMEND
	s_nop 0
	;;#ASMSTART
	v_dot2_f32_f16 v47, v58, v66, v47
	;;#ASMEND
	s_nop 0
	;;#ASMSTART
	v_dot2_f32_f16 v47, v59, v67, v47
	;;#ASMEND
	;;#ASMSTART
	v_dot2_f32_f16 v50, v60, v52, v50
	;;#ASMEND
	s_nop 0
	;;#ASMSTART
	v_dot2_f32_f16 v50, v61, v53, v50
	;;#ASMEND
	s_nop 0
	;;#ASMSTART
	v_dot2_f32_f16 v50, v62, v54, v50
	;;#ASMEND
	s_nop 0
	;;#ASMSTART
	v_dot2_f32_f16 v50, v63, v55, v50
	;;#ASMEND
	;; [unrolled: 15-line block ×3, first 2 shown]
	ds_read_b128 v[52:55], v32 offset:192
	ds_read_b128 v[56:59], v33 offset:192
	;; [unrolled: 1-line block ×4, first 2 shown]
	s_waitcnt lgkmcnt(2)
	;;#ASMSTART
	v_dot2_f32_f16 v49, v56, v52, v49
	;;#ASMEND
	s_nop 0
	;;#ASMSTART
	v_dot2_f32_f16 v49, v57, v53, v49
	;;#ASMEND
	s_nop 0
	;;#ASMSTART
	v_dot2_f32_f16 v49, v58, v54, v49
	;;#ASMEND
	s_nop 0
	;;#ASMSTART
	v_dot2_f32_f16 v49, v59, v55, v49
	;;#ASMEND
	s_waitcnt lgkmcnt(0)
	;;#ASMSTART
	v_dot2_f32_f16 v47, v56, v64, v47
	;;#ASMEND
	s_nop 0
	;;#ASMSTART
	v_dot2_f32_f16 v47, v57, v65, v47
	;;#ASMEND
	s_nop 0
	;;#ASMSTART
	v_dot2_f32_f16 v47, v58, v66, v47
	;;#ASMEND
	s_nop 0
	;;#ASMSTART
	v_dot2_f32_f16 v47, v59, v67, v47
	;;#ASMEND
	;;#ASMSTART
	v_dot2_f32_f16 v50, v60, v52, v50
	;;#ASMEND
	s_nop 0
	;;#ASMSTART
	v_dot2_f32_f16 v50, v61, v53, v50
	;;#ASMEND
	s_nop 0
	;;#ASMSTART
	v_dot2_f32_f16 v50, v62, v54, v50
	;;#ASMEND
	s_nop 0
	;;#ASMSTART
	v_dot2_f32_f16 v50, v63, v55, v50
	;;#ASMEND
	;; [unrolled: 15-line block ×3, first 2 shown]
	ds_read_b128 v[52:55], v32 offset:208
	ds_read_b128 v[56:59], v33 offset:208
	;; [unrolled: 1-line block ×4, first 2 shown]
	s_waitcnt lgkmcnt(2)
	;;#ASMSTART
	v_dot2_f32_f16 v49, v56, v52, v49
	;;#ASMEND
	s_nop 0
	;;#ASMSTART
	v_dot2_f32_f16 v49, v57, v53, v49
	;;#ASMEND
	s_nop 0
	;;#ASMSTART
	v_dot2_f32_f16 v49, v58, v54, v49
	;;#ASMEND
	s_nop 0
	;;#ASMSTART
	v_dot2_f32_f16 v49, v59, v55, v49
	;;#ASMEND
	s_waitcnt lgkmcnt(0)
	;;#ASMSTART
	v_dot2_f32_f16 v47, v56, v64, v47
	;;#ASMEND
	s_nop 0
	;;#ASMSTART
	v_dot2_f32_f16 v47, v57, v65, v47
	;;#ASMEND
	s_nop 0
	;;#ASMSTART
	v_dot2_f32_f16 v47, v58, v66, v47
	;;#ASMEND
	s_nop 0
	;;#ASMSTART
	v_dot2_f32_f16 v47, v59, v67, v47
	;;#ASMEND
	;;#ASMSTART
	v_dot2_f32_f16 v50, v60, v52, v50
	;;#ASMEND
	s_nop 0
	;;#ASMSTART
	v_dot2_f32_f16 v50, v61, v53, v50
	;;#ASMEND
	s_nop 0
	;;#ASMSTART
	v_dot2_f32_f16 v50, v62, v54, v50
	;;#ASMEND
	s_nop 0
	;;#ASMSTART
	v_dot2_f32_f16 v50, v63, v55, v50
	;;#ASMEND
	;; [unrolled: 15-line block ×3, first 2 shown]
	ds_read_b128 v[52:55], v32 offset:224
	ds_read_b128 v[56:59], v33 offset:224
	;; [unrolled: 1-line block ×4, first 2 shown]
	s_waitcnt lgkmcnt(2)
	;;#ASMSTART
	v_dot2_f32_f16 v49, v56, v52, v49
	;;#ASMEND
	s_nop 0
	;;#ASMSTART
	v_dot2_f32_f16 v49, v57, v53, v49
	;;#ASMEND
	s_nop 0
	;; [unrolled: 4-line block ×3, first 2 shown]
	;;#ASMSTART
	v_dot2_f32_f16 v49, v59, v55, v49
	;;#ASMEND
	s_waitcnt lgkmcnt(0)
	;;#ASMSTART
	v_dot2_f32_f16 v47, v56, v64, v47
	;;#ASMEND
	s_nop 0
	;;#ASMSTART
	v_dot2_f32_f16 v47, v57, v65, v47
	;;#ASMEND
	s_nop 0
	;;#ASMSTART
	v_dot2_f32_f16 v47, v58, v66, v47
	;;#ASMEND
	s_nop 0
	;;#ASMSTART
	v_dot2_f32_f16 v47, v59, v67, v47
	;;#ASMEND
	;;#ASMSTART
	v_dot2_f32_f16 v50, v60, v52, v50
	;;#ASMEND
	s_nop 0
	;;#ASMSTART
	v_dot2_f32_f16 v50, v61, v53, v50
	;;#ASMEND
	s_nop 0
	;;#ASMSTART
	v_dot2_f32_f16 v50, v62, v54, v50
	;;#ASMEND
	s_nop 0
	;;#ASMSTART
	v_dot2_f32_f16 v50, v63, v55, v50
	;;#ASMEND
	;;#ASMSTART
	v_dot2_f32_f16 v48, v60, v64, v48
	;;#ASMEND
	s_nop 0
	;;#ASMSTART
	v_dot2_f32_f16 v48, v61, v65, v48
	;;#ASMEND
	s_nop 0
	;;#ASMSTART
	v_dot2_f32_f16 v48, v62, v66, v48
	;;#ASMEND
	s_nop 0
	;;#ASMSTART
	v_dot2_f32_f16 v48, v63, v67, v48
	;;#ASMEND
	ds_read_b128 v[52:55], v32 offset:240
	ds_read_b128 v[56:59], v33 offset:240
	;; [unrolled: 1-line block ×4, first 2 shown]
	s_waitcnt lgkmcnt(2)
	;;#ASMSTART
	v_dot2_f32_f16 v49, v56, v52, v49
	;;#ASMEND
	s_nop 0
	;;#ASMSTART
	v_dot2_f32_f16 v49, v57, v53, v49
	;;#ASMEND
	s_nop 0
	;; [unrolled: 4-line block ×3, first 2 shown]
	;;#ASMSTART
	v_dot2_f32_f16 v49, v59, v55, v49
	;;#ASMEND
	s_waitcnt lgkmcnt(0)
	;;#ASMSTART
	v_dot2_f32_f16 v47, v56, v64, v47
	;;#ASMEND
	s_nop 0
	;;#ASMSTART
	v_dot2_f32_f16 v47, v57, v65, v47
	;;#ASMEND
	v_cmp_nlt_f32_e64 s[6:7], |v49|, s21
	;;#ASMSTART
	v_dot2_f32_f16 v47, v58, v66, v47
	;;#ASMEND
	s_nop 0
	;;#ASMSTART
	v_dot2_f32_f16 v47, v59, v67, v47
	;;#ASMEND
	;;#ASMSTART
	v_dot2_f32_f16 v50, v60, v52, v50
	;;#ASMEND
	s_nop 0
	;;#ASMSTART
	v_dot2_f32_f16 v50, v61, v53, v50
	;;#ASMEND
	s_nop 0
	;; [unrolled: 4-line block ×3, first 2 shown]
	;;#ASMSTART
	v_dot2_f32_f16 v50, v63, v55, v50
	;;#ASMEND
	;;#ASMSTART
	v_dot2_f32_f16 v48, v60, v64, v48
	;;#ASMEND
	s_nop 0
	;;#ASMSTART
	v_dot2_f32_f16 v48, v61, v65, v48
	;;#ASMEND
	s_nop 0
	;; [unrolled: 4-line block ×3, first 2 shown]
	;;#ASMSTART
	v_dot2_f32_f16 v48, v63, v67, v48
	;;#ASMEND
	s_and_saveexec_b64 s[36:37], s[6:7]
	s_xor_b64 s[6:7], exec, s[36:37]
	s_cbranch_execz .LBB77_23
; %bb.22:                               ;   in Loop: Header=BB77_21 Depth=1
	v_add_f32_e64 v24, |v49|, |v49|
	v_mul_f32_e32 v25, 0x3fb8aa3b, v24
	v_rndne_f32_e32 v51, v25
	v_sub_f32_e32 v52, v25, v51
	v_fma_f32 v25, v24, s28, -v25
	v_fmac_f32_e32 v25, 0x32a5705f, v24
	v_add_f32_e32 v25, v52, v25
	v_cvt_i32_f32_e32 v51, v51
	v_exp_f32_e32 v25, v25
	v_cmp_ngt_f32_e32 vcc, s29, v24
	v_ldexp_f32 v25, v25, v51
	s_nop 0
	v_cndmask_b32_e32 v25, 0, v25, vcc
	v_cmp_nlt_f32_e32 vcc, s31, v24
	s_nop 1
	v_cndmask_b32_e32 v24, v40, v25, vcc
	v_add_f32_e32 v24, 1.0, v24
	v_rcp_f32_e32 v24, v24
	s_nop 0
	v_fma_f32 v51, v24, -2.0, 1.0
.LBB77_23:                              ;   in Loop: Header=BB77_21 Depth=1
	s_andn2_saveexec_b64 s[6:7], s[6:7]
; %bb.24:                               ;   in Loop: Header=BB77_21 Depth=1
	v_mul_f32_e32 v24, v49, v49
	v_fmamk_f32 v25, v24, 0xbbbac73d, v39
	v_fmaak_f32 v25, v24, v25, 0xbd5c1c4e
	v_fmaak_f32 v25, v24, v25, 0x3e088382
	;; [unrolled: 1-line block ×3, first 2 shown]
	v_mul_f32_e64 v25, |v49|, v25
	v_fma_f32 v51, v24, v25, |v49|
; %bb.25:                               ;   in Loop: Header=BB77_21 Depth=1
	s_or_b64 exec, exec, s[6:7]
	v_add_u32_e32 v24, s2, v14
	v_ashrrev_i32_e32 v25, 31, v24
	v_lshl_add_u64 v[24:25], v[24:25], 1, s[26:27]
	global_load_ushort v55, v[24:25], off
	v_cmp_nlt_f32_e64 s[6:7], |v50|, s21
                                        ; implicit-def: $vgpr52
	s_and_saveexec_b64 s[36:37], s[6:7]
	s_xor_b64 s[6:7], exec, s[36:37]
	s_cbranch_execz .LBB77_27
; %bb.26:                               ;   in Loop: Header=BB77_21 Depth=1
	v_add_f32_e64 v52, |v50|, |v50|
	v_mul_f32_e32 v53, 0x3fb8aa3b, v52
	v_rndne_f32_e32 v54, v53
	v_sub_f32_e32 v56, v53, v54
	v_fma_f32 v53, v52, s28, -v53
	v_fmac_f32_e32 v53, 0x32a5705f, v52
	v_add_f32_e32 v53, v56, v53
	v_cvt_i32_f32_e32 v54, v54
	v_exp_f32_e32 v53, v53
	v_cmp_ngt_f32_e32 vcc, s29, v52
	v_ldexp_f32 v53, v53, v54
	s_nop 0
	v_cndmask_b32_e32 v53, 0, v53, vcc
	v_cmp_nlt_f32_e32 vcc, s31, v52
	s_nop 1
	v_cndmask_b32_e32 v52, v40, v53, vcc
	v_add_f32_e32 v52, 1.0, v52
	v_rcp_f32_e32 v52, v52
	s_nop 0
	v_fma_f32 v52, v52, -2.0, 1.0
.LBB77_27:                              ;   in Loop: Header=BB77_21 Depth=1
	s_andn2_saveexec_b64 s[6:7], s[6:7]
; %bb.28:                               ;   in Loop: Header=BB77_21 Depth=1
	v_mul_f32_e32 v52, v50, v50
	v_fmamk_f32 v53, v52, 0xbbbac73d, v39
	v_fmaak_f32 v53, v52, v53, 0xbd5c1c4e
	v_fmaak_f32 v53, v52, v53, 0x3e088382
	;; [unrolled: 1-line block ×3, first 2 shown]
	v_mul_f32_e64 v53, |v50|, v53
	v_fma_f32 v52, v52, v53, |v50|
; %bb.29:                               ;   in Loop: Header=BB77_21 Depth=1
	s_or_b64 exec, exec, s[6:7]
	global_load_ushort v61, v[24:25], off offset:64
	v_bfi_b32 v24, s33, v51, v49
	s_waitcnt vmcnt(1)
	v_fma_mix_f32 v56, s10, v24, v55 op_sel_hi:[0,0,1]
	v_and_b32_e32 v24, 0x60, v15
	v_add_u32_e32 v49, 32, v24
	v_xor_b32_e32 v54, 16, v15
	v_bfi_b32 v25, s33, v52, v50
	v_cmp_lt_i32_e32 vcc, v54, v49
	v_add_f32_e32 v51, 0x40051340, v56
	v_cmp_nlt_f32_e64 s[6:7], |v47|, s21
	v_cndmask_b32_e32 v24, v15, v54, vcc
	v_lshlrev_b32_e32 v24, 2, v24
                                        ; implicit-def: $vgpr64
	s_waitcnt vmcnt(0)
	v_fma_mix_f32 v25, s10, v25, v61 op_sel_hi:[0,0,1]
	v_add_f32_e32 v50, 0x40051340, v25
	v_max3_f32 v51, v46, v51, v50
	ds_bpermute_b32 v52, v24, v51
	v_xor_b32_e32 v50, 8, v15
	v_cmp_lt_i32_e32 vcc, v50, v49
	s_waitcnt lgkmcnt(0)
	v_max_f32_e32 v52, v52, v52
	v_cndmask_b32_e32 v53, v15, v50, vcc
	v_lshlrev_b32_e32 v60, 2, v53
	v_max_f32_e32 v52, v51, v52
	ds_bpermute_b32 v53, v60, v52
	v_xor_b32_e32 v51, 4, v15
	v_cmp_lt_i32_e32 vcc, v51, v49
	s_waitcnt lgkmcnt(0)
	v_max_f32_e32 v53, v53, v53
	v_cndmask_b32_e32 v57, v15, v51, vcc
	v_lshlrev_b32_e32 v59, 2, v57
	v_max_f32_e32 v53, v52, v53
	;; [unrolled: 8-line block ×4, first 2 shown]
	ds_bpermute_b32 v63, v57, v62
	s_and_saveexec_b64 s[36:37], s[6:7]
	s_xor_b64 s[6:7], exec, s[36:37]
	s_cbranch_execz .LBB77_31
; %bb.30:                               ;   in Loop: Header=BB77_21 Depth=1
	v_add_f32_e64 v64, |v47|, |v47|
	v_mul_f32_e32 v65, 0x3fb8aa3b, v64
	v_rndne_f32_e32 v66, v65
	v_sub_f32_e32 v67, v65, v66
	v_fma_f32 v65, v64, s28, -v65
	v_fmac_f32_e32 v65, 0x32a5705f, v64
	v_add_f32_e32 v65, v67, v65
	v_cvt_i32_f32_e32 v66, v66
	v_exp_f32_e32 v65, v65
	v_cmp_ngt_f32_e32 vcc, s29, v64
	v_ldexp_f32 v65, v65, v66
	s_nop 0
	v_cndmask_b32_e32 v65, 0, v65, vcc
	v_cmp_nlt_f32_e32 vcc, s31, v64
	s_nop 1
	v_cndmask_b32_e32 v64, v40, v65, vcc
	v_add_f32_e32 v64, 1.0, v64
	v_rcp_f32_e32 v64, v64
	s_nop 0
	v_fma_f32 v64, v64, -2.0, 1.0
.LBB77_31:                              ;   in Loop: Header=BB77_21 Depth=1
	s_andn2_saveexec_b64 s[6:7], s[6:7]
; %bb.32:                               ;   in Loop: Header=BB77_21 Depth=1
	v_mul_f32_e32 v64, v47, v47
	v_fmamk_f32 v65, v64, 0xbbbac73d, v39
	v_fmaak_f32 v65, v64, v65, 0xbd5c1c4e
	v_fmaak_f32 v65, v64, v65, 0x3e088382
	;; [unrolled: 1-line block ×3, first 2 shown]
	v_mul_f32_e64 v65, |v47|, v65
	v_fma_f32 v64, v64, v65, |v47|
; %bb.33:                               ;   in Loop: Header=BB77_21 Depth=1
	s_or_b64 exec, exec, s[6:7]
	v_cmp_nlt_f32_e64 s[6:7], |v48|, s21
                                        ; implicit-def: $vgpr65
	s_and_saveexec_b64 s[36:37], s[6:7]
	s_xor_b64 s[6:7], exec, s[36:37]
	s_cbranch_execz .LBB77_35
; %bb.34:                               ;   in Loop: Header=BB77_21 Depth=1
	v_add_f32_e64 v65, |v48|, |v48|
	v_mul_f32_e32 v66, 0x3fb8aa3b, v65
	v_rndne_f32_e32 v67, v66
	v_sub_f32_e32 v68, v66, v67
	v_fma_f32 v66, v65, s28, -v66
	v_fmac_f32_e32 v66, 0x32a5705f, v65
	v_add_f32_e32 v66, v68, v66
	v_cvt_i32_f32_e32 v67, v67
	v_exp_f32_e32 v66, v66
	v_cmp_ngt_f32_e32 vcc, s29, v65
	v_ldexp_f32 v66, v66, v67
	s_nop 0
	v_cndmask_b32_e32 v66, 0, v66, vcc
	v_cmp_nlt_f32_e32 vcc, s31, v65
	s_nop 1
	v_cndmask_b32_e32 v65, v40, v66, vcc
	v_add_f32_e32 v65, 1.0, v65
	v_rcp_f32_e32 v65, v65
	s_nop 0
	v_fma_f32 v65, v65, -2.0, 1.0
.LBB77_35:                              ;   in Loop: Header=BB77_21 Depth=1
	s_andn2_saveexec_b64 s[6:7], s[6:7]
; %bb.36:                               ;   in Loop: Header=BB77_21 Depth=1
	v_mul_f32_e32 v65, v48, v48
	v_fmamk_f32 v66, v65, 0xbbbac73d, v39
	v_fmaak_f32 v66, v65, v66, 0xbd5c1c4e
	v_fmaak_f32 v66, v65, v66, 0x3e088382
	;; [unrolled: 1-line block ×3, first 2 shown]
	v_mul_f32_e64 v66, |v48|, v66
	v_fma_f32 v65, v65, v66, |v48|
; %bb.37:                               ;   in Loop: Header=BB77_21 Depth=1
	s_or_b64 exec, exec, s[6:7]
	v_cvt_f32_f16_e32 v55, v55
	v_cvt_f32_f16_e32 v78, v61
	v_bfi_b32 v47, s33, v64, v47
	v_bfi_b32 v48, s33, v65, v48
	v_fmac_f32_e32 v55, s10, v47
	v_fmac_f32_e32 v78, s10, v48
	v_add_f32_e32 v47, 0x40051340, v55
	v_add_f32_e32 v48, 0x40051340, v78
	v_max3_f32 v47, v45, v47, v48
	ds_bpermute_b32 v24, v24, v47
	s_waitcnt lgkmcnt(1)
	v_max_f32_e32 v48, v63, v63
	v_max_f32_e32 v61, v62, v62
	s_mul_hi_i32 s7, s2, s11
	s_mul_i32 s6, s2, s11
	s_waitcnt lgkmcnt(0)
	v_max_f32_e32 v24, v24, v24
	v_max_f32_e32 v47, v47, v24
	ds_bpermute_b32 v60, v60, v47
	v_max_f32_e32 v24, v61, v48
	v_sub_f32_e32 v48, v56, v24
	v_sub_f32_e32 v80, v25, v24
	;; [unrolled: 1-line block ×3, first 2 shown]
	s_waitcnt lgkmcnt(0)
	v_max_f32_e32 v56, v60, v60
	v_max_f32_e32 v47, v47, v56
	ds_bpermute_b32 v56, v59, v47
	v_mul_f32_e32 v59, 0x3fb8aa3b, v48
	v_fma_f32 v60, v48, s28, -v59
	v_rndne_f32_e32 v61, v59
	v_fmac_f32_e32 v60, 0x32a5705f, v48
	s_waitcnt lgkmcnt(0)
	v_max_f32_e32 v56, v56, v56
	v_max_f32_e32 v47, v47, v56
	ds_bpermute_b32 v56, v58, v47
	v_sub_f32_e32 v58, v59, v61
	v_mul_f32_e32 v46, 0x3fb8aa3b, v80
	s_lshl_b64 s[6:7], s[6:7], 2
	v_add_f32_e32 v58, v58, v60
	s_waitcnt lgkmcnt(0)
	v_max_f32_e32 v56, v56, v56
	v_max_f32_e32 v47, v47, v56
	ds_bpermute_b32 v56, v57, v47
	s_add_u32 s6, s8, s6
	v_cvt_i32_f32_e32 v59, v61
	v_exp_f32_e32 v58, v58
	s_addc_u32 s7, s9, s7
	s_waitcnt lgkmcnt(0)
	v_max_f32_e32 v25, v56, v56
	v_max_f32_e32 v25, v47, v25
	v_fma_f32 v47, v80, s28, -v46
	v_rndne_f32_e32 v56, v46
	v_fmac_f32_e32 v47, 0x32a5705f, v80
	v_sub_f32_e32 v46, v46, v56
	v_add_f32_e32 v46, v46, v47
	v_cvt_i32_f32_e32 v83, v56
	v_lshl_add_u64 v[56:57], v[18:19], 2, s[6:7]
	v_exp_f32_e32 v82, v46
	v_lshl_add_u64 v[46:47], v[16:17], 2, s[6:7]
	v_lshl_add_u64 v[72:73], v[56:57], 0, v[4:5]
	;; [unrolled: 1-line block ×6, first 2 shown]
	s_barrier
	v_ldexp_f32 v81, v58, v59
	v_lshl_add_u64 v[76:77], v[56:57], 0, v[4:5]
	global_load_dwordx4 v[56:59], v[46:47], off
	global_load_dwordx4 v[60:63], v[72:73], off
	;; [unrolled: 1-line block ×4, first 2 shown]
	v_cmp_ngt_f32_e32 vcc, s29, v48
	v_ldexp_f32 v47, v82, v83
	s_nop 0
	v_cndmask_b32_e32 v46, 0, v81, vcc
	v_cmp_nlt_f32_e32 vcc, s31, v48
	v_mul_f32_e32 v48, 0x3fb8aa3b, v79
	v_fma_f32 v72, v79, s28, -v48
	v_rndne_f32_e32 v73, v48
	v_fmac_f32_e32 v72, 0x32a5705f, v79
	v_sub_f32_e32 v48, v48, v73
	v_add_f32_e32 v48, v48, v72
	v_exp_f32_e32 v48, v48
	v_cvt_i32_f32_e32 v73, v73
	v_cndmask_b32_e32 v46, v40, v46, vcc
	v_cmp_ngt_f32_e32 vcc, s29, v80
	s_nop 1
	v_cndmask_b32_e32 v47, 0, v47, vcc
	v_cmp_nlt_f32_e32 vcc, s31, v80
	s_nop 1
	v_cndmask_b32_e32 v72, v40, v47, vcc
	v_ldexp_f32 v47, v48, v73
	v_sub_f32_e32 v48, v55, v25
	v_cmp_ngt_f32_e32 vcc, s29, v79
	v_mul_f32_e32 v55, 0x3fb8aa3b, v48
	v_fma_f32 v73, v48, s28, -v55
	v_cndmask_b32_e32 v47, 0, v47, vcc
	v_cmp_nlt_f32_e32 vcc, s31, v79
	v_rndne_f32_e32 v75, v55
	v_fmac_f32_e32 v73, 0x32a5705f, v48
	v_cndmask_b32_e32 v74, v40, v47, vcc
	v_sub_f32_e32 v55, v55, v75
	v_cvt_f16_f32_e32 v47, v74
	v_add_f32_e32 v55, v55, v73
	v_exp_f32_e32 v55, v55
	v_cvt_i32_f32_e32 v73, v75
	v_mul_u32_u24_e32 v76, 0x10001, v47
	v_pk_mul_f16 v77, v44, v76
	v_sub_f32_e32 v44, v45, v25
	v_ldexp_f32 v45, v55, v73
	v_cmp_ngt_f32_e32 vcc, s29, v48
	s_nop 1
	v_cndmask_b32_e32 v45, 0, v45, vcc
	v_cmp_nlt_f32_e32 vcc, s31, v48
	s_nop 1
	v_cndmask_b32_e32 v47, v40, v45, vcc
	v_sub_f32_e32 v45, v78, v25
	v_mul_f32_e32 v48, 0x3fb8aa3b, v45
	v_fma_f32 v55, v45, s28, -v48
	v_rndne_f32_e32 v73, v48
	v_fmac_f32_e32 v55, 0x32a5705f, v45
	v_sub_f32_e32 v48, v48, v73
	v_add_f32_e32 v48, v48, v55
	v_cvt_i32_f32_e32 v55, v73
	v_mul_f32_e32 v73, 0x3fb8aa3b, v44
	v_fma_f32 v75, v44, s28, -v73
	v_rndne_f32_e32 v78, v73
	v_fmac_f32_e32 v75, 0x32a5705f, v44
	v_sub_f32_e32 v73, v73, v78
	v_exp_f32_e32 v48, v48
	v_add_f32_e32 v73, v73, v75
	v_exp_f32_e32 v73, v73
	v_cvt_i32_f32_e32 v75, v78
	v_ldexp_f32 v48, v48, v55
	v_cmp_ngt_f32_e32 vcc, s29, v45
	v_ldexp_f32 v55, v73, v75
	s_nop 0
	v_cndmask_b32_e32 v48, 0, v48, vcc
	v_cmp_ngt_f32_e32 vcc, s29, v44
	s_nop 1
	v_cndmask_b32_e32 v55, 0, v55, vcc
	v_cmp_nlt_f32_e32 vcc, s31, v44
	s_nop 1
	v_cndmask_b32_e32 v75, v40, v55, vcc
	v_cmp_nlt_f32_e32 vcc, s31, v45
	v_cvt_f16_f32_e32 v55, v75
	s_nop 0
	v_cndmask_b32_e32 v73, v40, v48, vcc
	v_pk_add_f32 v[44:45], v[46:47], v[72:73]
	v_mul_u32_u24_e32 v48, 0x10001, v55
	v_pk_fma_f32 v[2:3], v[2:3], v[74:75], v[44:45]
	v_add_u32_e32 v44, v34, v27
	v_cvt_pk_f16_f32 v45, v46, v47
	v_cvt_pk_f16_f32 v46, v72, v73
	ds_write2_b32 v44, v45, v46 offset1:32
	s_waitcnt vmcnt(3)
	ds_write_b128 v35, v[56:59]
	s_waitcnt vmcnt(2)
	ds_write_b128 v36, v[60:63]
	;; [unrolled: 2-line block ×4, first 2 shown]
	s_waitcnt lgkmcnt(0)
	s_barrier
	ds_read_b128 v[44:47], v34
	ds_read2_b64 v[56:59], v28 offset1:32
	ds_read_b128 v[60:63], v34 offset:16
	ds_read_b128 v[64:67], v34 offset:32
	;; [unrolled: 1-line block ×3, first 2 shown]
	s_waitcnt lgkmcnt(4)
	v_mul_u32_u24_sdwa v55, v44, s34 dst_sel:DWORD dst_unused:UNUSED_PAD src0_sel:WORD_0 src1_sel:DWORD
	v_mul_u32_u24_sdwa v44, v44, s34 dst_sel:DWORD dst_unused:UNUSED_PAD src0_sel:WORD_1 src1_sel:DWORD
	s_waitcnt lgkmcnt(3)
	v_pk_mul_f16 v72, v56, v55
	v_pk_mul_f16 v56, v56, v44
	;; [unrolled: 1-line block ×3, first 2 shown]
	v_pk_fma_f16 v43, v43, v76, v72
	v_pk_fma_f16 v41, v41, v48, v56
	v_mul_u32_u24_sdwa v56, v45, s34 dst_sel:DWORD dst_unused:UNUSED_PAD src0_sel:WORD_0 src1_sel:DWORD
	v_pk_fma_f16 v48, v57, v55, v77
	v_pk_fma_f16 v55, v57, v44, v42
	v_mul_u32_u24_sdwa v57, v45, s34 dst_sel:DWORD dst_unused:UNUSED_PAD src0_sel:WORD_1 src1_sel:DWORD
	v_pk_fma_f16 v72, v58, v56, v43
	ds_read2_b64 v[42:45], v28 offset0:64 offset1:96
	v_pk_fma_f16 v41, v58, v57, v41
	v_pk_fma_f16 v48, v59, v56, v48
	;; [unrolled: 1-line block ×3, first 2 shown]
	v_mul_u32_u24_sdwa v56, v46, s34 dst_sel:DWORD dst_unused:UNUSED_PAD src0_sel:WORD_0 src1_sel:DWORD
	v_mul_u32_u24_sdwa v46, v46, s34 dst_sel:DWORD dst_unused:UNUSED_PAD src0_sel:WORD_1 src1_sel:DWORD
	s_waitcnt lgkmcnt(0)
	v_pk_fma_f16 v57, v42, v56, v72
	v_pk_fma_f16 v41, v42, v46, v41
	;; [unrolled: 1-line block ×4, first 2 shown]
	v_mul_u32_u24_sdwa v46, v47, s34 dst_sel:DWORD dst_unused:UNUSED_PAD src0_sel:WORD_0 src1_sel:DWORD
	v_pk_fma_f16 v48, v44, v46, v57
	ds_read2_b64 v[56:59], v28 offset0:128 offset1:160
	v_mul_u32_u24_sdwa v47, v47, s34 dst_sel:DWORD dst_unused:UNUSED_PAD src0_sel:WORD_1 src1_sel:DWORD
	v_pk_fma_f16 v41, v44, v47, v41
	v_pk_fma_f16 v42, v45, v46, v42
	;; [unrolled: 1-line block ×3, first 2 shown]
	v_mul_u32_u24_sdwa v44, v60, s34 dst_sel:DWORD dst_unused:UNUSED_PAD src0_sel:WORD_0 src1_sel:DWORD
	v_mul_u32_u24_sdwa v45, v60, s34 dst_sel:DWORD dst_unused:UNUSED_PAD src0_sel:WORD_1 src1_sel:DWORD
	s_waitcnt lgkmcnt(0)
	v_pk_fma_f16 v46, v56, v44, v48
	v_pk_fma_f16 v41, v56, v45, v41
	;; [unrolled: 1-line block ×4, first 2 shown]
	ds_read2_b64 v[42:45], v28 offset0:192 offset1:224
	v_mul_u32_u24_sdwa v55, v61, s34 dst_sel:DWORD dst_unused:UNUSED_PAD src0_sel:WORD_0 src1_sel:DWORD
	v_mul_u32_u24_sdwa v56, v61, s34 dst_sel:DWORD dst_unused:UNUSED_PAD src0_sel:WORD_1 src1_sel:DWORD
	v_pk_fma_f16 v46, v58, v55, v46
	v_pk_fma_f16 v41, v58, v56, v41
	v_pk_fma_f16 v47, v59, v55, v47
	v_pk_fma_f16 v48, v59, v56, v48
	v_mul_u32_u24_sdwa v55, v62, s34 dst_sel:DWORD dst_unused:UNUSED_PAD src0_sel:WORD_0 src1_sel:DWORD
	v_mul_u32_u24_sdwa v56, v62, s34 dst_sel:DWORD dst_unused:UNUSED_PAD src0_sel:WORD_1 src1_sel:DWORD
	s_waitcnt lgkmcnt(0)
	v_pk_fma_f16 v46, v42, v55, v46
	v_pk_fma_f16 v41, v42, v56, v41
	;; [unrolled: 1-line block ×3, first 2 shown]
	v_add_u32_e32 v55, 0x800, v28
	v_pk_fma_f16 v43, v43, v56, v48
	ds_read2_b64 v[56:59], v55 offset1:32
	v_mul_u32_u24_sdwa v47, v63, s34 dst_sel:DWORD dst_unused:UNUSED_PAD src0_sel:WORD_0 src1_sel:DWORD
	v_mul_u32_u24_sdwa v48, v63, s34 dst_sel:DWORD dst_unused:UNUSED_PAD src0_sel:WORD_1 src1_sel:DWORD
	v_pk_fma_f16 v46, v44, v47, v46
	v_pk_fma_f16 v41, v44, v48, v41
	v_pk_fma_f16 v42, v45, v47, v42
	v_pk_fma_f16 v43, v45, v48, v43
	v_mul_u32_u24_sdwa v44, v64, s34 dst_sel:DWORD dst_unused:UNUSED_PAD src0_sel:WORD_0 src1_sel:DWORD
	v_mul_u32_u24_sdwa v45, v64, s34 dst_sel:DWORD dst_unused:UNUSED_PAD src0_sel:WORD_1 src1_sel:DWORD
	s_waitcnt lgkmcnt(0)
	v_pk_fma_f16 v46, v56, v44, v46
	v_pk_fma_f16 v41, v56, v45, v41
	v_pk_fma_f16 v47, v57, v44, v42
	v_pk_fma_f16 v48, v57, v45, v43
	ds_read2_b64 v[42:45], v55 offset0:64 offset1:96
	v_mul_u32_u24_sdwa v56, v65, s34 dst_sel:DWORD dst_unused:UNUSED_PAD src0_sel:WORD_0 src1_sel:DWORD
	v_mul_u32_u24_sdwa v57, v65, s34 dst_sel:DWORD dst_unused:UNUSED_PAD src0_sel:WORD_1 src1_sel:DWORD
	v_pk_fma_f16 v46, v58, v56, v46
	v_pk_fma_f16 v41, v58, v57, v41
	v_pk_fma_f16 v47, v59, v56, v47
	v_pk_fma_f16 v48, v59, v57, v48
	v_mul_u32_u24_sdwa v56, v66, s34 dst_sel:DWORD dst_unused:UNUSED_PAD src0_sel:WORD_0 src1_sel:DWORD
	v_mul_u32_u24_sdwa v57, v66, s34 dst_sel:DWORD dst_unused:UNUSED_PAD src0_sel:WORD_1 src1_sel:DWORD
	s_waitcnt lgkmcnt(0)
	v_pk_fma_f16 v46, v42, v56, v46
	v_pk_fma_f16 v41, v42, v57, v41
	v_pk_fma_f16 v42, v43, v56, v47
	v_pk_fma_f16 v43, v43, v57, v48
	ds_read2_b64 v[56:59], v55 offset0:128 offset1:160
	;; [unrolled: 14-line block ×3, first 2 shown]
	v_mul_u32_u24_sdwa v56, v69, s34 dst_sel:DWORD dst_unused:UNUSED_PAD src0_sel:WORD_0 src1_sel:DWORD
	v_mul_u32_u24_sdwa v57, v69, s34 dst_sel:DWORD dst_unused:UNUSED_PAD src0_sel:WORD_1 src1_sel:DWORD
	v_pk_fma_f16 v46, v58, v56, v46
	v_pk_fma_f16 v41, v58, v57, v41
	;; [unrolled: 1-line block ×4, first 2 shown]
	v_mul_u32_u24_sdwa v55, v70, s34 dst_sel:DWORD dst_unused:UNUSED_PAD src0_sel:WORD_0 src1_sel:DWORD
	v_mul_u32_u24_sdwa v56, v70, s34 dst_sel:DWORD dst_unused:UNUSED_PAD src0_sel:WORD_1 src1_sel:DWORD
	s_waitcnt lgkmcnt(0)
	v_pk_fma_f16 v46, v42, v55, v46
	v_pk_fma_f16 v41, v42, v56, v41
	;; [unrolled: 1-line block ×4, first 2 shown]
	ds_read_b128 v[56:59], v34 offset:64
	v_add_u32_e32 v55, 0x1000, v28
	ds_read2_b64 v[60:63], v55 offset1:32
	v_mul_u32_u24_sdwa v47, v71, s34 dst_sel:DWORD dst_unused:UNUSED_PAD src0_sel:WORD_0 src1_sel:DWORD
	v_mul_u32_u24_sdwa v48, v71, s34 dst_sel:DWORD dst_unused:UNUSED_PAD src0_sel:WORD_1 src1_sel:DWORD
	v_pk_fma_f16 v46, v44, v47, v46
	v_pk_fma_f16 v41, v44, v48, v41
	;; [unrolled: 1-line block ×4, first 2 shown]
	ds_read_b128 v[42:45], v34 offset:80
	s_waitcnt lgkmcnt(2)
	v_mul_u32_u24_sdwa v64, v56, s34 dst_sel:DWORD dst_unused:UNUSED_PAD src0_sel:WORD_0 src1_sel:DWORD
	s_waitcnt lgkmcnt(1)
	v_pk_fma_f16 v46, v60, v64, v46
	v_pk_fma_f16 v47, v61, v64, v47
	ds_read2_b64 v[64:67], v55 offset0:64 offset1:96
	v_mul_u32_u24_sdwa v56, v56, s34 dst_sel:DWORD dst_unused:UNUSED_PAD src0_sel:WORD_1 src1_sel:DWORD
	v_pk_fma_f16 v41, v60, v56, v41
	v_pk_fma_f16 v48, v61, v56, v48
	v_mul_u32_u24_sdwa v56, v57, s34 dst_sel:DWORD dst_unused:UNUSED_PAD src0_sel:WORD_0 src1_sel:DWORD
	v_mul_u32_u24_sdwa v57, v57, s34 dst_sel:DWORD dst_unused:UNUSED_PAD src0_sel:WORD_1 src1_sel:DWORD
	v_pk_fma_f16 v46, v62, v56, v46
	v_pk_fma_f16 v41, v62, v57, v41
	;; [unrolled: 1-line block ×4, first 2 shown]
	v_mul_u32_u24_sdwa v56, v58, s34 dst_sel:DWORD dst_unused:UNUSED_PAD src0_sel:WORD_0 src1_sel:DWORD
	v_mul_u32_u24_sdwa v57, v58, s34 dst_sel:DWORD dst_unused:UNUSED_PAD src0_sel:WORD_1 src1_sel:DWORD
	s_waitcnt lgkmcnt(0)
	v_pk_fma_f16 v46, v64, v56, v46
	v_pk_fma_f16 v41, v64, v57, v41
	;; [unrolled: 1-line block ×4, first 2 shown]
	v_mul_u32_u24_sdwa v60, v59, s34 dst_sel:DWORD dst_unused:UNUSED_PAD src0_sel:WORD_0 src1_sel:DWORD
	v_mul_u32_u24_sdwa v61, v59, s34 dst_sel:DWORD dst_unused:UNUSED_PAD src0_sel:WORD_1 src1_sel:DWORD
	ds_read2_b64 v[56:59], v55 offset0:128 offset1:160
	v_pk_fma_f16 v46, v66, v60, v46
	v_pk_fma_f16 v47, v67, v60, v47
	v_mul_u32_u24_sdwa v60, v42, s34 dst_sel:DWORD dst_unused:UNUSED_PAD src0_sel:WORD_0 src1_sel:DWORD
	v_pk_fma_f16 v41, v66, v61, v41
	v_pk_fma_f16 v48, v67, v61, v48
	s_waitcnt lgkmcnt(0)
	v_pk_fma_f16 v46, v56, v60, v46
	v_pk_fma_f16 v47, v57, v60, v47
	ds_read2_b64 v[60:63], v55 offset0:192 offset1:224
	v_mul_u32_u24_sdwa v42, v42, s34 dst_sel:DWORD dst_unused:UNUSED_PAD src0_sel:WORD_1 src1_sel:DWORD
	v_pk_fma_f16 v41, v56, v42, v41
	v_pk_fma_f16 v42, v57, v42, v48
	v_mul_u32_u24_sdwa v48, v43, s34 dst_sel:DWORD dst_unused:UNUSED_PAD src0_sel:WORD_0 src1_sel:DWORD
	v_mul_u32_u24_sdwa v43, v43, s34 dst_sel:DWORD dst_unused:UNUSED_PAD src0_sel:WORD_1 src1_sel:DWORD
	v_pk_fma_f16 v46, v58, v48, v46
	v_pk_fma_f16 v41, v58, v43, v41
	;; [unrolled: 1-line block ×4, first 2 shown]
	v_mul_u32_u24_sdwa v43, v44, s34 dst_sel:DWORD dst_unused:UNUSED_PAD src0_sel:WORD_0 src1_sel:DWORD
	v_mul_u32_u24_sdwa v44, v44, s34 dst_sel:DWORD dst_unused:UNUSED_PAD src0_sel:WORD_1 src1_sel:DWORD
	s_waitcnt lgkmcnt(0)
	v_pk_fma_f16 v46, v60, v43, v46
	v_pk_fma_f16 v43, v61, v43, v47
	;; [unrolled: 1-line block ×3, first 2 shown]
	v_mul_u32_u24_sdwa v42, v45, s34 dst_sel:DWORD dst_unused:UNUSED_PAD src0_sel:WORD_0 src1_sel:DWORD
	v_pk_fma_f16 v41, v60, v44, v41
	v_mul_u32_u24_sdwa v48, v45, s34 dst_sel:DWORD dst_unused:UNUSED_PAD src0_sel:WORD_1 src1_sel:DWORD
	v_pk_fma_f16 v46, v62, v42, v46
	v_pk_fma_f16 v55, v63, v42, v43
	ds_read_b128 v[42:45], v34 offset:96
	v_add_u32_e32 v68, 0x1800, v28
	ds_read2_b64 v[56:59], v68 offset1:32
	ds_read2_b64 v[64:67], v68 offset0:64 offset1:96
	v_pk_fma_f16 v41, v62, v48, v41
	v_pk_fma_f16 v47, v63, v48, v47
	ds_read_b128 v[60:63], v34 offset:112
	s_waitcnt lgkmcnt(3)
	v_mul_u32_u24_sdwa v48, v42, s34 dst_sel:DWORD dst_unused:UNUSED_PAD src0_sel:WORD_0 src1_sel:DWORD
	v_mul_u32_u24_sdwa v42, v42, s34 dst_sel:DWORD dst_unused:UNUSED_PAD src0_sel:WORD_1 src1_sel:DWORD
	s_waitcnt lgkmcnt(2)
	v_pk_fma_f16 v46, v56, v48, v46
	v_pk_fma_f16 v41, v56, v42, v41
	;; [unrolled: 1-line block ×4, first 2 shown]
	v_mul_u32_u24_sdwa v47, v43, s34 dst_sel:DWORD dst_unused:UNUSED_PAD src0_sel:WORD_0 src1_sel:DWORD
	v_mul_u32_u24_sdwa v43, v43, s34 dst_sel:DWORD dst_unused:UNUSED_PAD src0_sel:WORD_1 src1_sel:DWORD
	v_pk_fma_f16 v46, v58, v47, v46
	v_pk_fma_f16 v41, v58, v43, v41
	;; [unrolled: 1-line block ×4, first 2 shown]
	v_mul_u32_u24_sdwa v43, v44, s34 dst_sel:DWORD dst_unused:UNUSED_PAD src0_sel:WORD_0 src1_sel:DWORD
	v_mul_u32_u24_sdwa v44, v44, s34 dst_sel:DWORD dst_unused:UNUSED_PAD src0_sel:WORD_1 src1_sel:DWORD
	s_waitcnt lgkmcnt(1)
	v_pk_fma_f16 v46, v64, v43, v46
	v_pk_fma_f16 v41, v64, v44, v41
	v_pk_fma_f16 v47, v65, v43, v47
	v_pk_fma_f16 v48, v65, v44, v42
	v_mul_u32_u24_sdwa v55, v45, s34 dst_sel:DWORD dst_unused:UNUSED_PAD src0_sel:WORD_0 src1_sel:DWORD
	v_mul_u32_u24_sdwa v56, v45, s34 dst_sel:DWORD dst_unused:UNUSED_PAD src0_sel:WORD_1 src1_sel:DWORD
	ds_read2_b64 v[42:45], v68 offset0:128 offset1:160
	v_pk_fma_f16 v46, v66, v55, v46
	v_pk_fma_f16 v41, v66, v56, v41
	;; [unrolled: 1-line block ×4, first 2 shown]
	s_waitcnt lgkmcnt(1)
	v_mul_u32_u24_sdwa v55, v60, s34 dst_sel:DWORD dst_unused:UNUSED_PAD src0_sel:WORD_0 src1_sel:DWORD
	v_mul_u32_u24_sdwa v56, v60, s34 dst_sel:DWORD dst_unused:UNUSED_PAD src0_sel:WORD_1 src1_sel:DWORD
	s_waitcnt lgkmcnt(0)
	v_pk_fma_f16 v46, v42, v55, v46
	v_pk_fma_f16 v41, v42, v56, v41
	;; [unrolled: 1-line block ×4, first 2 shown]
	ds_read2_b64 v[56:59], v68 offset0:192 offset1:224
	v_mul_u32_u24_sdwa v47, v61, s34 dst_sel:DWORD dst_unused:UNUSED_PAD src0_sel:WORD_0 src1_sel:DWORD
	v_mul_u32_u24_sdwa v48, v61, s34 dst_sel:DWORD dst_unused:UNUSED_PAD src0_sel:WORD_1 src1_sel:DWORD
	v_pk_fma_f16 v46, v44, v47, v46
	v_pk_fma_f16 v41, v44, v48, v41
	;; [unrolled: 1-line block ×4, first 2 shown]
	v_mul_u32_u24_sdwa v44, v62, s34 dst_sel:DWORD dst_unused:UNUSED_PAD src0_sel:WORD_0 src1_sel:DWORD
	v_mul_u32_u24_sdwa v45, v62, s34 dst_sel:DWORD dst_unused:UNUSED_PAD src0_sel:WORD_1 src1_sel:DWORD
	s_waitcnt lgkmcnt(0)
	v_pk_fma_f16 v46, v56, v44, v46
	v_pk_fma_f16 v42, v57, v44, v42
	;; [unrolled: 1-line block ×3, first 2 shown]
	v_mul_u32_u24_sdwa v43, v63, s34 dst_sel:DWORD dst_unused:UNUSED_PAD src0_sel:WORD_0 src1_sel:DWORD
	v_pk_fma_f16 v41, v56, v45, v41
	v_pk_fma_f16 v46, v58, v43, v46
	;; [unrolled: 1-line block ×3, first 2 shown]
	ds_read_b128 v[42:45], v34 offset:128
	v_add_u32_e32 v68, 0x2000, v28
	v_mul_u32_u24_sdwa v48, v63, s34 dst_sel:DWORD dst_unused:UNUSED_PAD src0_sel:WORD_1 src1_sel:DWORD
	ds_read2_b64 v[60:63], v68 offset1:32
	ds_read2_b64 v[64:67], v68 offset0:64 offset1:96
	v_pk_fma_f16 v41, v58, v48, v41
	v_pk_fma_f16 v47, v59, v48, v47
	ds_read_b128 v[56:59], v34 offset:144
	s_waitcnt lgkmcnt(3)
	v_mul_u32_u24_sdwa v48, v42, s34 dst_sel:DWORD dst_unused:UNUSED_PAD src0_sel:WORD_0 src1_sel:DWORD
	v_mul_u32_u24_sdwa v42, v42, s34 dst_sel:DWORD dst_unused:UNUSED_PAD src0_sel:WORD_1 src1_sel:DWORD
	s_waitcnt lgkmcnt(2)
	v_pk_fma_f16 v46, v60, v48, v46
	v_pk_fma_f16 v41, v60, v42, v41
	;; [unrolled: 1-line block ×4, first 2 shown]
	v_mul_u32_u24_sdwa v47, v43, s34 dst_sel:DWORD dst_unused:UNUSED_PAD src0_sel:WORD_0 src1_sel:DWORD
	v_mul_u32_u24_sdwa v43, v43, s34 dst_sel:DWORD dst_unused:UNUSED_PAD src0_sel:WORD_1 src1_sel:DWORD
	v_pk_fma_f16 v46, v62, v47, v46
	v_pk_fma_f16 v41, v62, v43, v41
	;; [unrolled: 1-line block ×4, first 2 shown]
	v_mul_u32_u24_sdwa v43, v44, s34 dst_sel:DWORD dst_unused:UNUSED_PAD src0_sel:WORD_0 src1_sel:DWORD
	v_mul_u32_u24_sdwa v44, v44, s34 dst_sel:DWORD dst_unused:UNUSED_PAD src0_sel:WORD_1 src1_sel:DWORD
	s_waitcnt lgkmcnt(1)
	v_pk_fma_f16 v46, v64, v43, v46
	v_pk_fma_f16 v41, v64, v44, v41
	;; [unrolled: 1-line block ×4, first 2 shown]
	v_mul_u32_u24_sdwa v55, v45, s34 dst_sel:DWORD dst_unused:UNUSED_PAD src0_sel:WORD_0 src1_sel:DWORD
	v_mul_u32_u24_sdwa v60, v45, s34 dst_sel:DWORD dst_unused:UNUSED_PAD src0_sel:WORD_1 src1_sel:DWORD
	ds_read2_b64 v[42:45], v68 offset0:128 offset1:160
	v_pk_fma_f16 v41, v66, v60, v41
	v_pk_fma_f16 v48, v67, v60, v48
	ds_read2_b64 v[60:63], v68 offset0:192 offset1:224
	v_pk_fma_f16 v46, v66, v55, v46
	v_pk_fma_f16 v47, v67, v55, v47
	s_waitcnt lgkmcnt(2)
	v_mul_u32_u24_sdwa v55, v56, s34 dst_sel:DWORD dst_unused:UNUSED_PAD src0_sel:WORD_0 src1_sel:DWORD
	v_mul_u32_u24_sdwa v56, v56, s34 dst_sel:DWORD dst_unused:UNUSED_PAD src0_sel:WORD_1 src1_sel:DWORD
	s_waitcnt lgkmcnt(1)
	v_pk_fma_f16 v46, v42, v55, v46
	v_pk_fma_f16 v41, v42, v56, v41
	;; [unrolled: 1-line block ×4, first 2 shown]
	v_mul_u32_u24_sdwa v47, v57, s34 dst_sel:DWORD dst_unused:UNUSED_PAD src0_sel:WORD_0 src1_sel:DWORD
	v_mul_u32_u24_sdwa v48, v57, s34 dst_sel:DWORD dst_unused:UNUSED_PAD src0_sel:WORD_1 src1_sel:DWORD
	v_pk_fma_f16 v46, v44, v47, v46
	v_pk_fma_f16 v41, v44, v48, v41
	;; [unrolled: 1-line block ×4, first 2 shown]
	v_mul_u32_u24_sdwa v44, v58, s34 dst_sel:DWORD dst_unused:UNUSED_PAD src0_sel:WORD_0 src1_sel:DWORD
	v_mul_u32_u24_sdwa v45, v58, s34 dst_sel:DWORD dst_unused:UNUSED_PAD src0_sel:WORD_1 src1_sel:DWORD
	s_waitcnt lgkmcnt(0)
	v_pk_fma_f16 v46, v60, v44, v46
	v_pk_fma_f16 v42, v61, v44, v42
	;; [unrolled: 1-line block ×3, first 2 shown]
	v_mul_u32_u24_sdwa v43, v59, s34 dst_sel:DWORD dst_unused:UNUSED_PAD src0_sel:WORD_0 src1_sel:DWORD
	v_pk_fma_f16 v41, v60, v45, v41
	v_pk_fma_f16 v46, v62, v43, v46
	;; [unrolled: 1-line block ×3, first 2 shown]
	ds_read_b128 v[42:45], v34 offset:160
	v_add_u32_e32 v68, 0x2800, v28
	v_mul_u32_u24_sdwa v48, v59, s34 dst_sel:DWORD dst_unused:UNUSED_PAD src0_sel:WORD_1 src1_sel:DWORD
	ds_read2_b64 v[56:59], v68 offset1:32
	ds_read2_b64 v[64:67], v68 offset0:64 offset1:96
	v_pk_fma_f16 v41, v62, v48, v41
	v_pk_fma_f16 v47, v63, v48, v47
	ds_read_b128 v[60:63], v34 offset:176
	s_waitcnt lgkmcnt(3)
	v_mul_u32_u24_sdwa v48, v42, s34 dst_sel:DWORD dst_unused:UNUSED_PAD src0_sel:WORD_0 src1_sel:DWORD
	v_mul_u32_u24_sdwa v42, v42, s34 dst_sel:DWORD dst_unused:UNUSED_PAD src0_sel:WORD_1 src1_sel:DWORD
	s_waitcnt lgkmcnt(2)
	v_pk_fma_f16 v46, v56, v48, v46
	v_pk_fma_f16 v41, v56, v42, v41
	;; [unrolled: 1-line block ×4, first 2 shown]
	v_mul_u32_u24_sdwa v47, v43, s34 dst_sel:DWORD dst_unused:UNUSED_PAD src0_sel:WORD_0 src1_sel:DWORD
	v_mul_u32_u24_sdwa v43, v43, s34 dst_sel:DWORD dst_unused:UNUSED_PAD src0_sel:WORD_1 src1_sel:DWORD
	v_pk_fma_f16 v46, v58, v47, v46
	v_pk_fma_f16 v41, v58, v43, v41
	;; [unrolled: 1-line block ×4, first 2 shown]
	v_mul_u32_u24_sdwa v43, v44, s34 dst_sel:DWORD dst_unused:UNUSED_PAD src0_sel:WORD_0 src1_sel:DWORD
	v_mul_u32_u24_sdwa v44, v44, s34 dst_sel:DWORD dst_unused:UNUSED_PAD src0_sel:WORD_1 src1_sel:DWORD
	s_waitcnt lgkmcnt(1)
	v_pk_fma_f16 v46, v64, v43, v46
	v_pk_fma_f16 v41, v64, v44, v41
	v_pk_fma_f16 v47, v65, v43, v47
	v_pk_fma_f16 v48, v65, v44, v42
	v_mul_u32_u24_sdwa v55, v45, s34 dst_sel:DWORD dst_unused:UNUSED_PAD src0_sel:WORD_0 src1_sel:DWORD
	v_mul_u32_u24_sdwa v56, v45, s34 dst_sel:DWORD dst_unused:UNUSED_PAD src0_sel:WORD_1 src1_sel:DWORD
	ds_read2_b64 v[42:45], v68 offset0:128 offset1:160
	v_pk_fma_f16 v46, v66, v55, v46
	v_pk_fma_f16 v41, v66, v56, v41
	;; [unrolled: 1-line block ×4, first 2 shown]
	s_waitcnt lgkmcnt(1)
	v_mul_u32_u24_sdwa v55, v60, s34 dst_sel:DWORD dst_unused:UNUSED_PAD src0_sel:WORD_0 src1_sel:DWORD
	v_mul_u32_u24_sdwa v56, v60, s34 dst_sel:DWORD dst_unused:UNUSED_PAD src0_sel:WORD_1 src1_sel:DWORD
	s_waitcnt lgkmcnt(0)
	v_pk_fma_f16 v46, v42, v55, v46
	v_pk_fma_f16 v41, v42, v56, v41
	;; [unrolled: 1-line block ×4, first 2 shown]
	ds_read2_b64 v[56:59], v68 offset0:192 offset1:224
	v_mul_u32_u24_sdwa v47, v61, s34 dst_sel:DWORD dst_unused:UNUSED_PAD src0_sel:WORD_0 src1_sel:DWORD
	v_mul_u32_u24_sdwa v48, v61, s34 dst_sel:DWORD dst_unused:UNUSED_PAD src0_sel:WORD_1 src1_sel:DWORD
	v_pk_fma_f16 v46, v44, v47, v46
	v_pk_fma_f16 v41, v44, v48, v41
	;; [unrolled: 1-line block ×4, first 2 shown]
	v_mul_u32_u24_sdwa v44, v62, s34 dst_sel:DWORD dst_unused:UNUSED_PAD src0_sel:WORD_0 src1_sel:DWORD
	v_mul_u32_u24_sdwa v45, v62, s34 dst_sel:DWORD dst_unused:UNUSED_PAD src0_sel:WORD_1 src1_sel:DWORD
	s_waitcnt lgkmcnt(0)
	v_pk_fma_f16 v46, v56, v44, v46
	v_pk_fma_f16 v42, v57, v44, v42
	;; [unrolled: 1-line block ×3, first 2 shown]
	v_mul_u32_u24_sdwa v43, v63, s34 dst_sel:DWORD dst_unused:UNUSED_PAD src0_sel:WORD_0 src1_sel:DWORD
	v_pk_fma_f16 v41, v56, v45, v41
	v_pk_fma_f16 v46, v58, v43, v46
	;; [unrolled: 1-line block ×3, first 2 shown]
	ds_read_b128 v[42:45], v34 offset:192
	v_add_u32_e32 v68, 0x3000, v28
	v_mul_u32_u24_sdwa v48, v63, s34 dst_sel:DWORD dst_unused:UNUSED_PAD src0_sel:WORD_1 src1_sel:DWORD
	ds_read2_b64 v[60:63], v68 offset1:32
	ds_read2_b64 v[64:67], v68 offset0:64 offset1:96
	v_pk_fma_f16 v41, v58, v48, v41
	v_pk_fma_f16 v47, v59, v48, v47
	ds_read_b128 v[56:59], v34 offset:208
	s_waitcnt lgkmcnt(3)
	v_mul_u32_u24_sdwa v48, v42, s34 dst_sel:DWORD dst_unused:UNUSED_PAD src0_sel:WORD_0 src1_sel:DWORD
	v_mul_u32_u24_sdwa v42, v42, s34 dst_sel:DWORD dst_unused:UNUSED_PAD src0_sel:WORD_1 src1_sel:DWORD
	s_waitcnt lgkmcnt(2)
	v_pk_fma_f16 v46, v60, v48, v46
	v_pk_fma_f16 v41, v60, v42, v41
	;; [unrolled: 1-line block ×4, first 2 shown]
	v_mul_u32_u24_sdwa v47, v43, s34 dst_sel:DWORD dst_unused:UNUSED_PAD src0_sel:WORD_0 src1_sel:DWORD
	v_mul_u32_u24_sdwa v43, v43, s34 dst_sel:DWORD dst_unused:UNUSED_PAD src0_sel:WORD_1 src1_sel:DWORD
	v_pk_fma_f16 v46, v62, v47, v46
	v_pk_fma_f16 v41, v62, v43, v41
	;; [unrolled: 1-line block ×4, first 2 shown]
	v_mul_u32_u24_sdwa v43, v44, s34 dst_sel:DWORD dst_unused:UNUSED_PAD src0_sel:WORD_0 src1_sel:DWORD
	v_mul_u32_u24_sdwa v44, v44, s34 dst_sel:DWORD dst_unused:UNUSED_PAD src0_sel:WORD_1 src1_sel:DWORD
	s_waitcnt lgkmcnt(1)
	v_pk_fma_f16 v46, v64, v43, v46
	v_pk_fma_f16 v41, v64, v44, v41
	v_pk_fma_f16 v47, v65, v43, v47
	v_pk_fma_f16 v48, v65, v44, v42
	v_mul_u32_u24_sdwa v55, v45, s34 dst_sel:DWORD dst_unused:UNUSED_PAD src0_sel:WORD_0 src1_sel:DWORD
	v_mul_u32_u24_sdwa v60, v45, s34 dst_sel:DWORD dst_unused:UNUSED_PAD src0_sel:WORD_1 src1_sel:DWORD
	ds_read2_b64 v[42:45], v68 offset0:128 offset1:160
	v_pk_fma_f16 v41, v66, v60, v41
	v_pk_fma_f16 v48, v67, v60, v48
	ds_read2_b64 v[60:63], v68 offset0:192 offset1:224
	v_pk_fma_f16 v46, v66, v55, v46
	v_pk_fma_f16 v47, v67, v55, v47
	s_waitcnt lgkmcnt(2)
	v_mul_u32_u24_sdwa v55, v56, s34 dst_sel:DWORD dst_unused:UNUSED_PAD src0_sel:WORD_0 src1_sel:DWORD
	v_mul_u32_u24_sdwa v56, v56, s34 dst_sel:DWORD dst_unused:UNUSED_PAD src0_sel:WORD_1 src1_sel:DWORD
	s_waitcnt lgkmcnt(1)
	v_pk_fma_f16 v46, v42, v55, v46
	v_pk_fma_f16 v41, v42, v56, v41
	;; [unrolled: 1-line block ×4, first 2 shown]
	v_mul_u32_u24_sdwa v47, v57, s34 dst_sel:DWORD dst_unused:UNUSED_PAD src0_sel:WORD_0 src1_sel:DWORD
	v_mul_u32_u24_sdwa v48, v57, s34 dst_sel:DWORD dst_unused:UNUSED_PAD src0_sel:WORD_1 src1_sel:DWORD
	v_pk_fma_f16 v46, v44, v47, v46
	v_pk_fma_f16 v41, v44, v48, v41
	;; [unrolled: 1-line block ×4, first 2 shown]
	v_mul_u32_u24_sdwa v44, v58, s34 dst_sel:DWORD dst_unused:UNUSED_PAD src0_sel:WORD_0 src1_sel:DWORD
	v_mul_u32_u24_sdwa v45, v58, s34 dst_sel:DWORD dst_unused:UNUSED_PAD src0_sel:WORD_1 src1_sel:DWORD
	s_waitcnt lgkmcnt(0)
	v_pk_fma_f16 v46, v60, v44, v46
	v_pk_fma_f16 v42, v61, v44, v42
	v_pk_fma_f16 v47, v61, v45, v43
	v_mul_u32_u24_sdwa v43, v59, s34 dst_sel:DWORD dst_unused:UNUSED_PAD src0_sel:WORD_0 src1_sel:DWORD
	v_pk_fma_f16 v41, v60, v45, v41
	v_pk_fma_f16 v46, v62, v43, v46
	;; [unrolled: 1-line block ×3, first 2 shown]
	ds_read_b128 v[42:45], v34 offset:224
	v_add_u32_e32 v68, 0x3800, v28
	v_mul_u32_u24_sdwa v48, v59, s34 dst_sel:DWORD dst_unused:UNUSED_PAD src0_sel:WORD_1 src1_sel:DWORD
	ds_read2_b64 v[56:59], v68 offset1:32
	ds_read2_b64 v[64:67], v68 offset0:64 offset1:96
	v_pk_fma_f16 v41, v62, v48, v41
	v_pk_fma_f16 v47, v63, v48, v47
	ds_read_b128 v[60:63], v34 offset:240
	s_waitcnt lgkmcnt(3)
	v_mul_u32_u24_sdwa v48, v42, s34 dst_sel:DWORD dst_unused:UNUSED_PAD src0_sel:WORD_0 src1_sel:DWORD
	v_mul_u32_u24_sdwa v42, v42, s34 dst_sel:DWORD dst_unused:UNUSED_PAD src0_sel:WORD_1 src1_sel:DWORD
	s_waitcnt lgkmcnt(2)
	v_pk_fma_f16 v46, v56, v48, v46
	v_pk_fma_f16 v41, v56, v42, v41
	;; [unrolled: 1-line block ×4, first 2 shown]
	v_mul_u32_u24_sdwa v47, v43, s34 dst_sel:DWORD dst_unused:UNUSED_PAD src0_sel:WORD_0 src1_sel:DWORD
	v_mul_u32_u24_sdwa v43, v43, s34 dst_sel:DWORD dst_unused:UNUSED_PAD src0_sel:WORD_1 src1_sel:DWORD
	v_pk_fma_f16 v46, v58, v47, v46
	v_pk_fma_f16 v41, v58, v43, v41
	;; [unrolled: 1-line block ×4, first 2 shown]
	v_mul_u32_u24_sdwa v43, v44, s34 dst_sel:DWORD dst_unused:UNUSED_PAD src0_sel:WORD_0 src1_sel:DWORD
	v_mul_u32_u24_sdwa v44, v44, s34 dst_sel:DWORD dst_unused:UNUSED_PAD src0_sel:WORD_1 src1_sel:DWORD
	s_waitcnt lgkmcnt(1)
	v_pk_fma_f16 v46, v64, v43, v46
	v_pk_fma_f16 v41, v64, v44, v41
	;; [unrolled: 1-line block ×4, first 2 shown]
	v_mul_u32_u24_sdwa v55, v45, s34 dst_sel:DWORD dst_unused:UNUSED_PAD src0_sel:WORD_0 src1_sel:DWORD
	v_mul_u32_u24_sdwa v56, v45, s34 dst_sel:DWORD dst_unused:UNUSED_PAD src0_sel:WORD_1 src1_sel:DWORD
	ds_read2_b64 v[42:45], v68 offset0:128 offset1:160
	v_pk_fma_f16 v46, v66, v55, v46
	v_pk_fma_f16 v41, v66, v56, v41
	;; [unrolled: 1-line block ×4, first 2 shown]
	s_waitcnt lgkmcnt(1)
	v_mul_u32_u24_sdwa v55, v60, s34 dst_sel:DWORD dst_unused:UNUSED_PAD src0_sel:WORD_0 src1_sel:DWORD
	v_mul_u32_u24_sdwa v56, v60, s34 dst_sel:DWORD dst_unused:UNUSED_PAD src0_sel:WORD_1 src1_sel:DWORD
	s_waitcnt lgkmcnt(0)
	v_pk_fma_f16 v46, v42, v55, v46
	v_pk_fma_f16 v41, v42, v56, v41
	;; [unrolled: 1-line block ×4, first 2 shown]
	ds_read2_b64 v[56:59], v68 offset0:192 offset1:224
	s_waitcnt lgkmcnt(0)
	s_barrier
	s_load_dword s6, s[4:5], 0x4
	v_mul_u32_u24_sdwa v47, v61, s34 dst_sel:DWORD dst_unused:UNUSED_PAD src0_sel:WORD_0 src1_sel:DWORD
	v_mul_u32_u24_sdwa v48, v61, s34 dst_sel:DWORD dst_unused:UNUSED_PAD src0_sel:WORD_1 src1_sel:DWORD
	v_pk_fma_f16 v46, v44, v47, v46
	v_pk_fma_f16 v41, v44, v48, v41
	;; [unrolled: 1-line block ×4, first 2 shown]
	v_mul_u32_u24_sdwa v44, v62, s34 dst_sel:DWORD dst_unused:UNUSED_PAD src0_sel:WORD_0 src1_sel:DWORD
	v_mul_u32_u24_sdwa v45, v62, s34 dst_sel:DWORD dst_unused:UNUSED_PAD src0_sel:WORD_1 src1_sel:DWORD
	s_waitcnt lgkmcnt(0)
	s_lshl_b32 s6, s6, 6
	v_pk_fma_f16 v46, v56, v44, v46
	v_pk_fma_f16 v41, v56, v45, v41
	;; [unrolled: 1-line block ×4, first 2 shown]
	v_mul_u32_u24_sdwa v44, v63, s34 dst_sel:DWORD dst_unused:UNUSED_PAD src0_sel:WORD_0 src1_sel:DWORD
	v_mul_u32_u24_sdwa v47, v63, s34 dst_sel:DWORD dst_unused:UNUSED_PAD src0_sel:WORD_1 src1_sel:DWORD
	s_add_i32 s2, s6, s2
	v_pk_fma_f16 v43, v58, v44, v46
	v_pk_fma_f16 v41, v58, v47, v41
	v_pk_fma_f16 v44, v59, v44, v42
	s_cmp_ge_i32 s2, s24
	v_pk_fma_f16 v42, v59, v47, v45
	s_cbranch_scc1 .LBB77_7
; %bb.38:                               ;   in Loop: Header=BB77_21 Depth=1
	v_mov_b32_e32 v46, v24
	v_mov_b32_e32 v45, v25
	s_branch .LBB77_21
	.section	.rodata,"a",@progbits
	.p2align	6, 0x0
	.amdhsa_kernel _ZL15flash_attn_tileILi128ELi128ELi4ELi4ELb1EEvPKcS1_S1_S1_S1_PKiPfP15HIP_vector_typeIfLj2EEffffjfiS5_IjLj3EEiiiiiiiiiiiliiliiiiil
		.amdhsa_group_segment_fixed_size 23552
		.amdhsa_private_segment_fixed_size 0
		.amdhsa_kernarg_size 464
		.amdhsa_user_sgpr_count 2
		.amdhsa_user_sgpr_dispatch_ptr 0
		.amdhsa_user_sgpr_queue_ptr 0
		.amdhsa_user_sgpr_kernarg_segment_ptr 1
		.amdhsa_user_sgpr_dispatch_id 0
		.amdhsa_user_sgpr_kernarg_preload_length 0
		.amdhsa_user_sgpr_kernarg_preload_offset 0
		.amdhsa_user_sgpr_private_segment_size 0
		.amdhsa_uses_dynamic_stack 0
		.amdhsa_enable_private_segment 0
		.amdhsa_system_sgpr_workgroup_id_x 1
		.amdhsa_system_sgpr_workgroup_id_y 1
		.amdhsa_system_sgpr_workgroup_id_z 1
		.amdhsa_system_sgpr_workgroup_info 0
		.amdhsa_system_vgpr_workitem_id 1
		.amdhsa_next_free_vgpr 84
		.amdhsa_next_free_sgpr 91
		.amdhsa_accum_offset 84
		.amdhsa_reserve_vcc 1
		.amdhsa_float_round_mode_32 0
		.amdhsa_float_round_mode_16_64 0
		.amdhsa_float_denorm_mode_32 3
		.amdhsa_float_denorm_mode_16_64 3
		.amdhsa_dx10_clamp 1
		.amdhsa_ieee_mode 1
		.amdhsa_fp16_overflow 0
		.amdhsa_tg_split 0
		.amdhsa_exception_fp_ieee_invalid_op 0
		.amdhsa_exception_fp_denorm_src 0
		.amdhsa_exception_fp_ieee_div_zero 0
		.amdhsa_exception_fp_ieee_overflow 0
		.amdhsa_exception_fp_ieee_underflow 0
		.amdhsa_exception_fp_ieee_inexact 0
		.amdhsa_exception_int_div_zero 0
	.end_amdhsa_kernel
	.section	.text._ZL15flash_attn_tileILi128ELi128ELi4ELi4ELb1EEvPKcS1_S1_S1_S1_PKiPfP15HIP_vector_typeIfLj2EEffffjfiS5_IjLj3EEiiiiiiiiiiiliiliiiiil,"axG",@progbits,_ZL15flash_attn_tileILi128ELi128ELi4ELi4ELb1EEvPKcS1_S1_S1_S1_PKiPfP15HIP_vector_typeIfLj2EEffffjfiS5_IjLj3EEiiiiiiiiiiiliiliiiiil,comdat
.Lfunc_end77:
	.size	_ZL15flash_attn_tileILi128ELi128ELi4ELi4ELb1EEvPKcS1_S1_S1_S1_PKiPfP15HIP_vector_typeIfLj2EEffffjfiS5_IjLj3EEiiiiiiiiiiiliiliiiiil, .Lfunc_end77-_ZL15flash_attn_tileILi128ELi128ELi4ELi4ELb1EEvPKcS1_S1_S1_S1_PKiPfP15HIP_vector_typeIfLj2EEffffjfiS5_IjLj3EEiiiiiiiiiiiliiliiiiil
                                        ; -- End function
	.set _ZL15flash_attn_tileILi128ELi128ELi4ELi4ELb1EEvPKcS1_S1_S1_S1_PKiPfP15HIP_vector_typeIfLj2EEffffjfiS5_IjLj3EEiiiiiiiiiiiliiliiiiil.num_vgpr, 84
	.set _ZL15flash_attn_tileILi128ELi128ELi4ELi4ELb1EEvPKcS1_S1_S1_S1_PKiPfP15HIP_vector_typeIfLj2EEffffjfiS5_IjLj3EEiiiiiiiiiiiliiliiiiil.num_agpr, 0
	.set _ZL15flash_attn_tileILi128ELi128ELi4ELi4ELb1EEvPKcS1_S1_S1_S1_PKiPfP15HIP_vector_typeIfLj2EEffffjfiS5_IjLj3EEiiiiiiiiiiiliiliiiiil.numbered_sgpr, 40
	.set _ZL15flash_attn_tileILi128ELi128ELi4ELi4ELb1EEvPKcS1_S1_S1_S1_PKiPfP15HIP_vector_typeIfLj2EEffffjfiS5_IjLj3EEiiiiiiiiiiiliiliiiiil.num_named_barrier, 0
	.set _ZL15flash_attn_tileILi128ELi128ELi4ELi4ELb1EEvPKcS1_S1_S1_S1_PKiPfP15HIP_vector_typeIfLj2EEffffjfiS5_IjLj3EEiiiiiiiiiiiliiliiiiil.private_seg_size, 0
	.set _ZL15flash_attn_tileILi128ELi128ELi4ELi4ELb1EEvPKcS1_S1_S1_S1_PKiPfP15HIP_vector_typeIfLj2EEffffjfiS5_IjLj3EEiiiiiiiiiiiliiliiiiil.uses_vcc, 1
	.set _ZL15flash_attn_tileILi128ELi128ELi4ELi4ELb1EEvPKcS1_S1_S1_S1_PKiPfP15HIP_vector_typeIfLj2EEffffjfiS5_IjLj3EEiiiiiiiiiiiliiliiiiil.uses_flat_scratch, 0
	.set _ZL15flash_attn_tileILi128ELi128ELi4ELi4ELb1EEvPKcS1_S1_S1_S1_PKiPfP15HIP_vector_typeIfLj2EEffffjfiS5_IjLj3EEiiiiiiiiiiiliiliiiiil.has_dyn_sized_stack, 0
	.set _ZL15flash_attn_tileILi128ELi128ELi4ELi4ELb1EEvPKcS1_S1_S1_S1_PKiPfP15HIP_vector_typeIfLj2EEffffjfiS5_IjLj3EEiiiiiiiiiiiliiliiiiil.has_recursion, 0
	.set _ZL15flash_attn_tileILi128ELi128ELi4ELi4ELb1EEvPKcS1_S1_S1_S1_PKiPfP15HIP_vector_typeIfLj2EEffffjfiS5_IjLj3EEiiiiiiiiiiiliiliiiiil.has_indirect_call, 0
	.section	.AMDGPU.csdata,"",@progbits
; Kernel info:
; codeLenInByte = 14196
; TotalNumSgprs: 46
; NumVgprs: 84
; NumAgprs: 0
; TotalNumVgprs: 84
; ScratchSize: 0
; MemoryBound: 0
; FloatMode: 240
; IeeeMode: 1
; LDSByteSize: 23552 bytes/workgroup (compile time only)
; SGPRBlocks: 12
; VGPRBlocks: 10
; NumSGPRsForWavesPerEU: 97
; NumVGPRsForWavesPerEU: 84
; AccumOffset: 84
; Occupancy: 5
; WaveLimiterHint : 1
; COMPUTE_PGM_RSRC2:SCRATCH_EN: 0
; COMPUTE_PGM_RSRC2:USER_SGPR: 2
; COMPUTE_PGM_RSRC2:TRAP_HANDLER: 0
; COMPUTE_PGM_RSRC2:TGID_X_EN: 1
; COMPUTE_PGM_RSRC2:TGID_Y_EN: 1
; COMPUTE_PGM_RSRC2:TGID_Z_EN: 1
; COMPUTE_PGM_RSRC2:TIDIG_COMP_CNT: 1
; COMPUTE_PGM_RSRC3_GFX90A:ACCUM_OFFSET: 20
; COMPUTE_PGM_RSRC3_GFX90A:TG_SPLIT: 0
	.section	.text._ZL15flash_attn_tileILi128ELi128ELi2ELi4ELb1EEvPKcS1_S1_S1_S1_PKiPfP15HIP_vector_typeIfLj2EEffffjfiS5_IjLj3EEiiiiiiiiiiiliiliiiiil,"axG",@progbits,_ZL15flash_attn_tileILi128ELi128ELi2ELi4ELb1EEvPKcS1_S1_S1_S1_PKiPfP15HIP_vector_typeIfLj2EEffffjfiS5_IjLj3EEiiiiiiiiiiiliiliiiiil,comdat
	.globl	_ZL15flash_attn_tileILi128ELi128ELi2ELi4ELb1EEvPKcS1_S1_S1_S1_PKiPfP15HIP_vector_typeIfLj2EEffffjfiS5_IjLj3EEiiiiiiiiiiiliiliiiiil ; -- Begin function _ZL15flash_attn_tileILi128ELi128ELi2ELi4ELb1EEvPKcS1_S1_S1_S1_PKiPfP15HIP_vector_typeIfLj2EEffffjfiS5_IjLj3EEiiiiiiiiiiiliiliiiiil
	.p2align	8
	.type	_ZL15flash_attn_tileILi128ELi128ELi2ELi4ELb1EEvPKcS1_S1_S1_S1_PKiPfP15HIP_vector_typeIfLj2EEffffjfiS5_IjLj3EEiiiiiiiiiiiliiliiiiil,@function
_ZL15flash_attn_tileILi128ELi128ELi2ELi4ELb1EEvPKcS1_S1_S1_S1_PKiPfP15HIP_vector_typeIfLj2EEffffjfiS5_IjLj3EEiiiiiiiiiiiliiliiiiil: ; @_ZL15flash_attn_tileILi128ELi128ELi2ELi4ELb1EEvPKcS1_S1_S1_S1_PKiPfP15HIP_vector_typeIfLj2EEffffjfiS5_IjLj3EEiiiiiiiiiiiliiliiiiil
; %bb.0:
	s_load_dwordx4 s[20:23], s[0:1], 0x5c
	s_load_dwordx2 s[28:29], s[0:1], 0x80
	s_load_dwordx2 s[34:35], s[0:1], 0xb8
	s_mov_b64 s[30:31], 0
	s_waitcnt lgkmcnt(0)
	s_ashr_i32 s5, s23, 31
	s_lshr_b32 s5, s5, 30
	s_add_i32 s5, s23, s5
	s_ashr_i32 s5, s5, 2
	v_cvt_f32_u32_e32 v1, s5
	s_sub_i32 s6, 0, s5
	v_rcp_iflag_f32_e32 v1, v1
	s_nop 0
	v_mul_f32_e32 v1, 0x4f7ffffe, v1
	v_cvt_u32_f32_e32 v1, v1
	s_nop 0
	v_readfirstlane_b32 s7, v1
	s_mul_i32 s6, s6, s7
	s_mul_hi_u32 s6, s7, s6
	s_add_i32 s7, s7, s6
	s_mul_hi_u32 s6, s4, s7
	s_mul_i32 s7, s6, s5
	s_sub_i32 s7, s4, s7
	s_add_i32 s8, s6, 1
	s_sub_i32 s9, s7, s5
	s_cmp_ge_u32 s7, s5
	s_cselect_b32 s6, s8, s6
	s_cselect_b32 s7, s9, s7
	s_add_i32 s8, s6, 1
	s_cmp_ge_u32 s7, s5
	s_cselect_b32 s33, s8, s6
	s_abs_i32 s5, s29
	v_cvt_f32_u32_e32 v1, s5
	s_lshl_b32 s4, s4, 2
	s_mul_i32 s8, s33, s23
	s_xor_b32 s6, s23, s29
	v_rcp_iflag_f32_e32 v1, v1
	s_sub_i32 s9, 0, s5
	s_sub_i32 s29, s4, s8
	s_abs_i32 s7, s23
	v_mul_f32_e32 v1, 0x4f7ffffe, v1
	v_cvt_u32_f32_e32 v1, v1
	s_ashr_i32 s6, s6, 31
	v_readfirstlane_b32 s4, v1
	s_mul_i32 s9, s9, s4
	s_mul_hi_u32 s8, s4, s9
	s_add_i32 s4, s4, s8
	s_mul_hi_u32 s4, s7, s4
	s_mul_i32 s8, s4, s5
	s_sub_i32 s7, s7, s8
	s_add_i32 s9, s4, 1
	s_sub_i32 s8, s7, s5
	s_cmp_ge_u32 s7, s5
	s_cselect_b32 s4, s9, s4
	s_cselect_b32 s7, s8, s7
	s_add_i32 s8, s4, 1
	s_cmp_ge_u32 s7, s5
	s_cselect_b32 s4, s8, s4
	s_xor_b32 s4, s4, s6
	s_sub_i32 s37, s4, s6
	s_abs_i32 s36, s37
	v_cvt_f32_u32_e32 v1, s36
	s_load_dwordx16 s[4:19], s[0:1], 0x0
	v_rcp_iflag_f32_e32 v1, v1
	s_waitcnt lgkmcnt(0)
	s_cmp_eq_u64 s[10:11], 0
	v_mul_f32_e32 v1, 0x4f7ffffe, v1
	v_cvt_u32_f32_e32 v1, v1
	s_nop 0
	v_readfirstlane_b32 s38, v1
	s_cbranch_scc1 .LBB78_2
; %bb.1:
	s_abs_i32 s26, s34
	v_cvt_f32_u32_e32 v1, s26
	s_sub_i32 s31, 0, s26
	s_abs_i32 s30, s33
	s_ashr_i32 s27, s33, 31
	v_rcp_iflag_f32_e32 v1, v1
	s_load_dwordx2 s[24:25], s[0:1], 0xc8
	v_mul_f32_e32 v1, 0x4f7ffffe, v1
	v_cvt_u32_f32_e32 v1, v1
	s_nop 0
	v_readfirstlane_b32 s34, v1
	s_mul_i32 s31, s31, s34
	s_mul_hi_u32 s31, s34, s31
	s_add_i32 s34, s34, s31
	s_mul_hi_u32 s31, s30, s34
	s_mul_i32 s31, s31, s26
	s_sub_i32 s30, s30, s31
	s_sub_i32 s31, s30, s26
	s_cmp_ge_u32 s30, s26
	s_cselect_b32 s30, s31, s30
	s_sub_i32 s31, s30, s26
	s_cmp_ge_u32 s30, s26
	s_cselect_b32 s26, s31, s30
	s_xor_b32 s26, s26, s27
	s_sub_i32 s26, s26, s27
	s_ashr_i32 s27, s26, 31
	s_waitcnt lgkmcnt(0)
	s_mul_hi_u32 s30, s24, s26
	s_mul_i32 s27, s24, s27
	s_mul_i32 s25, s25, s26
	s_add_i32 s27, s30, s27
	s_add_i32 s27, s27, s25
	s_mul_i32 s24, s24, s26
	s_add_u32 s30, s10, s24
	s_addc_u32 s31, s11, s27
.LBB78_2:
	s_load_dwordx4 s[24:27], s[0:1], 0x70
	v_lshrrev_b32_e32 v1, 10, v0
	v_bfe_u32 v1, v1, 2, 8
	v_lshl_add_u32 v24, s2, 1, v1
	v_bfe_u32 v3, v0, 10, 2
	s_waitcnt lgkmcnt(0)
	s_mul_i32 s10, s33, s26
	s_ashr_i32 s26, s10, 31
	s_mul_i32 s11, s29, s25
	s_add_u32 s4, s4, s10
	s_addc_u32 s5, s5, s26
	s_ashr_i32 s10, s11, 31
	s_add_u32 s4, s4, s11
	s_addc_u32 s5, s5, s10
	s_ashr_i32 s11, s25, 31
	s_mov_b32 s10, s25
	s_lshr_b64 s[26:27], s[10:11], 2
	v_mul_hi_u32 v1, s20, v24
	s_lshr_b32 s25, s11, 2
	v_mad_u64_u32 v[4:5], s[10:11], s26, v3, 0
	v_add_u32_e32 v1, v24, v1
	v_mov_b32_e32 v2, v5
	v_lshrrev_b32_e32 v1, s21, v1
	v_mad_u64_u32 v[6:7], s[10:11], s25, v3, v[2:3]
	v_mul_lo_u32 v1, v1, s22
	s_ashr_i32 s25, s24, 31
	v_sub_u32_e32 v12, v24, v1
	s_lshr_b64 s[10:11], s[24:25], 2
	v_mov_b32_e32 v5, v6
	v_mad_u64_u32 v[6:7], s[10:11], s10, v12, 0
	v_mov_b32_e32 v2, v7
	s_lshr_b32 s10, s25, 2
	v_mad_u64_u32 v[8:9], s[10:11], s10, v12, v[2:3]
	v_mov_b32_e32 v7, v8
	v_and_b32_e32 v2, 0x3ff, v0
	v_lshl_add_u64 v[4:5], v[4:5], 2, s[4:5]
	v_lshl_add_u64 v[4:5], v[6:7], 2, v[4:5]
	v_lshlrev_b32_e32 v6, 4, v2
	v_mov_b32_e32 v7, 0
	v_lshl_add_u64 v[4:5], v[4:5], 0, v[6:7]
	global_load_dwordx4 v[4:7], v[4:5], off
	s_load_dword s4, s[0:1], 0x40
	v_bfe_u32 v0, v0, 10, 10
	v_mov_b32_e32 v1, 0x4400
	v_lshlrev_b32_e32 v26, 3, v2
	v_lshl_add_u32 v27, v0, 8, v1
	v_add_u32_e32 v1, v27, v26
	s_cmp_eq_u64 s[14:15], 0
	s_waitcnt vmcnt(0) lgkmcnt(0)
	v_fma_mixlo_f16 v8, s4, v4, 0
	v_mov_b32_e32 v4, v7
	v_pk_mul_f32 v[4:5], s[4:5], v[4:5] op_sel_hi:[0,1]
	v_cvt_pk_f16_f32 v4, v4, v5
	v_fma_mixlo_f16 v6, s4, v6, 0
	v_and_b32_e32 v7, 0xffff, v8
	v_lshlrev_b32_e32 v5, 16, v4
	v_and_b32_e32 v4, 0xffff0000, v4
	v_and_b32_e32 v6, 0xffff, v6
	v_or_b32_e32 v4, v4, v7
	v_or3_b32 v5, v5, v6, 0
	v_or3_b32 v4, 0, 0, v4
	ds_write_b64 v1, v[4:5]
	s_waitcnt lgkmcnt(0)
	s_barrier
	s_cbranch_scc1 .LBB78_4
; %bb.3:
	s_load_dword s4, s[0:1], 0xd0
	s_mov_b32 s5, 0
	s_waitcnt lgkmcnt(0)
	s_mul_i32 s4, s4, s33
	s_add_i32 s4, s4, s2
	s_lshl_b64 s[4:5], s[4:5], 2
	s_add_u32 s4, s14, s4
	s_addc_u32 s5, s15, s5
	s_load_dword s28, s[4:5], 0x0
.LBB78_4:
	s_lshl_b32 s2, s3, 6
	s_waitcnt lgkmcnt(0)
	s_cmp_lt_i32 s2, s28
	v_mbcnt_lo_u32_b32 v22, -1, 0
	s_cbranch_scc1 .LBB78_10
; %bb.5:
	v_mbcnt_hi_u32_b32 v13, -1, v22
	v_and_b32_e32 v1, 0x60, v13
	v_add_u32_e32 v45, 32, v1
	v_xor_b32_e32 v44, 16, v13
	v_xor_b32_e32 v43, 8, v13
	;; [unrolled: 1-line block ×5, first 2 shown]
	v_lshlrev_b32_e32 v25, 2, v2
	s_cbranch_execz .LBB78_11
; %bb.6:
	v_mov_b32_e32 v39, 0
	v_mov_b32_e32 v48, 0
	v_mov_b32_e32 v22, 0xfeffffff
	v_mov_b32_e32 v40, 0
.LBB78_7:
	v_cmp_lt_i32_e32 vcc, v44, v45
	s_cmp_lg_u64 s[12:13], 0
	s_cselect_b64 s[4:5], -1, 0
	v_cndmask_b32_e32 v0, v13, v44, vcc
	v_lshlrev_b32_e32 v0, 2, v0
	ds_bpermute_b32 v0, v0, v48
	v_cmp_lt_i32_e32 vcc, v43, v45
	s_cmp_eq_u32 s3, 0
	s_cselect_b64 s[6:7], -1, 0
	v_cndmask_b32_e32 v1, v13, v43, vcc
	v_lshlrev_b32_e32 v1, 2, v1
	s_waitcnt lgkmcnt(0)
	v_add_f32_e32 v0, v48, v0
	ds_bpermute_b32 v1, v1, v0
	v_cmp_lt_i32_e32 vcc, v23, v45
	s_and_b64 s[4:5], s[6:7], s[4:5]
	s_waitcnt lgkmcnt(0)
	v_add_f32_e32 v0, v0, v1
	v_cndmask_b32_e32 v4, v13, v23, vcc
	v_lshlrev_b32_e32 v4, 2, v4
	ds_bpermute_b32 v1, v4, v0
	v_cmp_lt_i32_e32 vcc, v46, v45
	s_waitcnt lgkmcnt(0)
	v_add_f32_e32 v0, v0, v1
	v_cndmask_b32_e32 v4, v13, v46, vcc
	v_lshlrev_b32_e32 v4, 2, v4
	ds_bpermute_b32 v1, v4, v0
	v_cmp_lt_i32_e32 vcc, v47, v45
	s_waitcnt lgkmcnt(0)
	v_add_f32_e32 v0, v0, v1
	v_cndmask_b32_e32 v4, v13, v47, vcc
	v_lshlrev_b32_e32 v4, 2, v4
	ds_bpermute_b32 v1, v4, v0
	s_and_b64 vcc, exec, s[4:5]
	s_waitcnt lgkmcnt(0)
	v_add_f32_e32 v23, v0, v1
	s_cbranch_vccz .LBB78_22
; %bb.8:
	v_add_u32_e32 v0, s29, v3
	v_ashrrev_i32_e32 v1, 31, v0
	v_lshl_add_u64 v[0:1], v[0:1], 2, s[12:13]
	global_load_dword v1, v[0:1], off
	v_max_f32_e32 v0, v22, v22
	s_mov_b32 s2, 0x3fb8aa3b
	s_mov_b32 s4, 0xc2ce8ed0
	s_waitcnt vmcnt(0)
	v_max_f32_e32 v4, v1, v1
	v_max_f32_e32 v0, v0, v4
	v_sub_f32_e32 v4, v22, v0
	v_sub_f32_e32 v1, v1, v0
	v_mul_f32_e32 v5, 0x3fb8aa3b, v4
	v_mul_f32_e32 v6, 0x3fb8aa3b, v1
	v_fma_f32 v7, v4, s2, -v5
	v_rndne_f32_e32 v8, v5
	v_fma_f32 v9, v1, s2, -v6
	v_rndne_f32_e32 v10, v6
	v_fmac_f32_e32 v7, 0x32a5705f, v4
	v_sub_f32_e32 v5, v5, v8
	v_fmac_f32_e32 v9, 0x32a5705f, v1
	v_sub_f32_e32 v6, v6, v10
	v_add_f32_e32 v5, v5, v7
	v_cvt_i32_f32_e32 v8, v8
	v_add_f32_e32 v6, v6, v9
	v_exp_f32_e32 v5, v5
	v_cvt_i32_f32_e32 v10, v10
	v_exp_f32_e32 v6, v6
	v_cmp_ngt_f32_e32 vcc, s4, v4
	v_ldexp_f32 v5, v5, v8
	s_mov_b32 s2, 0x42b17218
	v_ldexp_f32 v6, v6, v10
	v_cndmask_b32_e32 v5, 0, v5, vcc
	v_cmp_ngt_f32_e32 vcc, s4, v1
	v_mov_b32_e32 v7, 0x7f800000
	s_nop 0
	v_cndmask_b32_e32 v6, 0, v6, vcc
	v_cmp_nlt_f32_e32 vcc, s2, v4
	s_nop 1
	v_cndmask_b32_e32 v4, v7, v5, vcc
	v_cvt_f16_f32_e32 v5, v4
	v_cmp_nlt_f32_e32 vcc, s2, v1
	s_nop 1
	v_cndmask_b32_e32 v1, v7, v6, vcc
	v_fmac_f32_e32 v1, v23, v4
	v_mul_u32_u24_e32 v4, 0x10001, v5
	v_pk_mul_f16 v40, v40, v4
	v_pk_mul_f16 v39, v39, v4
	v_mov_b64_e32 v[22:23], v[0:1]
	v_cmp_gt_i32_e32 vcc, s22, v24
	s_and_saveexec_b64 s[4:5], vcc
	s_cbranch_execnz .LBB78_23
.LBB78_9:
	s_endpgm
.LBB78_10:
                                        ; implicit-def: $vgpr13
                                        ; implicit-def: $vgpr45
                                        ; implicit-def: $vgpr44
                                        ; implicit-def: $vgpr43
                                        ; implicit-def: $vgpr23
                                        ; implicit-def: $vgpr46
                                        ; implicit-def: $vgpr47
	v_lshlrev_b32_e32 v25, 2, v2
.LBB78_11:
	s_sub_i32 s4, 0, s36
	s_mul_i32 s4, s4, s38
	s_mul_hi_u32 s4, s38, s4
	s_add_i32 s38, s38, s4
	s_load_dwordx4 s[24:27], s[0:1], 0x98
	s_load_dword s10, s[0:1], 0x54
	s_load_dwordx2 s[4:5], s[0:1], 0x8c
	s_ashr_i32 s34, s37, 31
	s_abs_i32 s15, s29
	s_waitcnt lgkmcnt(0)
	s_ashr_i32 s11, s26, 2
	s_ashr_i32 s26, s35, 1
	;; [unrolled: 1-line block ×4, first 2 shown]
	s_mul_hi_u32 s35, s24, s33
	s_mul_i32 s37, s24, s4
	s_add_i32 s35, s35, s37
	s_mul_i32 s25, s25, s33
	s_mul_hi_u32 s20, s15, s38
	s_ashr_i32 s21, s29, 31
	s_add_i32 s35, s35, s25
	s_mul_i32 s24, s24, s33
	s_add_u32 s6, s6, s24
	s_mul_i32 s24, s20, s36
	s_addc_u32 s7, s7, s35
	s_sub_i32 s15, s15, s24
	s_xor_b32 s21, s21, s34
	s_add_i32 s24, s20, 1
	s_sub_i32 s25, s15, s36
	s_cmp_ge_u32 s15, s36
	s_cselect_b32 s20, s24, s20
	s_cselect_b32 s15, s25, s15
	s_add_i32 s24, s20, 1
	s_cmp_ge_u32 s15, s36
	s_load_dwordx2 s[38:39], s[0:1], 0xa8
	s_cselect_b32 s15, s24, s20
	s_xor_b32 s15, s15, s21
	s_sub_i32 s21, s15, s21
	s_mul_i32 s5, s21, s5
	s_ashr_i32 s20, s5, 31
	s_add_u32 s15, s6, s5
	s_waitcnt lgkmcnt(0)
	s_mul_hi_u32 s5, s38, s33
	s_mul_i32 s4, s38, s4
	s_addc_u32 s20, s7, s20
	s_add_i32 s4, s5, s4
	s_mul_i32 s5, s39, s33
	s_add_i32 s4, s4, s5
	s_mul_i32 s5, s38, s33
	s_add_u32 s5, s8, s5
	s_mul_i32 s21, s21, s27
	s_addc_u32 s4, s9, s4
	s_ashr_i32 s6, s21, 31
	s_add_u32 s8, s5, s21
	v_lshrrev_b32_e32 v1, 4, v2
	v_and_b32_e32 v38, 60, v25
	s_addc_u32 s9, s4, s6
	v_lshl_add_u32 v14, v0, 1, v1
	v_lshlrev_b32_e32 v15, 2, v38
	s_movk_i32 s4, 0x110
	v_mad_u32_u24 v28, v14, s4, v15
	v_mul_lo_u32 v4, s14, v14
	s_lshl_b32 s4, s14, 4
	v_add_u32_e32 v6, s4, v4
	v_add_u32_e32 v8, s4, v6
	;; [unrolled: 1-line block ×3, first 2 shown]
	v_mad_u64_u32 v[12:13], s[4:5], v12, s26, v[2:3]
	v_lshl_or_b32 v33, v14, 8, v15
	v_mul_lo_u32 v14, s11, v14
	s_lshl_b32 s4, s11, 4
	v_add_u32_e32 v16, s4, v14
	v_mov_b32_e32 v13, 0x4c00
	v_add_u32_e32 v18, s4, v16
	v_mov_b32_e32 v1, 0
	v_lshl_add_u32 v31, v0, 7, v13
	v_add_u32_e32 v20, s4, v18
	s_add_u32 s4, s0, 0xd0
                                        ; implicit-def: $vgpr13
                                        ; implicit-def: $vgpr13
	;; [unrolled: 1-line block ×3, first 2 shown]
	v_ashrrev_i32_e32 v5, 31, v4
	v_ashrrev_i32_e32 v7, 31, v6
	;; [unrolled: 1-line block ×3, first 2 shown]
	v_add_u32_e32 v29, 0x3300, v28
	v_ashrrev_i32_e32 v11, 31, v10
	v_mul_u32_u24_e32 v30, 0x110, v2
	v_lshl_add_u32 v32, v2, 1, v31
	v_ashrrev_i32_e32 v15, 31, v14
	v_add_u32_e32 v34, 0x1000, v33
	v_ashrrev_i32_e32 v17, 31, v16
	v_add_u32_e32 v35, 0x2000, v33
	;; [unrolled: 2-line block ×3, first 2 shown]
	v_ashrrev_i32_e32 v21, 31, v20
	s_addc_u32 s5, s1, 0
	v_mov_b32_e32 v42, 0xfeffffff
	v_lshlrev_b32_e32 v0, 2, v38
	s_mov_b32 s21, 0x3f200000
	s_mov_b32 s24, 0x3fb8aa3b
	;; [unrolled: 1-line block ×4, first 2 shown]
	v_mov_b32_e32 v37, 0x3ca908c9
	s_brev_b32 s27, -2
	s_mov_b32 s34, 0x10001
	v_mov_b32_e32 v38, 0x7f800000
	v_mbcnt_hi_u32_b32 v13, -1, v22
	v_mov_b32_e32 v40, v1
	v_mov_b32_e32 v39, v1
	;; [unrolled: 1-line block ×3, first 2 shown]
.LBB78_12:                              ; =>This Inner Loop Header: Depth=1
	s_mul_hi_i32 s7, s2, s14
	s_mul_i32 s6, s2, s14
	s_lshl_b64 s[6:7], s[6:7], 2
	s_add_u32 s6, s15, s6
	s_addc_u32 s7, s20, s7
	v_lshl_add_u64 v[22:23], v[4:5], 2, s[6:7]
	v_lshl_add_u64 v[22:23], v[22:23], 0, v[0:1]
	;; [unrolled: 1-line block ×4, first 2 shown]
	global_load_dwordx4 v[44:47], v[22:23], off
	global_load_dwordx4 v[48:51], v[52:53], off
	v_lshl_add_u64 v[22:23], v[8:9], 2, s[6:7]
	v_lshl_add_u64 v[22:23], v[22:23], 0, v[0:1]
	;; [unrolled: 1-line block ×4, first 2 shown]
	global_load_dwordx4 v[52:55], v[22:23], off
	global_load_dwordx4 v[56:59], v[60:61], off
	v_add_u32_e32 v22, 0x1100, v28
	v_add_u32_e32 v23, 0x2200, v28
	v_mov_b32_e32 v43, 0
	s_waitcnt vmcnt(3)
	ds_write_b128 v28, v[44:47]
	s_waitcnt vmcnt(2)
	ds_write_b128 v22, v[48:51]
	;; [unrolled: 2-line block ×4, first 2 shown]
	s_waitcnt lgkmcnt(0)
	s_barrier
	ds_read_b128 v[46:49], v30
	ds_read_b128 v[50:53], v27
	ds_read_b128 v[54:57], v30 offset:8704
	s_waitcnt lgkmcnt(1)
	;;#ASMSTART
	v_dot2_f32_f16 v43, v46, v50, v43
	;;#ASMEND
	s_nop 0
	;;#ASMSTART
	v_dot2_f32_f16 v43, v47, v51, v43
	;;#ASMEND
	v_mov_b32_e32 v45, 0
	;;#ASMSTART
	v_dot2_f32_f16 v43, v48, v52, v43
	;;#ASMEND
                                        ; implicit-def: $vgpr44
	s_nop 0
	;;#ASMSTART
	v_dot2_f32_f16 v43, v49, v53, v43
	;;#ASMEND
	s_waitcnt lgkmcnt(0)
	;;#ASMSTART
	v_dot2_f32_f16 v45, v54, v50, v45
	;;#ASMEND
	s_nop 0
	;;#ASMSTART
	v_dot2_f32_f16 v45, v55, v51, v45
	;;#ASMEND
	s_nop 0
	;;#ASMSTART
	v_dot2_f32_f16 v45, v56, v52, v45
	;;#ASMEND
	s_nop 0
	;;#ASMSTART
	v_dot2_f32_f16 v45, v57, v53, v45
	;;#ASMEND
	ds_read_b128 v[46:49], v30 offset:16
	ds_read_b128 v[50:53], v27 offset:16
	ds_read_b128 v[54:57], v30 offset:8720
	s_waitcnt lgkmcnt(1)
	;;#ASMSTART
	v_dot2_f32_f16 v43, v46, v50, v43
	;;#ASMEND
	s_nop 0
	;;#ASMSTART
	v_dot2_f32_f16 v43, v47, v51, v43
	;;#ASMEND
	s_nop 0
	;;#ASMSTART
	v_dot2_f32_f16 v43, v48, v52, v43
	;;#ASMEND
	s_nop 0
	;;#ASMSTART
	v_dot2_f32_f16 v43, v49, v53, v43
	;;#ASMEND
	s_waitcnt lgkmcnt(0)
	;;#ASMSTART
	v_dot2_f32_f16 v45, v54, v50, v45
	;;#ASMEND
	s_nop 0
	;;#ASMSTART
	v_dot2_f32_f16 v45, v55, v51, v45
	;;#ASMEND
	s_nop 0
	;;#ASMSTART
	v_dot2_f32_f16 v45, v56, v52, v45
	;;#ASMEND
	s_nop 0
	;;#ASMSTART
	v_dot2_f32_f16 v45, v57, v53, v45
	;;#ASMEND
	ds_read_b128 v[46:49], v30 offset:32
	ds_read_b128 v[50:53], v27 offset:32
	ds_read_b128 v[54:57], v30 offset:8736
	s_waitcnt lgkmcnt(1)
	;;#ASMSTART
	v_dot2_f32_f16 v43, v46, v50, v43
	;;#ASMEND
	s_nop 0
	;;#ASMSTART
	v_dot2_f32_f16 v43, v47, v51, v43
	;;#ASMEND
	s_nop 0
	;;#ASMSTART
	v_dot2_f32_f16 v43, v48, v52, v43
	;;#ASMEND
	s_nop 0
	;;#ASMSTART
	v_dot2_f32_f16 v43, v49, v53, v43
	;;#ASMEND
	s_waitcnt lgkmcnt(0)
	;;#ASMSTART
	v_dot2_f32_f16 v45, v54, v50, v45
	;;#ASMEND
	s_nop 0
	;;#ASMSTART
	v_dot2_f32_f16 v45, v55, v51, v45
	;;#ASMEND
	s_nop 0
	;;#ASMSTART
	v_dot2_f32_f16 v45, v56, v52, v45
	;;#ASMEND
	s_nop 0
	;;#ASMSTART
	v_dot2_f32_f16 v45, v57, v53, v45
	;;#ASMEND
	ds_read_b128 v[46:49], v30 offset:48
	ds_read_b128 v[50:53], v27 offset:48
	ds_read_b128 v[54:57], v30 offset:8752
	s_waitcnt lgkmcnt(1)
	;;#ASMSTART
	v_dot2_f32_f16 v43, v46, v50, v43
	;;#ASMEND
	s_nop 0
	;;#ASMSTART
	v_dot2_f32_f16 v43, v47, v51, v43
	;;#ASMEND
	s_nop 0
	;;#ASMSTART
	v_dot2_f32_f16 v43, v48, v52, v43
	;;#ASMEND
	s_nop 0
	;;#ASMSTART
	v_dot2_f32_f16 v43, v49, v53, v43
	;;#ASMEND
	s_waitcnt lgkmcnt(0)
	;;#ASMSTART
	v_dot2_f32_f16 v45, v54, v50, v45
	;;#ASMEND
	s_nop 0
	;;#ASMSTART
	v_dot2_f32_f16 v45, v55, v51, v45
	;;#ASMEND
	s_nop 0
	;;#ASMSTART
	v_dot2_f32_f16 v45, v56, v52, v45
	;;#ASMEND
	s_nop 0
	;;#ASMSTART
	v_dot2_f32_f16 v45, v57, v53, v45
	;;#ASMEND
	ds_read_b128 v[46:49], v30 offset:64
	ds_read_b128 v[50:53], v27 offset:64
	ds_read_b128 v[54:57], v30 offset:8768
	s_waitcnt lgkmcnt(1)
	;;#ASMSTART
	v_dot2_f32_f16 v43, v46, v50, v43
	;;#ASMEND
	s_nop 0
	;;#ASMSTART
	v_dot2_f32_f16 v43, v47, v51, v43
	;;#ASMEND
	s_nop 0
	;;#ASMSTART
	v_dot2_f32_f16 v43, v48, v52, v43
	;;#ASMEND
	s_nop 0
	;;#ASMSTART
	v_dot2_f32_f16 v43, v49, v53, v43
	;;#ASMEND
	s_waitcnt lgkmcnt(0)
	;;#ASMSTART
	v_dot2_f32_f16 v45, v54, v50, v45
	;;#ASMEND
	s_nop 0
	;;#ASMSTART
	v_dot2_f32_f16 v45, v55, v51, v45
	;;#ASMEND
	s_nop 0
	;;#ASMSTART
	v_dot2_f32_f16 v45, v56, v52, v45
	;;#ASMEND
	s_nop 0
	;;#ASMSTART
	v_dot2_f32_f16 v45, v57, v53, v45
	;;#ASMEND
	ds_read_b128 v[46:49], v30 offset:80
	ds_read_b128 v[50:53], v27 offset:80
	ds_read_b128 v[54:57], v30 offset:8784
	s_waitcnt lgkmcnt(1)
	;;#ASMSTART
	v_dot2_f32_f16 v43, v46, v50, v43
	;;#ASMEND
	s_nop 0
	;;#ASMSTART
	v_dot2_f32_f16 v43, v47, v51, v43
	;;#ASMEND
	s_nop 0
	;;#ASMSTART
	v_dot2_f32_f16 v43, v48, v52, v43
	;;#ASMEND
	s_nop 0
	;;#ASMSTART
	v_dot2_f32_f16 v43, v49, v53, v43
	;;#ASMEND
	s_waitcnt lgkmcnt(0)
	;;#ASMSTART
	v_dot2_f32_f16 v45, v54, v50, v45
	;;#ASMEND
	s_nop 0
	;;#ASMSTART
	v_dot2_f32_f16 v45, v55, v51, v45
	;;#ASMEND
	s_nop 0
	;;#ASMSTART
	v_dot2_f32_f16 v45, v56, v52, v45
	;;#ASMEND
	s_nop 0
	;;#ASMSTART
	v_dot2_f32_f16 v45, v57, v53, v45
	;;#ASMEND
	ds_read_b128 v[46:49], v30 offset:96
	ds_read_b128 v[50:53], v27 offset:96
	ds_read_b128 v[54:57], v30 offset:8800
	s_waitcnt lgkmcnt(1)
	;;#ASMSTART
	v_dot2_f32_f16 v43, v46, v50, v43
	;;#ASMEND
	s_nop 0
	;;#ASMSTART
	v_dot2_f32_f16 v43, v47, v51, v43
	;;#ASMEND
	s_nop 0
	;;#ASMSTART
	v_dot2_f32_f16 v43, v48, v52, v43
	;;#ASMEND
	s_nop 0
	;;#ASMSTART
	v_dot2_f32_f16 v43, v49, v53, v43
	;;#ASMEND
	s_waitcnt lgkmcnt(0)
	;;#ASMSTART
	v_dot2_f32_f16 v45, v54, v50, v45
	;;#ASMEND
	s_nop 0
	;;#ASMSTART
	v_dot2_f32_f16 v45, v55, v51, v45
	;;#ASMEND
	s_nop 0
	;;#ASMSTART
	v_dot2_f32_f16 v45, v56, v52, v45
	;;#ASMEND
	s_nop 0
	;;#ASMSTART
	v_dot2_f32_f16 v45, v57, v53, v45
	;;#ASMEND
	ds_read_b128 v[46:49], v30 offset:112
	ds_read_b128 v[50:53], v27 offset:112
	ds_read_b128 v[54:57], v30 offset:8816
	s_waitcnt lgkmcnt(1)
	;;#ASMSTART
	v_dot2_f32_f16 v43, v46, v50, v43
	;;#ASMEND
	s_nop 0
	;;#ASMSTART
	v_dot2_f32_f16 v43, v47, v51, v43
	;;#ASMEND
	s_nop 0
	;;#ASMSTART
	v_dot2_f32_f16 v43, v48, v52, v43
	;;#ASMEND
	s_nop 0
	;;#ASMSTART
	v_dot2_f32_f16 v43, v49, v53, v43
	;;#ASMEND
	s_waitcnt lgkmcnt(0)
	;;#ASMSTART
	v_dot2_f32_f16 v45, v54, v50, v45
	;;#ASMEND
	s_nop 0
	;;#ASMSTART
	v_dot2_f32_f16 v45, v55, v51, v45
	;;#ASMEND
	s_nop 0
	;;#ASMSTART
	v_dot2_f32_f16 v45, v56, v52, v45
	;;#ASMEND
	s_nop 0
	;;#ASMSTART
	v_dot2_f32_f16 v45, v57, v53, v45
	;;#ASMEND
	ds_read_b128 v[46:49], v30 offset:128
	ds_read_b128 v[50:53], v27 offset:128
	ds_read_b128 v[54:57], v30 offset:8832
	s_waitcnt lgkmcnt(1)
	;;#ASMSTART
	v_dot2_f32_f16 v43, v46, v50, v43
	;;#ASMEND
	s_nop 0
	;;#ASMSTART
	v_dot2_f32_f16 v43, v47, v51, v43
	;;#ASMEND
	s_nop 0
	;;#ASMSTART
	v_dot2_f32_f16 v43, v48, v52, v43
	;;#ASMEND
	s_nop 0
	;;#ASMSTART
	v_dot2_f32_f16 v43, v49, v53, v43
	;;#ASMEND
	s_waitcnt lgkmcnt(0)
	;;#ASMSTART
	v_dot2_f32_f16 v45, v54, v50, v45
	;;#ASMEND
	s_nop 0
	;;#ASMSTART
	v_dot2_f32_f16 v45, v55, v51, v45
	;;#ASMEND
	s_nop 0
	;;#ASMSTART
	v_dot2_f32_f16 v45, v56, v52, v45
	;;#ASMEND
	s_nop 0
	;;#ASMSTART
	v_dot2_f32_f16 v45, v57, v53, v45
	;;#ASMEND
	ds_read_b128 v[46:49], v30 offset:144
	ds_read_b128 v[50:53], v27 offset:144
	ds_read_b128 v[54:57], v30 offset:8848
	s_waitcnt lgkmcnt(1)
	;;#ASMSTART
	v_dot2_f32_f16 v43, v46, v50, v43
	;;#ASMEND
	s_nop 0
	;;#ASMSTART
	v_dot2_f32_f16 v43, v47, v51, v43
	;;#ASMEND
	s_nop 0
	;;#ASMSTART
	v_dot2_f32_f16 v43, v48, v52, v43
	;;#ASMEND
	s_nop 0
	;;#ASMSTART
	v_dot2_f32_f16 v43, v49, v53, v43
	;;#ASMEND
	s_waitcnt lgkmcnt(0)
	;;#ASMSTART
	v_dot2_f32_f16 v45, v54, v50, v45
	;;#ASMEND
	s_nop 0
	;;#ASMSTART
	v_dot2_f32_f16 v45, v55, v51, v45
	;;#ASMEND
	s_nop 0
	;;#ASMSTART
	v_dot2_f32_f16 v45, v56, v52, v45
	;;#ASMEND
	s_nop 0
	;;#ASMSTART
	v_dot2_f32_f16 v45, v57, v53, v45
	;;#ASMEND
	ds_read_b128 v[46:49], v30 offset:160
	ds_read_b128 v[50:53], v27 offset:160
	ds_read_b128 v[54:57], v30 offset:8864
	s_waitcnt lgkmcnt(1)
	;;#ASMSTART
	v_dot2_f32_f16 v43, v46, v50, v43
	;;#ASMEND
	s_nop 0
	;;#ASMSTART
	v_dot2_f32_f16 v43, v47, v51, v43
	;;#ASMEND
	s_nop 0
	;;#ASMSTART
	v_dot2_f32_f16 v43, v48, v52, v43
	;;#ASMEND
	s_nop 0
	;;#ASMSTART
	v_dot2_f32_f16 v43, v49, v53, v43
	;;#ASMEND
	s_waitcnt lgkmcnt(0)
	;;#ASMSTART
	v_dot2_f32_f16 v45, v54, v50, v45
	;;#ASMEND
	s_nop 0
	;;#ASMSTART
	v_dot2_f32_f16 v45, v55, v51, v45
	;;#ASMEND
	s_nop 0
	;;#ASMSTART
	v_dot2_f32_f16 v45, v56, v52, v45
	;;#ASMEND
	s_nop 0
	;;#ASMSTART
	v_dot2_f32_f16 v45, v57, v53, v45
	;;#ASMEND
	ds_read_b128 v[46:49], v30 offset:176
	ds_read_b128 v[50:53], v27 offset:176
	ds_read_b128 v[54:57], v30 offset:8880
	s_waitcnt lgkmcnt(1)
	;;#ASMSTART
	v_dot2_f32_f16 v43, v46, v50, v43
	;;#ASMEND
	s_nop 0
	;;#ASMSTART
	v_dot2_f32_f16 v43, v47, v51, v43
	;;#ASMEND
	s_nop 0
	;;#ASMSTART
	v_dot2_f32_f16 v43, v48, v52, v43
	;;#ASMEND
	s_nop 0
	;;#ASMSTART
	v_dot2_f32_f16 v43, v49, v53, v43
	;;#ASMEND
	s_waitcnt lgkmcnt(0)
	;;#ASMSTART
	v_dot2_f32_f16 v45, v54, v50, v45
	;;#ASMEND
	s_nop 0
	;;#ASMSTART
	v_dot2_f32_f16 v45, v55, v51, v45
	;;#ASMEND
	s_nop 0
	;;#ASMSTART
	v_dot2_f32_f16 v45, v56, v52, v45
	;;#ASMEND
	s_nop 0
	;;#ASMSTART
	v_dot2_f32_f16 v45, v57, v53, v45
	;;#ASMEND
	ds_read_b128 v[46:49], v30 offset:192
	ds_read_b128 v[50:53], v27 offset:192
	ds_read_b128 v[54:57], v30 offset:8896
	s_waitcnt lgkmcnt(1)
	;;#ASMSTART
	v_dot2_f32_f16 v43, v46, v50, v43
	;;#ASMEND
	s_nop 0
	;;#ASMSTART
	v_dot2_f32_f16 v43, v47, v51, v43
	;;#ASMEND
	s_nop 0
	;;#ASMSTART
	v_dot2_f32_f16 v43, v48, v52, v43
	;;#ASMEND
	s_nop 0
	;;#ASMSTART
	v_dot2_f32_f16 v43, v49, v53, v43
	;;#ASMEND
	s_waitcnt lgkmcnt(0)
	;;#ASMSTART
	v_dot2_f32_f16 v45, v54, v50, v45
	;;#ASMEND
	s_nop 0
	;;#ASMSTART
	v_dot2_f32_f16 v45, v55, v51, v45
	;;#ASMEND
	s_nop 0
	;;#ASMSTART
	v_dot2_f32_f16 v45, v56, v52, v45
	;;#ASMEND
	s_nop 0
	;;#ASMSTART
	v_dot2_f32_f16 v45, v57, v53, v45
	;;#ASMEND
	ds_read_b128 v[46:49], v30 offset:208
	ds_read_b128 v[50:53], v27 offset:208
	ds_read_b128 v[54:57], v30 offset:8912
	s_waitcnt lgkmcnt(1)
	;;#ASMSTART
	v_dot2_f32_f16 v43, v46, v50, v43
	;;#ASMEND
	s_nop 0
	;;#ASMSTART
	v_dot2_f32_f16 v43, v47, v51, v43
	;;#ASMEND
	s_nop 0
	;;#ASMSTART
	v_dot2_f32_f16 v43, v48, v52, v43
	;;#ASMEND
	s_nop 0
	;;#ASMSTART
	v_dot2_f32_f16 v43, v49, v53, v43
	;;#ASMEND
	s_waitcnt lgkmcnt(0)
	;;#ASMSTART
	v_dot2_f32_f16 v45, v54, v50, v45
	;;#ASMEND
	s_nop 0
	;;#ASMSTART
	v_dot2_f32_f16 v45, v55, v51, v45
	;;#ASMEND
	s_nop 0
	;;#ASMSTART
	v_dot2_f32_f16 v45, v56, v52, v45
	;;#ASMEND
	s_nop 0
	;;#ASMSTART
	v_dot2_f32_f16 v45, v57, v53, v45
	;;#ASMEND
	ds_read_b128 v[46:49], v30 offset:224
	ds_read_b128 v[50:53], v27 offset:224
	ds_read_b128 v[54:57], v30 offset:8928
	s_waitcnt lgkmcnt(1)
	;;#ASMSTART
	v_dot2_f32_f16 v43, v46, v50, v43
	;;#ASMEND
	s_nop 0
	;;#ASMSTART
	v_dot2_f32_f16 v43, v47, v51, v43
	;;#ASMEND
	s_nop 0
	;;#ASMSTART
	v_dot2_f32_f16 v43, v48, v52, v43
	;;#ASMEND
	s_nop 0
	;;#ASMSTART
	v_dot2_f32_f16 v43, v49, v53, v43
	;;#ASMEND
	s_waitcnt lgkmcnt(0)
	;;#ASMSTART
	v_dot2_f32_f16 v45, v54, v50, v45
	;;#ASMEND
	s_nop 0
	;;#ASMSTART
	v_dot2_f32_f16 v45, v55, v51, v45
	;;#ASMEND
	s_nop 0
	;;#ASMSTART
	v_dot2_f32_f16 v45, v56, v52, v45
	;;#ASMEND
	s_nop 0
	;;#ASMSTART
	v_dot2_f32_f16 v45, v57, v53, v45
	;;#ASMEND
	ds_read_b128 v[46:49], v30 offset:240
	ds_read_b128 v[50:53], v27 offset:240
	ds_read_b128 v[54:57], v30 offset:8944
	s_waitcnt lgkmcnt(1)
	;;#ASMSTART
	v_dot2_f32_f16 v43, v46, v50, v43
	;;#ASMEND
	s_nop 0
	;;#ASMSTART
	v_dot2_f32_f16 v43, v47, v51, v43
	;;#ASMEND
	s_nop 0
	;;#ASMSTART
	v_dot2_f32_f16 v43, v48, v52, v43
	;;#ASMEND
	s_nop 0
	;;#ASMSTART
	v_dot2_f32_f16 v43, v49, v53, v43
	;;#ASMEND
	s_waitcnt lgkmcnt(0)
	;;#ASMSTART
	v_dot2_f32_f16 v45, v54, v50, v45
	;;#ASMEND
	s_nop 0
	;;#ASMSTART
	v_dot2_f32_f16 v45, v55, v51, v45
	;;#ASMEND
	v_cmp_nlt_f32_e64 s[6:7], |v43|, s21
	;;#ASMSTART
	v_dot2_f32_f16 v45, v56, v52, v45
	;;#ASMEND
	s_nop 0
	;;#ASMSTART
	v_dot2_f32_f16 v45, v57, v53, v45
	;;#ASMEND
	s_and_saveexec_b64 s[36:37], s[6:7]
	s_xor_b64 s[6:7], exec, s[36:37]
	s_cbranch_execz .LBB78_14
; %bb.13:                               ;   in Loop: Header=BB78_12 Depth=1
	v_add_f32_e64 v22, |v43|, |v43|
	v_mul_f32_e32 v23, 0x3fb8aa3b, v22
	v_rndne_f32_e32 v44, v23
	v_sub_f32_e32 v46, v23, v44
	v_fma_f32 v23, v22, s24, -v23
	v_fmac_f32_e32 v23, 0x32a5705f, v22
	v_add_f32_e32 v23, v46, v23
	v_cvt_i32_f32_e32 v44, v44
	v_exp_f32_e32 v23, v23
	v_cmp_ngt_f32_e32 vcc, s25, v22
	v_ldexp_f32 v23, v23, v44
	s_nop 0
	v_cndmask_b32_e32 v23, 0, v23, vcc
	v_cmp_nlt_f32_e32 vcc, s26, v22
	s_nop 1
	v_cndmask_b32_e32 v22, v38, v23, vcc
	v_add_f32_e32 v22, 1.0, v22
	v_rcp_f32_e32 v22, v22
	s_nop 0
	v_fma_f32 v44, v22, -2.0, 1.0
.LBB78_14:                              ;   in Loop: Header=BB78_12 Depth=1
	s_andn2_saveexec_b64 s[6:7], s[6:7]
; %bb.15:                               ;   in Loop: Header=BB78_12 Depth=1
	v_mul_f32_e32 v22, v43, v43
	v_fmamk_f32 v23, v22, 0xbbbac73d, v37
	v_fmaak_f32 v23, v22, v23, 0xbd5c1c4e
	v_fmaak_f32 v23, v22, v23, 0x3e088382
	;; [unrolled: 1-line block ×3, first 2 shown]
	v_mul_f32_e64 v23, |v43|, v23
	v_fma_f32 v44, v22, v23, |v43|
; %bb.16:                               ;   in Loop: Header=BB78_12 Depth=1
	s_or_b64 exec, exec, s[6:7]
	v_add_u32_e32 v22, s2, v12
	v_ashrrev_i32_e32 v23, 31, v22
	v_lshl_add_u64 v[22:23], v[22:23], 1, s[30:31]
	global_load_ushort v46, v[22:23], off
	v_cmp_nlt_f32_e64 s[6:7], |v45|, s21
                                        ; implicit-def: $vgpr47
	s_and_saveexec_b64 s[36:37], s[6:7]
	s_xor_b64 s[6:7], exec, s[36:37]
	s_cbranch_execz .LBB78_18
; %bb.17:                               ;   in Loop: Header=BB78_12 Depth=1
	v_add_f32_e64 v47, |v45|, |v45|
	v_mul_f32_e32 v48, 0x3fb8aa3b, v47
	v_rndne_f32_e32 v49, v48
	v_sub_f32_e32 v50, v48, v49
	v_fma_f32 v48, v47, s24, -v48
	v_fmac_f32_e32 v48, 0x32a5705f, v47
	v_add_f32_e32 v48, v50, v48
	v_cvt_i32_f32_e32 v49, v49
	v_exp_f32_e32 v48, v48
	v_cmp_ngt_f32_e32 vcc, s25, v47
	v_ldexp_f32 v48, v48, v49
	s_nop 0
	v_cndmask_b32_e32 v48, 0, v48, vcc
	v_cmp_nlt_f32_e32 vcc, s26, v47
	s_nop 1
	v_cndmask_b32_e32 v47, v38, v48, vcc
	v_add_f32_e32 v47, 1.0, v47
	v_rcp_f32_e32 v47, v47
	s_nop 0
	v_fma_f32 v47, v47, -2.0, 1.0
.LBB78_18:                              ;   in Loop: Header=BB78_12 Depth=1
	s_andn2_saveexec_b64 s[6:7], s[6:7]
; %bb.19:                               ;   in Loop: Header=BB78_12 Depth=1
	v_mul_f32_e32 v47, v45, v45
	v_fmamk_f32 v48, v47, 0xbbbac73d, v37
	v_fmaak_f32 v48, v47, v48, 0xbd5c1c4e
	v_fmaak_f32 v48, v47, v48, 0x3e088382
	;; [unrolled: 1-line block ×3, first 2 shown]
	v_mul_f32_e64 v48, |v45|, v48
	v_fma_f32 v47, v47, v48, |v45|
; %bb.20:                               ;   in Loop: Header=BB78_12 Depth=1
	s_or_b64 exec, exec, s[6:7]
	global_load_ushort v22, v[22:23], off offset:64
	v_and_b32_e32 v49, 0x60, v13
	v_bfi_b32 v48, s27, v44, v43
	v_xor_b32_e32 v43, 8, v13
	v_bfi_b32 v54, s27, v47, v45
	v_add_u32_e32 v45, 32, v49
	v_xor_b32_e32 v44, 16, v13
	v_cmp_lt_i32_e32 vcc, v43, v45
	s_waitcnt vmcnt(1)
	v_fma_mix_f32 v70, s10, v48, v46 op_sel_hi:[0,0,1]
	v_add_f32_e32 v55, 0x40051340, v70
	v_cndmask_b32_e32 v46, v13, v43, vcc
	v_cmp_lt_i32_e32 vcc, v44, v45
	s_mul_hi_i32 s7, s2, s11
	s_mul_i32 s6, s2, s11
	v_cndmask_b32_e32 v47, v13, v44, vcc
	v_lshlrev_b32_e32 v56, 2, v47
	s_lshl_b64 s[6:7], s[6:7], 2
	s_add_u32 s6, s8, s6
	s_addc_u32 s7, s9, s7
	v_lshlrev_b32_e32 v58, 2, v46
	v_lshl_add_u64 v[46:47], v[14:15], 2, s[6:7]
	v_lshl_add_u64 v[48:49], v[16:17], 2, s[6:7]
	v_lshl_add_u64 v[50:51], v[18:19], 2, s[6:7]
	v_lshl_add_u64 v[52:53], v[20:21], 2, s[6:7]
	v_lshl_add_u64 v[46:47], v[46:47], 0, v[0:1]
	s_barrier
	v_lshl_add_u64 v[48:49], v[48:49], 0, v[0:1]
	v_lshl_add_u64 v[66:67], v[50:51], 0, v[0:1]
	;; [unrolled: 1-line block ×3, first 2 shown]
	v_xor_b32_e32 v23, 4, v13
	v_cmp_lt_i32_e32 vcc, v23, v45
	s_waitcnt vmcnt(0)
	v_fma_mix_f32 v71, s10, v54, v22 op_sel_hi:[0,0,1]
	v_add_f32_e32 v22, 0x40051340, v71
	v_max3_f32 v22, v42, v55, v22
	ds_bpermute_b32 v59, v56, v22
	global_load_dwordx4 v[50:53], v[46:47], off
	global_load_dwordx4 v[54:57], v[48:49], off
	v_cndmask_b32_e32 v47, v13, v23, vcc
	v_lshlrev_b32_e32 v47, 2, v47
	s_waitcnt lgkmcnt(0)
	v_max_f32_e32 v46, v59, v59
	v_max_f32_e32 v22, v22, v46
	ds_bpermute_b32 v46, v58, v22
	global_load_dwordx4 v[58:61], v[66:67], off
	global_load_dwordx4 v[62:65], v[68:69], off
	s_waitcnt lgkmcnt(0)
	v_max_f32_e32 v46, v46, v46
	v_max_f32_e32 v22, v22, v46
	ds_bpermute_b32 v47, v47, v22
	v_xor_b32_e32 v46, 2, v13
	v_cmp_lt_i32_e32 vcc, v46, v45
	s_waitcnt lgkmcnt(0)
	v_max_f32_e32 v47, v47, v47
	v_cndmask_b32_e32 v48, v13, v46, vcc
	v_lshlrev_b32_e32 v48, 2, v48
	v_max_f32_e32 v22, v22, v47
	ds_bpermute_b32 v48, v48, v22
	v_xor_b32_e32 v47, 1, v13
	v_cmp_lt_i32_e32 vcc, v47, v45
	s_waitcnt lgkmcnt(0)
	v_max_f32_e32 v48, v48, v48
	v_cndmask_b32_e32 v49, v13, v47, vcc
	v_lshlrev_b32_e32 v49, 2, v49
	v_max_f32_e32 v22, v22, v48
	ds_bpermute_b32 v48, v49, v22
	s_waitcnt lgkmcnt(0)
	v_max_f32_e32 v48, v48, v48
	v_max_f32_e32 v22, v22, v48
	v_sub_f32_e32 v48, v70, v22
	v_sub_f32_e32 v49, v71, v22
	v_mul_f32_e32 v66, 0x3fb8aa3b, v48
	v_sub_f32_e32 v42, v42, v22
	v_mul_f32_e32 v67, 0x3fb8aa3b, v49
	v_fma_f32 v69, v48, s24, -v66
	v_rndne_f32_e32 v70, v66
	v_mul_f32_e32 v68, 0x3fb8aa3b, v42
	v_fma_f32 v71, v49, s24, -v67
	v_rndne_f32_e32 v72, v67
	v_fmac_f32_e32 v69, 0x32a5705f, v48
	v_sub_f32_e32 v66, v66, v70
	v_fma_f32 v73, v42, s24, -v68
	v_rndne_f32_e32 v74, v68
	v_fmac_f32_e32 v71, 0x32a5705f, v49
	v_sub_f32_e32 v67, v67, v72
	v_add_f32_e32 v66, v66, v69
	v_cvt_i32_f32_e32 v70, v70
	v_fmac_f32_e32 v73, 0x32a5705f, v42
	v_sub_f32_e32 v68, v68, v74
	v_add_f32_e32 v67, v67, v71
	v_exp_f32_e32 v66, v66
	v_cvt_i32_f32_e32 v72, v72
	v_add_f32_e32 v68, v68, v73
	v_exp_f32_e32 v67, v67
	v_cvt_i32_f32_e32 v74, v74
	v_exp_f32_e32 v68, v68
	v_ldexp_f32 v66, v66, v70
	v_cmp_ngt_f32_e32 vcc, s25, v48
	v_ldexp_f32 v67, v67, v72
	v_ldexp_f32 v68, v68, v74
	v_cndmask_b32_e32 v66, 0, v66, vcc
	v_cmp_ngt_f32_e32 vcc, s25, v49
	s_nop 1
	v_cndmask_b32_e32 v67, 0, v67, vcc
	v_cmp_ngt_f32_e32 vcc, s25, v42
	s_nop 1
	v_cndmask_b32_e32 v68, 0, v68, vcc
	v_cmp_nlt_f32_e32 vcc, s26, v48
	s_nop 1
	v_cndmask_b32_e32 v48, v38, v66, vcc
	v_cmp_nlt_f32_e32 vcc, s26, v49
	v_cvt_f16_f32_e32 v66, v48
	s_nop 0
	v_cndmask_b32_e32 v49, v38, v67, vcc
	v_cmp_nlt_f32_e32 vcc, s26, v42
	v_add_f32_e32 v48, v48, v49
	v_cvt_f16_f32_e32 v49, v49
	v_cndmask_b32_e32 v42, v38, v68, vcc
	v_cvt_f16_f32_e32 v67, v42
	v_fmac_f32_e32 v48, v41, v42
	ds_write_b16 v32, v66
	ds_write_b16 v32, v49 offset:64
	s_waitcnt vmcnt(3)
	ds_write_b128 v33, v[50:53]
	s_waitcnt vmcnt(2)
	ds_write_b128 v34, v[54:57]
	;; [unrolled: 2-line block ×4, first 2 shown]
	s_waitcnt lgkmcnt(0)
	v_mul_u32_u24_e32 v41, 0x10001, v67
	s_barrier
	ds_read2_b64 v[50:53], v26 offset1:32
	ds_read_b128 v[54:57], v31
	ds_read_b128 v[58:61], v31 offset:16
	ds_read_b128 v[62:65], v31 offset:32
	;; [unrolled: 1-line block ×3, first 2 shown]
	ds_read2_b64 v[70:73], v26 offset0:64 offset1:96
	s_waitcnt lgkmcnt(4)
	v_mul_u32_u24_sdwa v42, v54, s34 dst_sel:DWORD dst_unused:UNUSED_PAD src0_sel:WORD_0 src1_sel:DWORD
	v_pk_mul_f16 v49, v50, v42
	ds_read2_b64 v[74:77], v26 offset0:128 offset1:160
	v_pk_mul_f16 v42, v51, v42
	v_pk_fma_f16 v40, v40, v41, v49
	v_pk_fma_f16 v39, v39, v41, v42
	v_mul_u32_u24_sdwa v41, v54, s34 dst_sel:DWORD dst_unused:UNUSED_PAD src0_sel:WORD_1 src1_sel:DWORD
	v_mul_u32_u24_sdwa v42, v55, s34 dst_sel:DWORD dst_unused:UNUSED_PAD src0_sel:WORD_0 src1_sel:DWORD
	v_pk_fma_f16 v40, v52, v41, v40
	v_pk_fma_f16 v39, v53, v41, v39
	ds_read2_b64 v[50:53], v26 offset0:192 offset1:224
	v_mul_u32_u24_sdwa v41, v55, s34 dst_sel:DWORD dst_unused:UNUSED_PAD src0_sel:WORD_1 src1_sel:DWORD
	s_waitcnt lgkmcnt(2)
	v_pk_fma_f16 v40, v70, v42, v40
	v_pk_fma_f16 v39, v71, v42, v39
	v_mul_u32_u24_sdwa v49, v56, s34 dst_sel:DWORD dst_unused:UNUSED_PAD src0_sel:WORD_0 src1_sel:DWORD
	v_pk_fma_f16 v40, v72, v41, v40
	v_pk_fma_f16 v39, v73, v41, v39
	s_waitcnt lgkmcnt(1)
	v_pk_fma_f16 v40, v74, v49, v40
	v_pk_fma_f16 v39, v75, v49, v39
	v_mul_u32_u24_sdwa v41, v56, s34 dst_sel:DWORD dst_unused:UNUSED_PAD src0_sel:WORD_1 src1_sel:DWORD
	v_pk_fma_f16 v40, v76, v41, v40
	v_pk_fma_f16 v39, v77, v41, v39
	v_mul_u32_u24_sdwa v41, v57, s34 dst_sel:DWORD dst_unused:UNUSED_PAD src0_sel:WORD_0 src1_sel:DWORD
	s_waitcnt lgkmcnt(0)
	v_pk_fma_f16 v40, v50, v41, v40
	v_pk_fma_f16 v39, v51, v41, v39
	v_add_u32_e32 v41, 0x800, v26
	ds_read2_b64 v[70:73], v41 offset1:32
	v_mul_u32_u24_sdwa v42, v57, s34 dst_sel:DWORD dst_unused:UNUSED_PAD src0_sel:WORD_1 src1_sel:DWORD
	v_pk_fma_f16 v40, v52, v42, v40
	v_pk_fma_f16 v39, v53, v42, v39
	ds_read2_b64 v[50:53], v41 offset0:64 offset1:96
	v_mul_u32_u24_sdwa v42, v58, s34 dst_sel:DWORD dst_unused:UNUSED_PAD src0_sel:WORD_0 src1_sel:DWORD
	s_waitcnt lgkmcnt(1)
	v_pk_fma_f16 v40, v70, v42, v40
	v_pk_fma_f16 v39, v71, v42, v39
	v_mul_u32_u24_sdwa v42, v58, s34 dst_sel:DWORD dst_unused:UNUSED_PAD src0_sel:WORD_1 src1_sel:DWORD
	v_pk_fma_f16 v40, v72, v42, v40
	v_pk_fma_f16 v39, v73, v42, v39
	v_mul_u32_u24_sdwa v42, v59, s34 dst_sel:DWORD dst_unused:UNUSED_PAD src0_sel:WORD_0 src1_sel:DWORD
	ds_read2_b64 v[54:57], v41 offset0:128 offset1:160
	s_waitcnt lgkmcnt(1)
	v_pk_fma_f16 v40, v50, v42, v40
	v_pk_fma_f16 v39, v51, v42, v39
	v_mul_u32_u24_sdwa v42, v59, s34 dst_sel:DWORD dst_unused:UNUSED_PAD src0_sel:WORD_1 src1_sel:DWORD
	v_pk_fma_f16 v40, v52, v42, v40
	v_pk_fma_f16 v39, v53, v42, v39
	ds_read2_b64 v[50:53], v41 offset0:192 offset1:224
	v_mul_u32_u24_sdwa v42, v60, s34 dst_sel:DWORD dst_unused:UNUSED_PAD src0_sel:WORD_0 src1_sel:DWORD
	s_waitcnt lgkmcnt(1)
	v_pk_fma_f16 v40, v54, v42, v40
	v_pk_fma_f16 v39, v55, v42, v39
	v_mul_u32_u24_sdwa v41, v60, s34 dst_sel:DWORD dst_unused:UNUSED_PAD src0_sel:WORD_1 src1_sel:DWORD
	v_pk_fma_f16 v40, v56, v41, v40
	v_pk_fma_f16 v39, v57, v41, v39
	v_mul_u32_u24_sdwa v41, v61, s34 dst_sel:DWORD dst_unused:UNUSED_PAD src0_sel:WORD_0 src1_sel:DWORD
	s_waitcnt lgkmcnt(0)
	v_pk_fma_f16 v40, v50, v41, v40
	v_pk_fma_f16 v39, v51, v41, v39
	v_add_u32_e32 v41, 0x1000, v26
	ds_read2_b64 v[54:57], v41 offset1:32
	v_mul_u32_u24_sdwa v42, v61, s34 dst_sel:DWORD dst_unused:UNUSED_PAD src0_sel:WORD_1 src1_sel:DWORD
	v_pk_fma_f16 v40, v52, v42, v40
	v_pk_fma_f16 v39, v53, v42, v39
	ds_read2_b64 v[50:53], v41 offset0:64 offset1:96
	v_mul_u32_u24_sdwa v42, v62, s34 dst_sel:DWORD dst_unused:UNUSED_PAD src0_sel:WORD_0 src1_sel:DWORD
	s_waitcnt lgkmcnt(1)
	v_pk_fma_f16 v40, v54, v42, v40
	v_pk_fma_f16 v39, v55, v42, v39
	v_mul_u32_u24_sdwa v42, v62, s34 dst_sel:DWORD dst_unused:UNUSED_PAD src0_sel:WORD_1 src1_sel:DWORD
	v_pk_fma_f16 v40, v56, v42, v40
	v_pk_fma_f16 v39, v57, v42, v39
	v_mul_u32_u24_sdwa v42, v63, s34 dst_sel:DWORD dst_unused:UNUSED_PAD src0_sel:WORD_0 src1_sel:DWORD
	ds_read2_b64 v[54:57], v41 offset0:128 offset1:160
	s_waitcnt lgkmcnt(1)
	v_pk_fma_f16 v40, v50, v42, v40
	v_pk_fma_f16 v39, v51, v42, v39
	v_mul_u32_u24_sdwa v42, v63, s34 dst_sel:DWORD dst_unused:UNUSED_PAD src0_sel:WORD_1 src1_sel:DWORD
	v_pk_fma_f16 v40, v52, v42, v40
	v_pk_fma_f16 v39, v53, v42, v39
	ds_read2_b64 v[50:53], v41 offset0:192 offset1:224
	v_mul_u32_u24_sdwa v42, v64, s34 dst_sel:DWORD dst_unused:UNUSED_PAD src0_sel:WORD_0 src1_sel:DWORD
	s_waitcnt lgkmcnt(1)
	v_pk_fma_f16 v40, v54, v42, v40
	v_pk_fma_f16 v39, v55, v42, v39
	v_mul_u32_u24_sdwa v41, v64, s34 dst_sel:DWORD dst_unused:UNUSED_PAD src0_sel:WORD_1 src1_sel:DWORD
	v_pk_fma_f16 v40, v56, v41, v40
	v_pk_fma_f16 v39, v57, v41, v39
	v_mul_u32_u24_sdwa v41, v65, s34 dst_sel:DWORD dst_unused:UNUSED_PAD src0_sel:WORD_0 src1_sel:DWORD
	s_waitcnt lgkmcnt(0)
	v_pk_fma_f16 v40, v50, v41, v40
	v_pk_fma_f16 v39, v51, v41, v39
	v_add_u32_e32 v41, 0x1800, v26
	ds_read2_b64 v[54:57], v41 offset1:32
	v_mul_u32_u24_sdwa v42, v65, s34 dst_sel:DWORD dst_unused:UNUSED_PAD src0_sel:WORD_1 src1_sel:DWORD
	v_pk_fma_f16 v40, v52, v42, v40
	v_pk_fma_f16 v39, v53, v42, v39
	v_mul_u32_u24_sdwa v42, v66, s34 dst_sel:DWORD dst_unused:UNUSED_PAD src0_sel:WORD_0 src1_sel:DWORD
	ds_read2_b64 v[50:53], v41 offset0:64 offset1:96
	s_waitcnt lgkmcnt(1)
	v_pk_fma_f16 v40, v54, v42, v40
	v_pk_fma_f16 v39, v55, v42, v39
	v_mul_u32_u24_sdwa v42, v66, s34 dst_sel:DWORD dst_unused:UNUSED_PAD src0_sel:WORD_1 src1_sel:DWORD
	v_pk_fma_f16 v40, v56, v42, v40
	v_pk_fma_f16 v39, v57, v42, v39
	ds_read2_b64 v[54:57], v41 offset0:128 offset1:160
	v_mul_u32_u24_sdwa v42, v67, s34 dst_sel:DWORD dst_unused:UNUSED_PAD src0_sel:WORD_0 src1_sel:DWORD
	s_waitcnt lgkmcnt(1)
	v_pk_fma_f16 v40, v50, v42, v40
	v_pk_fma_f16 v39, v51, v42, v39
	v_mul_u32_u24_sdwa v42, v67, s34 dst_sel:DWORD dst_unused:UNUSED_PAD src0_sel:WORD_1 src1_sel:DWORD
	v_pk_fma_f16 v40, v52, v42, v40
	v_pk_fma_f16 v39, v53, v42, v39
	v_mul_u32_u24_sdwa v42, v68, s34 dst_sel:DWORD dst_unused:UNUSED_PAD src0_sel:WORD_0 src1_sel:DWORD
	ds_read2_b64 v[50:53], v41 offset0:192 offset1:224
	s_waitcnt lgkmcnt(1)
	v_pk_fma_f16 v40, v54, v42, v40
	v_pk_fma_f16 v39, v55, v42, v39
	v_mul_u32_u24_sdwa v41, v68, s34 dst_sel:DWORD dst_unused:UNUSED_PAD src0_sel:WORD_1 src1_sel:DWORD
	v_pk_fma_f16 v40, v56, v41, v40
	v_pk_fma_f16 v39, v57, v41, v39
	v_add_u32_e32 v42, 0x2000, v26
	ds_read_b128 v[54:57], v31 offset:64
	ds_read2_b64 v[58:61], v42 offset1:32
	v_mul_u32_u24_sdwa v41, v69, s34 dst_sel:DWORD dst_unused:UNUSED_PAD src0_sel:WORD_0 src1_sel:DWORD
	ds_read2_b64 v[62:65], v42 offset0:64 offset1:96
	s_waitcnt lgkmcnt(3)
	v_pk_fma_f16 v40, v50, v41, v40
	v_pk_fma_f16 v39, v51, v41, v39
	v_mul_u32_u24_sdwa v41, v69, s34 dst_sel:DWORD dst_unused:UNUSED_PAD src0_sel:WORD_1 src1_sel:DWORD
	v_pk_fma_f16 v40, v52, v41, v40
	v_pk_fma_f16 v39, v53, v41, v39
	s_waitcnt lgkmcnt(2)
	v_mul_u32_u24_sdwa v41, v54, s34 dst_sel:DWORD dst_unused:UNUSED_PAD src0_sel:WORD_0 src1_sel:DWORD
	s_waitcnt lgkmcnt(1)
	v_pk_fma_f16 v40, v58, v41, v40
	v_pk_fma_f16 v39, v59, v41, v39
	v_mul_u32_u24_sdwa v41, v54, s34 dst_sel:DWORD dst_unused:UNUSED_PAD src0_sel:WORD_1 src1_sel:DWORD
	v_pk_fma_f16 v40, v60, v41, v40
	v_pk_fma_f16 v39, v61, v41, v39
	v_mul_u32_u24_sdwa v41, v55, s34 dst_sel:DWORD dst_unused:UNUSED_PAD src0_sel:WORD_0 src1_sel:DWORD
	ds_read2_b64 v[58:61], v42 offset0:128 offset1:160
	s_waitcnt lgkmcnt(1)
	v_pk_fma_f16 v40, v62, v41, v40
	v_pk_fma_f16 v39, v63, v41, v39
	v_mul_u32_u24_sdwa v41, v55, s34 dst_sel:DWORD dst_unused:UNUSED_PAD src0_sel:WORD_1 src1_sel:DWORD
	v_pk_fma_f16 v40, v64, v41, v40
	v_pk_fma_f16 v39, v65, v41, v39
	ds_read2_b64 v[62:65], v42 offset0:192 offset1:224
	v_mul_u32_u24_sdwa v41, v56, s34 dst_sel:DWORD dst_unused:UNUSED_PAD src0_sel:WORD_0 src1_sel:DWORD
	s_waitcnt lgkmcnt(1)
	v_pk_fma_f16 v40, v58, v41, v40
	v_pk_fma_f16 v39, v59, v41, v39
	v_mul_u32_u24_sdwa v41, v56, s34 dst_sel:DWORD dst_unused:UNUSED_PAD src0_sel:WORD_1 src1_sel:DWORD
	v_pk_fma_f16 v40, v60, v41, v40
	v_pk_fma_f16 v39, v61, v41, v39
	v_mul_u32_u24_sdwa v41, v57, s34 dst_sel:DWORD dst_unused:UNUSED_PAD src0_sel:WORD_0 src1_sel:DWORD
	ds_read_b128 v[50:53], v31 offset:80
	s_waitcnt lgkmcnt(1)
	v_pk_fma_f16 v40, v62, v41, v40
	v_pk_fma_f16 v39, v63, v41, v39
	v_add_u32_e32 v41, 0x2800, v26
	ds_read2_b64 v[58:61], v41 offset1:32
	v_mul_u32_u24_sdwa v42, v57, s34 dst_sel:DWORD dst_unused:UNUSED_PAD src0_sel:WORD_1 src1_sel:DWORD
	ds_read2_b64 v[54:57], v41 offset0:64 offset1:96
	v_pk_fma_f16 v40, v64, v42, v40
	v_pk_fma_f16 v39, v65, v42, v39
	s_waitcnt lgkmcnt(2)
	v_mul_u32_u24_sdwa v42, v50, s34 dst_sel:DWORD dst_unused:UNUSED_PAD src0_sel:WORD_0 src1_sel:DWORD
	s_waitcnt lgkmcnt(1)
	v_pk_fma_f16 v40, v58, v42, v40
	v_pk_fma_f16 v39, v59, v42, v39
	v_mul_u32_u24_sdwa v42, v50, s34 dst_sel:DWORD dst_unused:UNUSED_PAD src0_sel:WORD_1 src1_sel:DWORD
	v_pk_fma_f16 v40, v60, v42, v40
	v_pk_fma_f16 v39, v61, v42, v39
	v_mul_u32_u24_sdwa v42, v51, s34 dst_sel:DWORD dst_unused:UNUSED_PAD src0_sel:WORD_0 src1_sel:DWORD
	ds_read2_b64 v[58:61], v41 offset0:128 offset1:160
	s_waitcnt lgkmcnt(1)
	v_pk_fma_f16 v40, v54, v42, v40
	v_pk_fma_f16 v39, v55, v42, v39
	v_mul_u32_u24_sdwa v42, v51, s34 dst_sel:DWORD dst_unused:UNUSED_PAD src0_sel:WORD_1 src1_sel:DWORD
	v_pk_fma_f16 v40, v56, v42, v40
	v_pk_fma_f16 v39, v57, v42, v39
	ds_read2_b64 v[54:57], v41 offset0:192 offset1:224
	v_mul_u32_u24_sdwa v42, v52, s34 dst_sel:DWORD dst_unused:UNUSED_PAD src0_sel:WORD_0 src1_sel:DWORD
	s_waitcnt lgkmcnt(1)
	v_pk_fma_f16 v40, v58, v42, v40
	v_pk_fma_f16 v39, v59, v42, v39
	v_mul_u32_u24_sdwa v41, v52, s34 dst_sel:DWORD dst_unused:UNUSED_PAD src0_sel:WORD_1 src1_sel:DWORD
	v_pk_fma_f16 v40, v60, v41, v40
	v_pk_fma_f16 v39, v61, v41, v39
	v_mul_u32_u24_sdwa v41, v53, s34 dst_sel:DWORD dst_unused:UNUSED_PAD src0_sel:WORD_0 src1_sel:DWORD
	s_waitcnt lgkmcnt(0)
	v_pk_fma_f16 v40, v54, v41, v40
	v_pk_fma_f16 v39, v55, v41, v39
	v_mul_u32_u24_sdwa v41, v53, s34 dst_sel:DWORD dst_unused:UNUSED_PAD src0_sel:WORD_1 src1_sel:DWORD
	v_add_u32_e32 v42, 0x3000, v26
	ds_read_b128 v[50:53], v31 offset:96
	ds_read2_b64 v[58:61], v42 offset1:32
	ds_read2_b64 v[62:65], v42 offset0:64 offset1:96
	v_pk_fma_f16 v40, v56, v41, v40
	v_pk_fma_f16 v39, v57, v41, v39
	s_waitcnt lgkmcnt(2)
	v_mul_u32_u24_sdwa v41, v50, s34 dst_sel:DWORD dst_unused:UNUSED_PAD src0_sel:WORD_0 src1_sel:DWORD
	s_waitcnt lgkmcnt(1)
	v_pk_fma_f16 v40, v58, v41, v40
	v_pk_fma_f16 v39, v59, v41, v39
	v_mul_u32_u24_sdwa v41, v50, s34 dst_sel:DWORD dst_unused:UNUSED_PAD src0_sel:WORD_1 src1_sel:DWORD
	v_pk_fma_f16 v40, v60, v41, v40
	v_pk_fma_f16 v39, v61, v41, v39
	v_mul_u32_u24_sdwa v41, v51, s34 dst_sel:DWORD dst_unused:UNUSED_PAD src0_sel:WORD_0 src1_sel:DWORD
	ds_read2_b64 v[58:61], v42 offset0:128 offset1:160
	s_waitcnt lgkmcnt(1)
	v_pk_fma_f16 v40, v62, v41, v40
	v_pk_fma_f16 v39, v63, v41, v39
	v_mul_u32_u24_sdwa v41, v51, s34 dst_sel:DWORD dst_unused:UNUSED_PAD src0_sel:WORD_1 src1_sel:DWORD
	v_pk_fma_f16 v40, v64, v41, v40
	v_pk_fma_f16 v39, v65, v41, v39
	ds_read2_b64 v[62:65], v42 offset0:192 offset1:224
	v_mul_u32_u24_sdwa v41, v52, s34 dst_sel:DWORD dst_unused:UNUSED_PAD src0_sel:WORD_0 src1_sel:DWORD
	s_waitcnt lgkmcnt(1)
	v_pk_fma_f16 v40, v58, v41, v40
	v_pk_fma_f16 v39, v59, v41, v39
	v_mul_u32_u24_sdwa v41, v52, s34 dst_sel:DWORD dst_unused:UNUSED_PAD src0_sel:WORD_1 src1_sel:DWORD
	v_pk_fma_f16 v40, v60, v41, v40
	v_pk_fma_f16 v39, v61, v41, v39
	v_mul_u32_u24_sdwa v41, v53, s34 dst_sel:DWORD dst_unused:UNUSED_PAD src0_sel:WORD_0 src1_sel:DWORD
	ds_read_b128 v[54:57], v31 offset:112
	s_waitcnt lgkmcnt(1)
	v_pk_fma_f16 v40, v62, v41, v40
	v_pk_fma_f16 v39, v63, v41, v39
	v_add_u32_e32 v41, 0x3800, v26
	ds_read2_b64 v[58:61], v41 offset1:32
	v_mul_u32_u24_sdwa v42, v53, s34 dst_sel:DWORD dst_unused:UNUSED_PAD src0_sel:WORD_1 src1_sel:DWORD
	ds_read2_b64 v[50:53], v41 offset0:64 offset1:96
	v_pk_fma_f16 v40, v64, v42, v40
	v_pk_fma_f16 v39, v65, v42, v39
	s_waitcnt lgkmcnt(2)
	v_mul_u32_u24_sdwa v42, v54, s34 dst_sel:DWORD dst_unused:UNUSED_PAD src0_sel:WORD_0 src1_sel:DWORD
	s_waitcnt lgkmcnt(1)
	v_pk_fma_f16 v40, v58, v42, v40
	v_pk_fma_f16 v39, v59, v42, v39
	v_mul_u32_u24_sdwa v42, v54, s34 dst_sel:DWORD dst_unused:UNUSED_PAD src0_sel:WORD_1 src1_sel:DWORD
	v_pk_fma_f16 v40, v60, v42, v40
	v_pk_fma_f16 v39, v61, v42, v39
	v_mul_u32_u24_sdwa v42, v55, s34 dst_sel:DWORD dst_unused:UNUSED_PAD src0_sel:WORD_0 src1_sel:DWORD
	s_waitcnt lgkmcnt(0)
	v_pk_fma_f16 v40, v50, v42, v40
	v_pk_fma_f16 v39, v51, v42, v39
	ds_read2_b64 v[58:61], v41 offset0:128 offset1:160
	v_mul_u32_u24_sdwa v42, v55, s34 dst_sel:DWORD dst_unused:UNUSED_PAD src0_sel:WORD_1 src1_sel:DWORD
	v_pk_fma_f16 v40, v52, v42, v40
	v_pk_fma_f16 v39, v53, v42, v39
	ds_read2_b64 v[50:53], v41 offset0:192 offset1:224
	s_waitcnt lgkmcnt(0)
	s_barrier
	s_load_dword s6, s[4:5], 0x4
	v_mul_u32_u24_sdwa v42, v56, s34 dst_sel:DWORD dst_unused:UNUSED_PAD src0_sel:WORD_0 src1_sel:DWORD
	v_pk_fma_f16 v40, v58, v42, v40
	v_pk_fma_f16 v39, v59, v42, v39
	v_mul_u32_u24_sdwa v42, v56, s34 dst_sel:DWORD dst_unused:UNUSED_PAD src0_sel:WORD_1 src1_sel:DWORD
	v_pk_fma_f16 v40, v60, v42, v40
	v_pk_fma_f16 v39, v61, v42, v39
	v_mul_u32_u24_sdwa v41, v57, s34 dst_sel:DWORD dst_unused:UNUSED_PAD src0_sel:WORD_0 src1_sel:DWORD
	s_waitcnt lgkmcnt(0)
	s_lshl_b32 s6, s6, 6
	v_pk_fma_f16 v40, v50, v41, v40
	v_pk_fma_f16 v39, v51, v41, v39
	v_mul_u32_u24_sdwa v41, v57, s34 dst_sel:DWORD dst_unused:UNUSED_PAD src0_sel:WORD_1 src1_sel:DWORD
	s_add_i32 s2, s6, s2
	v_pk_fma_f16 v40, v52, v41, v40
	s_cmp_ge_i32 s2, s28
	v_pk_fma_f16 v39, v53, v41, v39
	s_cbranch_scc1 .LBB78_7
; %bb.21:                               ;   in Loop: Header=BB78_12 Depth=1
	v_mov_b32_e32 v42, v22
	v_mov_b32_e32 v41, v48
	s_branch .LBB78_12
.LBB78_22:
	v_mov_b32_e32 v1, v23
	v_cmp_gt_i32_e32 vcc, s22, v24
	s_and_saveexec_b64 s[4:5], vcc
	s_cbranch_execz .LBB78_9
.LBB78_23:
	s_load_dword s2, s[0:1], 0xd4
	v_div_scale_f32 v0, s[0:1], v1, v1, 1.0
	v_rcp_f32_e32 v6, v0
	s_mul_i32 s33, s33, s22
	s_waitcnt lgkmcnt(0)
	s_cmp_lg_u32 s2, 1
	s_cselect_b64 s[0:1], -1, 0
	v_fma_f32 v7, -v0, v6, 1.0
	v_fmac_f32_e32 v6, v7, v6
	v_div_scale_f32 v7, vcc, 1.0, v1, 1.0
	v_mul_f32_e32 v8, v7, v6
	v_fma_f32 v9, -v0, v8, v7
	v_fmac_f32_e32 v8, v9, v6
	v_fma_f32 v0, -v0, v8, v7
	v_div_fmas_f32 v0, v0, v6, v8
	v_div_fixup_f32 v0, v0, v1, 1.0
	v_cndmask_b32_e64 v6, v0, 1.0, s[0:1]
	v_add_u32_e32 v0, s33, v24
	v_mul_lo_u32 v0, v0, s23
	v_add3_u32 v0, s29, v3, v0
	v_mul_lo_u32 v0, s2, v0
	v_add_u32_e32 v0, s3, v0
	v_mov_b32_e32 v4, s16
	v_mov_b32_e32 v5, s17
	v_lshl_add_u32 v8, v0, 7, v25
	v_mov_b32_e32 v9, 0
	v_lshl_add_u64 v[8:9], v[8:9], 2, v[4:5]
	v_cvt_f32_f16_sdwa v5, v40 dst_sel:DWORD dst_unused:UNUSED_PAD src0_sel:WORD_1
	v_cvt_f32_f16_e32 v4, v40
	v_cvt_f32_f16_sdwa v11, v39 dst_sel:DWORD dst_unused:UNUSED_PAD src0_sel:WORD_1
	v_cvt_f32_f16_e32 v10, v39
	v_cmp_eq_u32_e32 vcc, 0, v2
	s_and_b64 s[0:1], vcc, s[0:1]
	v_pk_mul_f32 v[2:3], v[6:7], v[4:5] op_sel_hi:[0,1]
	v_pk_mul_f32 v[4:5], v[6:7], v[10:11] op_sel_hi:[0,1]
	global_store_dwordx4 v[8:9], v[2:5], off
	s_and_b64 exec, exec, s[0:1]
	s_cbranch_execz .LBB78_9
; %bb.24:
	v_mov_b32_e32 v2, s18
	v_mov_b32_e32 v3, s19
	v_ashrrev_i32_e32 v1, 31, v0
	v_lshl_add_u64 v[0:1], v[0:1], 3, v[2:3]
	global_store_dwordx2 v[0:1], v[22:23], off
	s_endpgm
	.section	.rodata,"a",@progbits
	.p2align	6, 0x0
	.amdhsa_kernel _ZL15flash_attn_tileILi128ELi128ELi2ELi4ELb1EEvPKcS1_S1_S1_S1_PKiPfP15HIP_vector_typeIfLj2EEffffjfiS5_IjLj3EEiiiiiiiiiiiliiliiiiil
		.amdhsa_group_segment_fixed_size 20480
		.amdhsa_private_segment_fixed_size 0
		.amdhsa_kernarg_size 464
		.amdhsa_user_sgpr_count 2
		.amdhsa_user_sgpr_dispatch_ptr 0
		.amdhsa_user_sgpr_queue_ptr 0
		.amdhsa_user_sgpr_kernarg_segment_ptr 1
		.amdhsa_user_sgpr_dispatch_id 0
		.amdhsa_user_sgpr_kernarg_preload_length 0
		.amdhsa_user_sgpr_kernarg_preload_offset 0
		.amdhsa_user_sgpr_private_segment_size 0
		.amdhsa_uses_dynamic_stack 0
		.amdhsa_enable_private_segment 0
		.amdhsa_system_sgpr_workgroup_id_x 1
		.amdhsa_system_sgpr_workgroup_id_y 1
		.amdhsa_system_sgpr_workgroup_id_z 1
		.amdhsa_system_sgpr_workgroup_info 0
		.amdhsa_system_vgpr_workitem_id 1
		.amdhsa_next_free_vgpr 78
		.amdhsa_next_free_sgpr 40
		.amdhsa_accum_offset 80
		.amdhsa_reserve_vcc 1
		.amdhsa_float_round_mode_32 0
		.amdhsa_float_round_mode_16_64 0
		.amdhsa_float_denorm_mode_32 3
		.amdhsa_float_denorm_mode_16_64 3
		.amdhsa_dx10_clamp 1
		.amdhsa_ieee_mode 1
		.amdhsa_fp16_overflow 0
		.amdhsa_tg_split 0
		.amdhsa_exception_fp_ieee_invalid_op 0
		.amdhsa_exception_fp_denorm_src 0
		.amdhsa_exception_fp_ieee_div_zero 0
		.amdhsa_exception_fp_ieee_overflow 0
		.amdhsa_exception_fp_ieee_underflow 0
		.amdhsa_exception_fp_ieee_inexact 0
		.amdhsa_exception_int_div_zero 0
	.end_amdhsa_kernel
	.section	.text._ZL15flash_attn_tileILi128ELi128ELi2ELi4ELb1EEvPKcS1_S1_S1_S1_PKiPfP15HIP_vector_typeIfLj2EEffffjfiS5_IjLj3EEiiiiiiiiiiiliiliiiiil,"axG",@progbits,_ZL15flash_attn_tileILi128ELi128ELi2ELi4ELb1EEvPKcS1_S1_S1_S1_PKiPfP15HIP_vector_typeIfLj2EEffffjfiS5_IjLj3EEiiiiiiiiiiiliiliiiiil,comdat
.Lfunc_end78:
	.size	_ZL15flash_attn_tileILi128ELi128ELi2ELi4ELb1EEvPKcS1_S1_S1_S1_PKiPfP15HIP_vector_typeIfLj2EEffffjfiS5_IjLj3EEiiiiiiiiiiiliiliiiiil, .Lfunc_end78-_ZL15flash_attn_tileILi128ELi128ELi2ELi4ELb1EEvPKcS1_S1_S1_S1_PKiPfP15HIP_vector_typeIfLj2EEffffjfiS5_IjLj3EEiiiiiiiiiiiliiliiiiil
                                        ; -- End function
	.set _ZL15flash_attn_tileILi128ELi128ELi2ELi4ELb1EEvPKcS1_S1_S1_S1_PKiPfP15HIP_vector_typeIfLj2EEffffjfiS5_IjLj3EEiiiiiiiiiiiliiliiiiil.num_vgpr, 78
	.set _ZL15flash_attn_tileILi128ELi128ELi2ELi4ELb1EEvPKcS1_S1_S1_S1_PKiPfP15HIP_vector_typeIfLj2EEffffjfiS5_IjLj3EEiiiiiiiiiiiliiliiiiil.num_agpr, 0
	.set _ZL15flash_attn_tileILi128ELi128ELi2ELi4ELb1EEvPKcS1_S1_S1_S1_PKiPfP15HIP_vector_typeIfLj2EEffffjfiS5_IjLj3EEiiiiiiiiiiiliiliiiiil.numbered_sgpr, 40
	.set _ZL15flash_attn_tileILi128ELi128ELi2ELi4ELb1EEvPKcS1_S1_S1_S1_PKiPfP15HIP_vector_typeIfLj2EEffffjfiS5_IjLj3EEiiiiiiiiiiiliiliiiiil.num_named_barrier, 0
	.set _ZL15flash_attn_tileILi128ELi128ELi2ELi4ELb1EEvPKcS1_S1_S1_S1_PKiPfP15HIP_vector_typeIfLj2EEffffjfiS5_IjLj3EEiiiiiiiiiiiliiliiiiil.private_seg_size, 0
	.set _ZL15flash_attn_tileILi128ELi128ELi2ELi4ELb1EEvPKcS1_S1_S1_S1_PKiPfP15HIP_vector_typeIfLj2EEffffjfiS5_IjLj3EEiiiiiiiiiiiliiliiiiil.uses_vcc, 1
	.set _ZL15flash_attn_tileILi128ELi128ELi2ELi4ELb1EEvPKcS1_S1_S1_S1_PKiPfP15HIP_vector_typeIfLj2EEffffjfiS5_IjLj3EEiiiiiiiiiiiliiliiiiil.uses_flat_scratch, 0
	.set _ZL15flash_attn_tileILi128ELi128ELi2ELi4ELb1EEvPKcS1_S1_S1_S1_PKiPfP15HIP_vector_typeIfLj2EEffffjfiS5_IjLj3EEiiiiiiiiiiiliiliiiiil.has_dyn_sized_stack, 0
	.set _ZL15flash_attn_tileILi128ELi128ELi2ELi4ELb1EEvPKcS1_S1_S1_S1_PKiPfP15HIP_vector_typeIfLj2EEffffjfiS5_IjLj3EEiiiiiiiiiiiliiliiiiil.has_recursion, 0
	.set _ZL15flash_attn_tileILi128ELi128ELi2ELi4ELb1EEvPKcS1_S1_S1_S1_PKiPfP15HIP_vector_typeIfLj2EEffffjfiS5_IjLj3EEiiiiiiiiiiiliiliiiiil.has_indirect_call, 0
	.section	.AMDGPU.csdata,"",@progbits
; Kernel info:
; codeLenInByte = 8588
; TotalNumSgprs: 46
; NumVgprs: 78
; NumAgprs: 0
; TotalNumVgprs: 78
; ScratchSize: 0
; MemoryBound: 0
; FloatMode: 240
; IeeeMode: 1
; LDSByteSize: 20480 bytes/workgroup (compile time only)
; SGPRBlocks: 5
; VGPRBlocks: 9
; NumSGPRsForWavesPerEU: 46
; NumVGPRsForWavesPerEU: 78
; AccumOffset: 80
; Occupancy: 6
; WaveLimiterHint : 1
; COMPUTE_PGM_RSRC2:SCRATCH_EN: 0
; COMPUTE_PGM_RSRC2:USER_SGPR: 2
; COMPUTE_PGM_RSRC2:TRAP_HANDLER: 0
; COMPUTE_PGM_RSRC2:TGID_X_EN: 1
; COMPUTE_PGM_RSRC2:TGID_Y_EN: 1
; COMPUTE_PGM_RSRC2:TGID_Z_EN: 1
; COMPUTE_PGM_RSRC2:TIDIG_COMP_CNT: 1
; COMPUTE_PGM_RSRC3_GFX90A:ACCUM_OFFSET: 19
; COMPUTE_PGM_RSRC3_GFX90A:TG_SPLIT: 0
	.section	.text._ZL15flash_attn_tileILi128ELi128ELi1ELi4ELb1EEvPKcS1_S1_S1_S1_PKiPfP15HIP_vector_typeIfLj2EEffffjfiS5_IjLj3EEiiiiiiiiiiiliiliiiiil,"axG",@progbits,_ZL15flash_attn_tileILi128ELi128ELi1ELi4ELb1EEvPKcS1_S1_S1_S1_PKiPfP15HIP_vector_typeIfLj2EEffffjfiS5_IjLj3EEiiiiiiiiiiiliiliiiiil,comdat
	.globl	_ZL15flash_attn_tileILi128ELi128ELi1ELi4ELb1EEvPKcS1_S1_S1_S1_PKiPfP15HIP_vector_typeIfLj2EEffffjfiS5_IjLj3EEiiiiiiiiiiiliiliiiiil ; -- Begin function _ZL15flash_attn_tileILi128ELi128ELi1ELi4ELb1EEvPKcS1_S1_S1_S1_PKiPfP15HIP_vector_typeIfLj2EEffffjfiS5_IjLj3EEiiiiiiiiiiiliiliiiiil
	.p2align	8
	.type	_ZL15flash_attn_tileILi128ELi128ELi1ELi4ELb1EEvPKcS1_S1_S1_S1_PKiPfP15HIP_vector_typeIfLj2EEffffjfiS5_IjLj3EEiiiiiiiiiiiliiliiiiil,@function
_ZL15flash_attn_tileILi128ELi128ELi1ELi4ELb1EEvPKcS1_S1_S1_S1_PKiPfP15HIP_vector_typeIfLj2EEffffjfiS5_IjLj3EEiiiiiiiiiiiliiliiiiil: ; @_ZL15flash_attn_tileILi128ELi128ELi1ELi4ELb1EEvPKcS1_S1_S1_S1_PKiPfP15HIP_vector_typeIfLj2EEffffjfiS5_IjLj3EEiiiiiiiiiiiliiliiiiil
; %bb.0:
	s_load_dwordx4 s[20:23], s[0:1], 0x5c
	s_load_dwordx2 s[28:29], s[0:1], 0x80
	s_load_dwordx2 s[34:35], s[0:1], 0xb8
	s_mov_b64 s[30:31], 0
	s_waitcnt lgkmcnt(0)
	s_ashr_i32 s5, s23, 31
	s_lshr_b32 s5, s5, 30
	s_add_i32 s5, s23, s5
	s_ashr_i32 s5, s5, 2
	v_cvt_f32_u32_e32 v1, s5
	s_sub_i32 s6, 0, s5
	v_rcp_iflag_f32_e32 v1, v1
	s_nop 0
	v_mul_f32_e32 v1, 0x4f7ffffe, v1
	v_cvt_u32_f32_e32 v1, v1
	s_nop 0
	v_readfirstlane_b32 s7, v1
	s_mul_i32 s6, s6, s7
	s_mul_hi_u32 s6, s7, s6
	s_add_i32 s7, s7, s6
	s_mul_hi_u32 s6, s4, s7
	s_mul_i32 s7, s6, s5
	s_sub_i32 s7, s4, s7
	s_add_i32 s8, s6, 1
	s_sub_i32 s9, s7, s5
	s_cmp_ge_u32 s7, s5
	s_cselect_b32 s6, s8, s6
	s_cselect_b32 s7, s9, s7
	s_add_i32 s8, s6, 1
	s_cmp_ge_u32 s7, s5
	s_cselect_b32 s33, s8, s6
	s_abs_i32 s5, s29
	v_cvt_f32_u32_e32 v1, s5
	s_lshl_b32 s4, s4, 2
	s_mul_i32 s8, s33, s23
	s_xor_b32 s6, s23, s29
	v_rcp_iflag_f32_e32 v1, v1
	s_sub_i32 s9, 0, s5
	s_sub_i32 s29, s4, s8
	s_abs_i32 s7, s23
	v_mul_f32_e32 v1, 0x4f7ffffe, v1
	v_cvt_u32_f32_e32 v1, v1
	s_ashr_i32 s6, s6, 31
	v_readfirstlane_b32 s4, v1
	s_mul_i32 s9, s9, s4
	s_mul_hi_u32 s8, s4, s9
	s_add_i32 s4, s4, s8
	s_mul_hi_u32 s4, s7, s4
	s_mul_i32 s8, s4, s5
	s_sub_i32 s7, s7, s8
	s_add_i32 s9, s4, 1
	s_sub_i32 s8, s7, s5
	s_cmp_ge_u32 s7, s5
	s_cselect_b32 s4, s9, s4
	s_cselect_b32 s7, s8, s7
	s_add_i32 s8, s4, 1
	s_cmp_ge_u32 s7, s5
	s_cselect_b32 s4, s8, s4
	s_xor_b32 s4, s4, s6
	s_sub_i32 s37, s4, s6
	s_abs_i32 s36, s37
	v_cvt_f32_u32_e32 v1, s36
	s_load_dwordx16 s[4:19], s[0:1], 0x0
	v_rcp_iflag_f32_e32 v1, v1
	s_waitcnt lgkmcnt(0)
	s_cmp_eq_u64 s[10:11], 0
	v_mul_f32_e32 v1, 0x4f7ffffe, v1
	v_cvt_u32_f32_e32 v1, v1
	s_nop 0
	v_readfirstlane_b32 s38, v1
	s_cbranch_scc1 .LBB79_2
; %bb.1:
	s_abs_i32 s26, s34
	v_cvt_f32_u32_e32 v1, s26
	s_sub_i32 s31, 0, s26
	s_abs_i32 s30, s33
	s_ashr_i32 s27, s33, 31
	v_rcp_iflag_f32_e32 v1, v1
	s_load_dwordx2 s[24:25], s[0:1], 0xc8
	v_mul_f32_e32 v1, 0x4f7ffffe, v1
	v_cvt_u32_f32_e32 v1, v1
	s_nop 0
	v_readfirstlane_b32 s34, v1
	s_mul_i32 s31, s31, s34
	s_mul_hi_u32 s31, s34, s31
	s_add_i32 s34, s34, s31
	s_mul_hi_u32 s31, s30, s34
	s_mul_i32 s31, s31, s26
	s_sub_i32 s30, s30, s31
	s_sub_i32 s31, s30, s26
	s_cmp_ge_u32 s30, s26
	s_cselect_b32 s30, s31, s30
	s_sub_i32 s31, s30, s26
	s_cmp_ge_u32 s30, s26
	s_cselect_b32 s26, s31, s30
	s_xor_b32 s26, s26, s27
	s_sub_i32 s26, s26, s27
	s_ashr_i32 s27, s26, 31
	s_waitcnt lgkmcnt(0)
	s_mul_hi_u32 s30, s24, s26
	s_mul_i32 s27, s24, s27
	s_mul_i32 s25, s25, s26
	s_add_i32 s27, s30, s27
	s_add_i32 s27, s27, s25
	s_mul_i32 s24, s24, s26
	s_add_u32 s30, s10, s24
	s_addc_u32 s31, s11, s27
.LBB79_2:
	s_load_dwordx4 s[24:27], s[0:1], 0x70
	v_bfe_u32 v40, v0, 10, 2
	v_lshrrev_b32_e32 v1, 10, v0
	v_bfe_u32 v1, v1, 2, 8
	s_waitcnt lgkmcnt(0)
	s_mul_i32 s10, s33, s26
	s_ashr_i32 s26, s10, 31
	s_mul_i32 s11, s29, s25
	s_add_u32 s4, s4, s10
	s_addc_u32 s5, s5, s26
	s_ashr_i32 s10, s11, 31
	s_add_u32 s4, s4, s11
	s_addc_u32 s5, s5, s10
	s_ashr_i32 s11, s25, 31
	s_mov_b32 s10, s25
	s_lshr_b64 s[26:27], s[10:11], 2
	s_lshr_b32 s25, s11, 2
	v_mad_u64_u32 v[4:5], s[10:11], s26, v40, 0
	v_mov_b32_e32 v2, v5
	v_mad_u64_u32 v[2:3], s[10:11], s25, v40, v[2:3]
	v_add_u32_e32 v3, s2, v1
	v_mul_hi_u32 v1, s20, v3
	v_add_u32_e32 v1, v3, v1
	v_lshrrev_b32_e32 v1, s21, v1
	v_mul_lo_u32 v1, v1, s22
	s_ashr_i32 s25, s24, 31
	v_sub_u32_e32 v20, v3, v1
	s_lshr_b64 s[10:11], s[24:25], 2
	v_mad_u64_u32 v[6:7], s[10:11], s10, v20, 0
	v_mov_b32_e32 v5, v2
	v_mov_b32_e32 v2, v7
	s_lshr_b32 s10, s25, 2
	v_mad_u64_u32 v[8:9], s[10:11], s10, v20, v[2:3]
	v_mov_b32_e32 v7, v8
	v_and_b32_e32 v2, 0x3ff, v0
	v_lshl_add_u64 v[4:5], v[4:5], 2, s[4:5]
	v_lshl_add_u64 v[4:5], v[6:7], 2, v[4:5]
	v_lshlrev_b32_e32 v6, 4, v2
	v_mov_b32_e32 v7, 0
	v_lshl_add_u64 v[4:5], v[4:5], 0, v[6:7]
	global_load_dwordx4 v[4:7], v[4:5], off
	s_load_dword s4, s[0:1], 0x40
	v_bfe_u32 v0, v0, 10, 10
	v_mov_b32_e32 v1, 0x4400
	v_lshlrev_b32_e32 v42, 3, v2
	v_lshl_add_u32 v43, v0, 8, v1
	v_add_u32_e32 v1, v43, v42
	s_cmp_eq_u64 s[14:15], 0
	s_waitcnt vmcnt(0) lgkmcnt(0)
	v_fma_mixlo_f16 v8, s4, v4, 0
	v_mov_b32_e32 v4, v7
	v_pk_mul_f32 v[4:5], s[4:5], v[4:5] op_sel_hi:[0,1]
	v_cvt_pk_f16_f32 v4, v4, v5
	v_fma_mixlo_f16 v6, s4, v6, 0
	v_and_b32_e32 v7, 0xffff, v8
	v_lshlrev_b32_e32 v5, 16, v4
	v_and_b32_e32 v4, 0xffff0000, v4
	v_and_b32_e32 v6, 0xffff, v6
	v_or_b32_e32 v4, v4, v7
	v_or3_b32 v5, v5, v6, 0
	v_or3_b32 v4, 0, 0, v4
	ds_write_b64 v1, v[4:5]
	s_waitcnt lgkmcnt(0)
	s_barrier
	s_cbranch_scc1 .LBB79_4
; %bb.3:
	s_load_dword s4, s[0:1], 0xd0
	s_mov_b32 s5, 0
	s_waitcnt lgkmcnt(0)
	s_mul_i32 s4, s4, s33
	s_add_i32 s4, s4, s2
	s_lshl_b64 s[4:5], s[4:5], 2
	s_add_u32 s4, s14, s4
	s_addc_u32 s5, s15, s5
	s_load_dword s28, s[4:5], 0x0
.LBB79_4:
	s_lshl_b32 s2, s3, 6
	s_waitcnt lgkmcnt(0)
	s_cmp_lt_i32 s2, s28
	v_mbcnt_lo_u32_b32 v38, -1, 0
	s_cbranch_scc1 .LBB79_9
; %bb.5:
	v_mbcnt_hi_u32_b32 v21, -1, v38
	v_and_b32_e32 v1, 0x60, v21
	v_add_u32_e32 v71, 32, v1
	v_xor_b32_e32 v70, 16, v21
	v_xor_b32_e32 v69, 8, v21
	;; [unrolled: 1-line block ×5, first 2 shown]
	v_lshlrev_b32_e32 v41, 2, v2
	s_cbranch_execz .LBB79_10
; %bb.6:
	v_mov_b32_e32 v65, 0
	v_mov_b32_e32 v74, 0
	v_mov_b32_e32 v38, 0xfeffffff
	v_mov_b32_e32 v66, 0
.LBB79_7:
	v_cmp_lt_i32_e32 vcc, v70, v71
	s_cmp_lg_u64 s[12:13], 0
	s_cselect_b64 s[4:5], -1, 0
	v_cndmask_b32_e32 v0, v21, v70, vcc
	v_lshlrev_b32_e32 v0, 2, v0
	ds_bpermute_b32 v0, v0, v74
	v_cmp_lt_i32_e32 vcc, v69, v71
	s_cmp_eq_u32 s3, 0
	s_cselect_b64 s[6:7], -1, 0
	v_cndmask_b32_e32 v1, v21, v69, vcc
	v_lshlrev_b32_e32 v1, 2, v1
	s_waitcnt lgkmcnt(0)
	v_add_f32_e32 v0, v74, v0
	ds_bpermute_b32 v1, v1, v0
	v_cmp_lt_i32_e32 vcc, v39, v71
	s_and_b64 s[4:5], s[6:7], s[4:5]
	s_waitcnt lgkmcnt(0)
	v_add_f32_e32 v0, v0, v1
	v_cndmask_b32_e32 v4, v21, v39, vcc
	v_lshlrev_b32_e32 v4, 2, v4
	ds_bpermute_b32 v1, v4, v0
	v_cmp_lt_i32_e32 vcc, v72, v71
	s_waitcnt lgkmcnt(0)
	v_add_f32_e32 v1, v0, v1
	v_cndmask_b32_e32 v4, v21, v72, vcc
	v_lshlrev_b32_e32 v4, 2, v4
	ds_bpermute_b32 v4, v4, v1
	v_cmp_lt_i32_e32 vcc, v73, v71
	v_add_u32_e32 v0, s29, v40
	s_waitcnt lgkmcnt(0)
	v_add_f32_e32 v1, v1, v4
	v_cndmask_b32_e32 v5, v21, v73, vcc
	v_lshlrev_b32_e32 v5, 2, v5
	ds_bpermute_b32 v4, v5, v1
	s_and_b64 vcc, exec, s[4:5]
	s_waitcnt lgkmcnt(0)
	v_add_f32_e32 v39, v1, v4
	s_cbranch_vccz .LBB79_21
; %bb.8:
	v_ashrrev_i32_e32 v1, 31, v0
	v_lshl_add_u64 v[4:5], v[0:1], 2, s[12:13]
	global_load_dword v1, v[4:5], off
	v_max_f32_e32 v4, v38, v38
	s_mov_b32 s2, 0x3fb8aa3b
	s_mov_b32 s4, 0xc2ce8ed0
	s_waitcnt vmcnt(0)
	v_max_f32_e32 v5, v1, v1
	v_max_f32_e32 v4, v4, v5
	v_sub_f32_e32 v5, v38, v4
	v_sub_f32_e32 v1, v1, v4
	v_mul_f32_e32 v6, 0x3fb8aa3b, v5
	v_mul_f32_e32 v7, 0x3fb8aa3b, v1
	v_fma_f32 v8, v5, s2, -v6
	v_rndne_f32_e32 v9, v6
	v_fma_f32 v10, v1, s2, -v7
	v_rndne_f32_e32 v11, v7
	v_fmac_f32_e32 v8, 0x32a5705f, v5
	v_sub_f32_e32 v6, v6, v9
	v_fmac_f32_e32 v10, 0x32a5705f, v1
	v_sub_f32_e32 v7, v7, v11
	v_add_f32_e32 v6, v6, v8
	v_cvt_i32_f32_e32 v9, v9
	v_add_f32_e32 v7, v7, v10
	v_exp_f32_e32 v6, v6
	v_cvt_i32_f32_e32 v11, v11
	v_exp_f32_e32 v7, v7
	v_cmp_ngt_f32_e32 vcc, s4, v5
	v_ldexp_f32 v6, v6, v9
	s_mov_b32 s2, 0x42b17218
	v_ldexp_f32 v7, v7, v11
	v_cndmask_b32_e32 v6, 0, v6, vcc
	v_cmp_ngt_f32_e32 vcc, s4, v1
	v_mov_b32_e32 v8, 0x7f800000
	s_nop 0
	v_cndmask_b32_e32 v7, 0, v7, vcc
	v_cmp_nlt_f32_e32 vcc, s2, v5
	s_nop 1
	v_cndmask_b32_e32 v6, v8, v6, vcc
	v_cvt_f16_f32_e32 v9, v6
	v_cmp_nlt_f32_e32 vcc, s2, v1
	v_mul_u32_u24_e32 v1, 0x10001, v9
	s_nop 0
	v_cndmask_b32_e32 v5, v8, v7, vcc
	v_fmac_f32_e32 v5, v39, v6
	v_pk_mul_f16 v66, v66, v1
	v_pk_mul_f16 v65, v65, v1
	v_mov_b64_e32 v[38:39], v[4:5]
	s_branch .LBB79_22
.LBB79_9:
                                        ; implicit-def: $vgpr21
                                        ; implicit-def: $vgpr71
                                        ; implicit-def: $vgpr70
                                        ; implicit-def: $vgpr69
                                        ; implicit-def: $vgpr39
                                        ; implicit-def: $vgpr72
                                        ; implicit-def: $vgpr73
	v_lshlrev_b32_e32 v41, 2, v2
.LBB79_10:
	s_sub_i32 s4, 0, s36
	s_mul_i32 s4, s4, s38
	s_mul_hi_u32 s4, s38, s4
	s_add_i32 s38, s38, s4
	s_load_dwordx4 s[24:27], s[0:1], 0x98
	s_load_dword s10, s[0:1], 0x54
	s_load_dwordx2 s[4:5], s[0:1], 0x8c
	s_ashr_i32 s34, s37, 31
	s_abs_i32 s15, s29
	s_waitcnt lgkmcnt(0)
	s_ashr_i32 s11, s26, 2
	s_ashr_i32 s26, s35, 1
	;; [unrolled: 1-line block ×4, first 2 shown]
	s_mul_hi_u32 s35, s24, s33
	s_mul_i32 s37, s24, s4
	s_add_i32 s35, s35, s37
	s_mul_i32 s25, s25, s33
	s_mul_hi_u32 s20, s15, s38
	s_ashr_i32 s21, s29, 31
	s_add_i32 s35, s35, s25
	s_mul_i32 s24, s24, s33
	s_add_u32 s6, s6, s24
	s_mul_i32 s24, s20, s36
	s_addc_u32 s7, s7, s35
	s_sub_i32 s15, s15, s24
	s_xor_b32 s21, s21, s34
	s_add_i32 s24, s20, 1
	s_sub_i32 s25, s15, s36
	s_cmp_ge_u32 s15, s36
	s_cselect_b32 s20, s24, s20
	s_cselect_b32 s15, s25, s15
	s_add_i32 s24, s20, 1
	s_cmp_ge_u32 s15, s36
	s_load_dwordx2 s[38:39], s[0:1], 0xa8
	s_cselect_b32 s15, s24, s20
	s_xor_b32 s15, s15, s21
	s_sub_i32 s21, s15, s21
	s_mul_i32 s5, s21, s5
	s_ashr_i32 s20, s5, 31
	s_add_u32 s15, s6, s5
	s_waitcnt lgkmcnt(0)
	s_mul_hi_u32 s5, s38, s33
	s_mul_i32 s4, s38, s4
	s_addc_u32 s20, s7, s20
	s_add_i32 s4, s5, s4
	s_mul_i32 s5, s39, s33
	s_add_i32 s4, s4, s5
	s_mul_i32 s5, s38, s33
	s_add_u32 s5, s8, s5
	s_mul_i32 s21, s21, s27
	s_addc_u32 s4, s9, s4
	s_ashr_i32 s6, s21, 31
	s_add_u32 s8, s5, s21
	v_lshrrev_b32_e32 v1, 4, v2
	v_and_b32_e32 v64, 60, v41
	s_addc_u32 s9, s4, s6
	v_lshl_add_u32 v22, v0, 1, v1
	v_lshlrev_b32_e32 v23, 2, v64
	s_movk_i32 s4, 0x110
	v_mad_u32_u24 v44, v22, s4, v23
	v_mul_lo_u32 v4, s14, v22
	s_lshl_b32 s4, s14, 3
	v_add_u32_e32 v6, s4, v4
	v_add_u32_e32 v8, s4, v6
	;; [unrolled: 1-line block ×7, first 2 shown]
	v_mad_u64_u32 v[20:21], s[4:5], v20, s26, v[2:3]
	v_lshl_or_b32 v55, v22, 8, v23
	v_mul_lo_u32 v22, s11, v22
	s_lshl_b32 s4, s11, 3
	v_add_u32_e32 v24, s4, v22
	v_add_u32_e32 v26, s4, v24
	;; [unrolled: 1-line block ×5, first 2 shown]
	v_mov_b32_e32 v21, 0x4800
	v_add_u32_e32 v34, s4, v32
	v_mov_b32_e32 v1, 0
	v_lshl_add_u32 v53, v0, 7, v21
	v_add_u32_e32 v36, s4, v34
	s_add_u32 s4, s0, 0xd0
                                        ; implicit-def: $vgpr21
                                        ; implicit-def: $vgpr21
	;; [unrolled: 1-line block ×3, first 2 shown]
	v_ashrrev_i32_e32 v5, 31, v4
	v_add_u32_e32 v45, 0x880, v44
	v_ashrrev_i32_e32 v7, 31, v6
	v_add_u32_e32 v46, 0x1100, v44
	;; [unrolled: 2-line block ×7, first 2 shown]
	v_ashrrev_i32_e32 v19, 31, v18
	v_mul_u32_u24_e32 v52, 0x110, v2
	v_lshl_add_u32 v54, v2, 1, v53
	v_ashrrev_i32_e32 v23, 31, v22
	v_add_u32_e32 v56, 0x800, v55
	v_ashrrev_i32_e32 v25, 31, v24
	v_add_u32_e32 v57, 0x1000, v55
	;; [unrolled: 2-line block ×7, first 2 shown]
	v_ashrrev_i32_e32 v37, 31, v36
	s_addc_u32 s5, s1, 0
	v_mov_b32_e32 v68, 0xfeffffff
	v_lshlrev_b32_e32 v0, 2, v64
	s_mov_b32 s21, 0x3f200000
	s_mov_b32 s24, 0x3fb8aa3b
	;; [unrolled: 1-line block ×4, first 2 shown]
	v_mov_b32_e32 v63, 0x3ca908c9
	s_brev_b32 s27, -2
	s_mov_b32 s34, 0x10001
	v_mov_b32_e32 v64, 0x7f800000
	v_mbcnt_hi_u32_b32 v21, -1, v38
	v_mov_b32_e32 v66, v1
	v_mov_b32_e32 v65, v1
	;; [unrolled: 1-line block ×3, first 2 shown]
.LBB79_11:                              ; =>This Inner Loop Header: Depth=1
	s_mul_hi_i32 s7, s2, s14
	s_mul_i32 s6, s2, s14
	s_lshl_b64 s[6:7], s[6:7], 2
	s_add_u32 s6, s15, s6
	s_addc_u32 s7, s20, s7
	v_lshl_add_u64 v[38:39], v[4:5], 2, s[6:7]
	v_lshl_add_u64 v[38:39], v[38:39], 0, v[0:1]
	v_lshl_add_u64 v[70:71], v[6:7], 2, s[6:7]
	v_lshl_add_u64 v[78:79], v[70:71], 0, v[0:1]
	global_load_dwordx4 v[70:73], v[38:39], off
	global_load_dwordx4 v[74:77], v[78:79], off
	v_lshl_add_u64 v[38:39], v[8:9], 2, s[6:7]
	v_lshl_add_u64 v[38:39], v[38:39], 0, v[0:1]
	v_lshl_add_u64 v[78:79], v[10:11], 2, s[6:7]
	v_lshl_add_u64 v[86:87], v[78:79], 0, v[0:1]
	global_load_dwordx4 v[78:81], v[38:39], off
	global_load_dwordx4 v[82:85], v[86:87], off
	;; [unrolled: 6-line block ×4, first 2 shown]
	v_mov_b32_e32 v69, 0
	s_waitcnt vmcnt(7)
	ds_write_b128 v44, v[70:73]
	s_waitcnt vmcnt(6)
	ds_write_b128 v45, v[74:77]
	;; [unrolled: 2-line block ×8, first 2 shown]
	s_waitcnt lgkmcnt(0)
	s_barrier
	ds_read_b128 v[72:75], v52
	ds_read_b128 v[76:79], v43
	ds_read_b128 v[80:83], v52 offset:8704
	s_waitcnt lgkmcnt(1)
	;;#ASMSTART
	v_dot2_f32_f16 v69, v72, v76, v69
	;;#ASMEND
	s_nop 0
	;;#ASMSTART
	v_dot2_f32_f16 v69, v73, v77, v69
	;;#ASMEND
	v_mov_b32_e32 v71, 0
	;;#ASMSTART
	v_dot2_f32_f16 v69, v74, v78, v69
	;;#ASMEND
                                        ; implicit-def: $vgpr70
	s_nop 0
	;;#ASMSTART
	v_dot2_f32_f16 v69, v75, v79, v69
	;;#ASMEND
	s_waitcnt lgkmcnt(0)
	;;#ASMSTART
	v_dot2_f32_f16 v71, v80, v76, v71
	;;#ASMEND
	s_nop 0
	;;#ASMSTART
	v_dot2_f32_f16 v71, v81, v77, v71
	;;#ASMEND
	s_nop 0
	;;#ASMSTART
	v_dot2_f32_f16 v71, v82, v78, v71
	;;#ASMEND
	s_nop 0
	;;#ASMSTART
	v_dot2_f32_f16 v71, v83, v79, v71
	;;#ASMEND
	ds_read_b128 v[72:75], v52 offset:16
	ds_read_b128 v[76:79], v43 offset:16
	ds_read_b128 v[80:83], v52 offset:8720
	s_waitcnt lgkmcnt(1)
	;;#ASMSTART
	v_dot2_f32_f16 v69, v72, v76, v69
	;;#ASMEND
	s_nop 0
	;;#ASMSTART
	v_dot2_f32_f16 v69, v73, v77, v69
	;;#ASMEND
	s_nop 0
	;;#ASMSTART
	v_dot2_f32_f16 v69, v74, v78, v69
	;;#ASMEND
	s_nop 0
	;;#ASMSTART
	v_dot2_f32_f16 v69, v75, v79, v69
	;;#ASMEND
	s_waitcnt lgkmcnt(0)
	;;#ASMSTART
	v_dot2_f32_f16 v71, v80, v76, v71
	;;#ASMEND
	s_nop 0
	;;#ASMSTART
	v_dot2_f32_f16 v71, v81, v77, v71
	;;#ASMEND
	s_nop 0
	;;#ASMSTART
	v_dot2_f32_f16 v71, v82, v78, v71
	;;#ASMEND
	s_nop 0
	;;#ASMSTART
	v_dot2_f32_f16 v71, v83, v79, v71
	;;#ASMEND
	ds_read_b128 v[72:75], v52 offset:32
	ds_read_b128 v[76:79], v43 offset:32
	ds_read_b128 v[80:83], v52 offset:8736
	s_waitcnt lgkmcnt(1)
	;;#ASMSTART
	v_dot2_f32_f16 v69, v72, v76, v69
	;;#ASMEND
	s_nop 0
	;;#ASMSTART
	v_dot2_f32_f16 v69, v73, v77, v69
	;;#ASMEND
	s_nop 0
	;;#ASMSTART
	v_dot2_f32_f16 v69, v74, v78, v69
	;;#ASMEND
	;; [unrolled: 35-line block ×15, first 2 shown]
	s_nop 0
	;;#ASMSTART
	v_dot2_f32_f16 v69, v75, v79, v69
	;;#ASMEND
	s_waitcnt lgkmcnt(0)
	;;#ASMSTART
	v_dot2_f32_f16 v71, v80, v76, v71
	;;#ASMEND
	s_nop 0
	;;#ASMSTART
	v_dot2_f32_f16 v71, v81, v77, v71
	;;#ASMEND
	v_cmp_nlt_f32_e64 s[6:7], |v69|, s21
	;;#ASMSTART
	v_dot2_f32_f16 v71, v82, v78, v71
	;;#ASMEND
	s_nop 0
	;;#ASMSTART
	v_dot2_f32_f16 v71, v83, v79, v71
	;;#ASMEND
	s_and_saveexec_b64 s[36:37], s[6:7]
	s_xor_b64 s[6:7], exec, s[36:37]
	s_cbranch_execz .LBB79_13
; %bb.12:                               ;   in Loop: Header=BB79_11 Depth=1
	v_add_f32_e64 v38, |v69|, |v69|
	v_mul_f32_e32 v39, 0x3fb8aa3b, v38
	v_rndne_f32_e32 v70, v39
	v_sub_f32_e32 v72, v39, v70
	v_fma_f32 v39, v38, s24, -v39
	v_fmac_f32_e32 v39, 0x32a5705f, v38
	v_add_f32_e32 v39, v72, v39
	v_cvt_i32_f32_e32 v70, v70
	v_exp_f32_e32 v39, v39
	v_cmp_ngt_f32_e32 vcc, s25, v38
	v_ldexp_f32 v39, v39, v70
	s_nop 0
	v_cndmask_b32_e32 v39, 0, v39, vcc
	v_cmp_nlt_f32_e32 vcc, s26, v38
	s_nop 1
	v_cndmask_b32_e32 v38, v64, v39, vcc
	v_add_f32_e32 v38, 1.0, v38
	v_rcp_f32_e32 v38, v38
	s_nop 0
	v_fma_f32 v70, v38, -2.0, 1.0
.LBB79_13:                              ;   in Loop: Header=BB79_11 Depth=1
	s_andn2_saveexec_b64 s[6:7], s[6:7]
; %bb.14:                               ;   in Loop: Header=BB79_11 Depth=1
	v_mul_f32_e32 v38, v69, v69
	v_fmamk_f32 v39, v38, 0xbbbac73d, v63
	v_fmaak_f32 v39, v38, v39, 0xbd5c1c4e
	v_fmaak_f32 v39, v38, v39, 0x3e088382
	;; [unrolled: 1-line block ×3, first 2 shown]
	v_mul_f32_e64 v39, |v69|, v39
	v_fma_f32 v70, v38, v39, |v69|
; %bb.15:                               ;   in Loop: Header=BB79_11 Depth=1
	s_or_b64 exec, exec, s[6:7]
	v_add_u32_e32 v38, s2, v20
	v_ashrrev_i32_e32 v39, 31, v38
	v_lshl_add_u64 v[38:39], v[38:39], 1, s[30:31]
	global_load_ushort v72, v[38:39], off
	v_cmp_nlt_f32_e64 s[6:7], |v71|, s21
                                        ; implicit-def: $vgpr73
	s_and_saveexec_b64 s[36:37], s[6:7]
	s_xor_b64 s[6:7], exec, s[36:37]
	s_cbranch_execz .LBB79_17
; %bb.16:                               ;   in Loop: Header=BB79_11 Depth=1
	v_add_f32_e64 v73, |v71|, |v71|
	v_mul_f32_e32 v74, 0x3fb8aa3b, v73
	v_rndne_f32_e32 v75, v74
	v_sub_f32_e32 v76, v74, v75
	v_fma_f32 v74, v73, s24, -v74
	v_fmac_f32_e32 v74, 0x32a5705f, v73
	v_add_f32_e32 v74, v76, v74
	v_cvt_i32_f32_e32 v75, v75
	v_exp_f32_e32 v74, v74
	v_cmp_ngt_f32_e32 vcc, s25, v73
	v_ldexp_f32 v74, v74, v75
	s_nop 0
	v_cndmask_b32_e32 v74, 0, v74, vcc
	v_cmp_nlt_f32_e32 vcc, s26, v73
	s_nop 1
	v_cndmask_b32_e32 v73, v64, v74, vcc
	v_add_f32_e32 v73, 1.0, v73
	v_rcp_f32_e32 v73, v73
	s_nop 0
	v_fma_f32 v73, v73, -2.0, 1.0
.LBB79_17:                              ;   in Loop: Header=BB79_11 Depth=1
	s_andn2_saveexec_b64 s[6:7], s[6:7]
; %bb.18:                               ;   in Loop: Header=BB79_11 Depth=1
	v_mul_f32_e32 v73, v71, v71
	v_fmamk_f32 v74, v73, 0xbbbac73d, v63
	v_fmaak_f32 v74, v73, v74, 0xbd5c1c4e
	v_fmaak_f32 v74, v73, v74, 0x3e088382
	;; [unrolled: 1-line block ×3, first 2 shown]
	v_mul_f32_e64 v74, |v71|, v74
	v_fma_f32 v73, v73, v74, |v71|
; %bb.19:                               ;   in Loop: Header=BB79_11 Depth=1
	s_or_b64 exec, exec, s[6:7]
	global_load_ushort v38, v[38:39], off offset:64
	v_and_b32_e32 v75, 0x60, v21
	v_xor_b32_e32 v39, 4, v21
	v_bfi_b32 v88, s27, v73, v71
	v_add_u32_e32 v71, 32, v75
	v_bfi_b32 v74, s27, v70, v69
	v_xor_b32_e32 v69, 8, v21
	v_cmp_lt_i32_e32 vcc, v39, v71
	v_xor_b32_e32 v70, 16, v21
	s_waitcnt vmcnt(1)
	v_fma_mix_f32 v116, s10, v74, v72 op_sel_hi:[0,0,1]
	v_cndmask_b32_e32 v72, v21, v39, vcc
	v_cmp_lt_i32_e32 vcc, v69, v71
	v_add_f32_e32 v89, 0x40051340, v116
	s_mul_hi_i32 s7, s2, s11
	v_cndmask_b32_e32 v73, v21, v69, vcc
	v_cmp_lt_i32_e32 vcc, v70, v71
	s_mul_i32 s6, s2, s11
	s_lshl_b64 s[6:7], s[6:7], 2
	v_cndmask_b32_e32 v74, v21, v70, vcc
	v_lshlrev_b32_e32 v90, 2, v74
	s_add_u32 s6, s8, s6
	s_addc_u32 s7, s9, s7
	v_lshlrev_b32_e32 v96, 2, v73
	v_lshlrev_b32_e32 v117, 2, v72
	v_lshl_add_u64 v[72:73], v[22:23], 2, s[6:7]
	v_lshl_add_u64 v[74:75], v[24:25], 2, s[6:7]
	;; [unrolled: 1-line block ×9, first 2 shown]
	s_barrier
	v_lshl_add_u64 v[74:75], v[74:75], 0, v[0:1]
	v_lshl_add_u64 v[92:93], v[76:77], 0, v[0:1]
	;; [unrolled: 1-line block ×7, first 2 shown]
	s_waitcnt vmcnt(0)
	v_fma_mix_f32 v118, s10, v88, v38 op_sel_hi:[0,0,1]
	v_add_f32_e32 v38, 0x40051340, v118
	v_max3_f32 v38, v68, v89, v38
	ds_bpermute_b32 v97, v90, v38
	global_load_dwordx4 v[76:79], v[72:73], off
	global_load_dwordx4 v[80:83], v[74:75], off
	;; [unrolled: 1-line block ×4, first 2 shown]
	s_waitcnt lgkmcnt(0)
	v_max_f32_e32 v72, v97, v97
	v_max_f32_e32 v38, v38, v72
	ds_bpermute_b32 v72, v96, v38
	global_load_dwordx4 v[92:95], v[108:109], off
	global_load_dwordx4 v[96:99], v[110:111], off
	;; [unrolled: 1-line block ×4, first 2 shown]
	s_waitcnt lgkmcnt(0)
	v_max_f32_e32 v72, v72, v72
	v_max_f32_e32 v38, v38, v72
	ds_bpermute_b32 v73, v117, v38
	v_xor_b32_e32 v72, 2, v21
	v_cmp_lt_i32_e32 vcc, v72, v71
	s_waitcnt lgkmcnt(0)
	v_max_f32_e32 v73, v73, v73
	v_cndmask_b32_e32 v74, v21, v72, vcc
	v_lshlrev_b32_e32 v74, 2, v74
	v_max_f32_e32 v38, v38, v73
	ds_bpermute_b32 v74, v74, v38
	v_xor_b32_e32 v73, 1, v21
	v_cmp_lt_i32_e32 vcc, v73, v71
	s_waitcnt lgkmcnt(0)
	v_max_f32_e32 v74, v74, v74
	v_cndmask_b32_e32 v75, v21, v73, vcc
	v_lshlrev_b32_e32 v75, 2, v75
	v_max_f32_e32 v38, v38, v74
	ds_bpermute_b32 v74, v75, v38
	s_waitcnt lgkmcnt(0)
	v_max_f32_e32 v74, v74, v74
	v_max_f32_e32 v38, v38, v74
	v_sub_f32_e32 v74, v116, v38
	v_sub_f32_e32 v75, v118, v38
	v_mul_f32_e32 v108, 0x3fb8aa3b, v74
	v_sub_f32_e32 v68, v68, v38
	v_mul_f32_e32 v109, 0x3fb8aa3b, v75
	v_fma_f32 v111, v74, s24, -v108
	v_rndne_f32_e32 v112, v108
	v_mul_f32_e32 v110, 0x3fb8aa3b, v68
	v_fma_f32 v113, v75, s24, -v109
	v_rndne_f32_e32 v114, v109
	v_fmac_f32_e32 v111, 0x32a5705f, v74
	v_sub_f32_e32 v108, v108, v112
	v_fma_f32 v115, v68, s24, -v110
	v_rndne_f32_e32 v116, v110
	v_fmac_f32_e32 v113, 0x32a5705f, v75
	v_sub_f32_e32 v109, v109, v114
	v_add_f32_e32 v108, v108, v111
	v_cvt_i32_f32_e32 v112, v112
	v_fmac_f32_e32 v115, 0x32a5705f, v68
	v_sub_f32_e32 v110, v110, v116
	v_add_f32_e32 v109, v109, v113
	v_exp_f32_e32 v108, v108
	v_cvt_i32_f32_e32 v114, v114
	v_add_f32_e32 v110, v110, v115
	v_exp_f32_e32 v109, v109
	v_cvt_i32_f32_e32 v116, v116
	v_exp_f32_e32 v110, v110
	v_ldexp_f32 v108, v108, v112
	v_cmp_ngt_f32_e32 vcc, s25, v74
	v_ldexp_f32 v109, v109, v114
	v_ldexp_f32 v110, v110, v116
	v_cndmask_b32_e32 v108, 0, v108, vcc
	v_cmp_ngt_f32_e32 vcc, s25, v75
	s_nop 1
	v_cndmask_b32_e32 v109, 0, v109, vcc
	v_cmp_ngt_f32_e32 vcc, s25, v68
	s_nop 1
	v_cndmask_b32_e32 v110, 0, v110, vcc
	v_cmp_nlt_f32_e32 vcc, s26, v74
	s_nop 1
	v_cndmask_b32_e32 v74, v64, v108, vcc
	v_cmp_nlt_f32_e32 vcc, s26, v75
	v_cvt_f16_f32_e32 v108, v74
	s_nop 0
	v_cndmask_b32_e32 v75, v64, v109, vcc
	v_cmp_nlt_f32_e32 vcc, s26, v68
	v_add_f32_e32 v74, v74, v75
	v_cvt_f16_f32_e32 v75, v75
	v_cndmask_b32_e32 v68, v64, v110, vcc
	v_cvt_f16_f32_e32 v109, v68
	ds_write_b16 v54, v108
	ds_write_b16 v54, v75 offset:64
	s_waitcnt vmcnt(7)
	ds_write_b128 v55, v[76:79]
	s_waitcnt vmcnt(6)
	ds_write_b128 v56, v[80:83]
	;; [unrolled: 2-line block ×8, first 2 shown]
	s_waitcnt lgkmcnt(0)
	s_barrier
	ds_read_b128 v[76:79], v53
	ds_read2_b64 v[80:83], v42 offset1:32
	ds_read_b128 v[84:87], v53 offset:16
	ds_read_b128 v[88:91], v53 offset:32
	;; [unrolled: 1-line block ×3, first 2 shown]
	ds_read2_b64 v[96:99], v42 offset0:64 offset1:96
	v_fmac_f32_e32 v74, v67, v68
	s_waitcnt lgkmcnt(5)
	v_mul_u32_u24_sdwa v68, v76, s34 dst_sel:DWORD dst_unused:UNUSED_PAD src0_sel:WORD_0 src1_sel:DWORD
	v_mul_u32_u24_e32 v67, 0x10001, v109
	s_waitcnt lgkmcnt(4)
	v_pk_mul_f16 v75, v80, v68
	v_pk_mul_f16 v68, v81, v68
	v_pk_fma_f16 v66, v66, v67, v75
	v_pk_fma_f16 v65, v65, v67, v68
	v_mul_u32_u24_sdwa v67, v76, s34 dst_sel:DWORD dst_unused:UNUSED_PAD src0_sel:WORD_1 src1_sel:DWORD
	v_pk_fma_f16 v66, v82, v67, v66
	v_pk_fma_f16 v65, v83, v67, v65
	v_mul_u32_u24_sdwa v67, v77, s34 dst_sel:DWORD dst_unused:UNUSED_PAD src0_sel:WORD_0 src1_sel:DWORD
	ds_read2_b64 v[80:83], v42 offset0:128 offset1:160
	s_waitcnt lgkmcnt(1)
	v_pk_fma_f16 v66, v96, v67, v66
	v_pk_fma_f16 v65, v97, v67, v65
	v_mul_u32_u24_sdwa v67, v77, s34 dst_sel:DWORD dst_unused:UNUSED_PAD src0_sel:WORD_1 src1_sel:DWORD
	v_pk_fma_f16 v66, v98, v67, v66
	v_pk_fma_f16 v65, v99, v67, v65
	ds_read2_b64 v[96:99], v42 offset0:192 offset1:224
	v_mul_u32_u24_sdwa v67, v78, s34 dst_sel:DWORD dst_unused:UNUSED_PAD src0_sel:WORD_0 src1_sel:DWORD
	s_waitcnt lgkmcnt(1)
	v_pk_fma_f16 v66, v80, v67, v66
	v_pk_fma_f16 v65, v81, v67, v65
	v_mul_u32_u24_sdwa v67, v78, s34 dst_sel:DWORD dst_unused:UNUSED_PAD src0_sel:WORD_1 src1_sel:DWORD
	v_pk_fma_f16 v66, v82, v67, v66
	v_pk_fma_f16 v65, v83, v67, v65
	v_mul_u32_u24_sdwa v67, v79, s34 dst_sel:DWORD dst_unused:UNUSED_PAD src0_sel:WORD_0 src1_sel:DWORD
	s_waitcnt lgkmcnt(0)
	v_pk_fma_f16 v66, v96, v67, v66
	v_pk_fma_f16 v65, v97, v67, v65
	v_add_u32_e32 v67, 0x800, v42
	ds_read2_b64 v[80:83], v67 offset1:32
	v_mul_u32_u24_sdwa v68, v79, s34 dst_sel:DWORD dst_unused:UNUSED_PAD src0_sel:WORD_1 src1_sel:DWORD
	ds_read2_b64 v[76:79], v67 offset0:64 offset1:96
	v_pk_fma_f16 v66, v98, v68, v66
	v_pk_fma_f16 v65, v99, v68, v65
	v_mul_u32_u24_sdwa v68, v84, s34 dst_sel:DWORD dst_unused:UNUSED_PAD src0_sel:WORD_0 src1_sel:DWORD
	s_waitcnt lgkmcnt(1)
	v_pk_fma_f16 v66, v80, v68, v66
	v_pk_fma_f16 v65, v81, v68, v65
	v_mul_u32_u24_sdwa v68, v84, s34 dst_sel:DWORD dst_unused:UNUSED_PAD src0_sel:WORD_1 src1_sel:DWORD
	v_pk_fma_f16 v66, v82, v68, v66
	v_pk_fma_f16 v65, v83, v68, v65
	v_mul_u32_u24_sdwa v68, v85, s34 dst_sel:DWORD dst_unused:UNUSED_PAD src0_sel:WORD_0 src1_sel:DWORD
	ds_read2_b64 v[80:83], v67 offset0:128 offset1:160
	s_waitcnt lgkmcnt(1)
	v_pk_fma_f16 v66, v76, v68, v66
	v_pk_fma_f16 v65, v77, v68, v65
	v_mul_u32_u24_sdwa v68, v85, s34 dst_sel:DWORD dst_unused:UNUSED_PAD src0_sel:WORD_1 src1_sel:DWORD
	v_pk_fma_f16 v66, v78, v68, v66
	v_pk_fma_f16 v65, v79, v68, v65
	ds_read2_b64 v[76:79], v67 offset0:192 offset1:224
	v_mul_u32_u24_sdwa v68, v86, s34 dst_sel:DWORD dst_unused:UNUSED_PAD src0_sel:WORD_0 src1_sel:DWORD
	s_waitcnt lgkmcnt(1)
	v_pk_fma_f16 v66, v80, v68, v66
	v_pk_fma_f16 v65, v81, v68, v65
	v_mul_u32_u24_sdwa v67, v86, s34 dst_sel:DWORD dst_unused:UNUSED_PAD src0_sel:WORD_1 src1_sel:DWORD
	v_pk_fma_f16 v66, v82, v67, v66
	v_pk_fma_f16 v65, v83, v67, v65
	v_mul_u32_u24_sdwa v67, v87, s34 dst_sel:DWORD dst_unused:UNUSED_PAD src0_sel:WORD_0 src1_sel:DWORD
	s_waitcnt lgkmcnt(0)
	v_pk_fma_f16 v66, v76, v67, v66
	v_pk_fma_f16 v65, v77, v67, v65
	v_add_u32_e32 v67, 0x1000, v42
	ds_read2_b64 v[80:83], v67 offset1:32
	v_mul_u32_u24_sdwa v68, v87, s34 dst_sel:DWORD dst_unused:UNUSED_PAD src0_sel:WORD_1 src1_sel:DWORD
	v_pk_fma_f16 v66, v78, v68, v66
	v_pk_fma_f16 v65, v79, v68, v65
	ds_read2_b64 v[76:79], v67 offset0:64 offset1:96
	v_mul_u32_u24_sdwa v68, v88, s34 dst_sel:DWORD dst_unused:UNUSED_PAD src0_sel:WORD_0 src1_sel:DWORD
	s_waitcnt lgkmcnt(1)
	v_pk_fma_f16 v66, v80, v68, v66
	v_pk_fma_f16 v65, v81, v68, v65
	v_mul_u32_u24_sdwa v68, v88, s34 dst_sel:DWORD dst_unused:UNUSED_PAD src0_sel:WORD_1 src1_sel:DWORD
	v_pk_fma_f16 v66, v82, v68, v66
	v_pk_fma_f16 v65, v83, v68, v65
	v_mul_u32_u24_sdwa v68, v89, s34 dst_sel:DWORD dst_unused:UNUSED_PAD src0_sel:WORD_0 src1_sel:DWORD
	ds_read2_b64 v[80:83], v67 offset0:128 offset1:160
	s_waitcnt lgkmcnt(1)
	v_pk_fma_f16 v66, v76, v68, v66
	v_pk_fma_f16 v65, v77, v68, v65
	v_mul_u32_u24_sdwa v68, v89, s34 dst_sel:DWORD dst_unused:UNUSED_PAD src0_sel:WORD_1 src1_sel:DWORD
	v_pk_fma_f16 v66, v78, v68, v66
	v_pk_fma_f16 v65, v79, v68, v65
	ds_read2_b64 v[76:79], v67 offset0:192 offset1:224
	v_mul_u32_u24_sdwa v68, v90, s34 dst_sel:DWORD dst_unused:UNUSED_PAD src0_sel:WORD_0 src1_sel:DWORD
	s_waitcnt lgkmcnt(1)
	v_pk_fma_f16 v66, v80, v68, v66
	v_pk_fma_f16 v65, v81, v68, v65
	v_mul_u32_u24_sdwa v67, v90, s34 dst_sel:DWORD dst_unused:UNUSED_PAD src0_sel:WORD_1 src1_sel:DWORD
	v_pk_fma_f16 v66, v82, v67, v66
	v_pk_fma_f16 v65, v83, v67, v65
	v_mul_u32_u24_sdwa v67, v91, s34 dst_sel:DWORD dst_unused:UNUSED_PAD src0_sel:WORD_0 src1_sel:DWORD
	s_waitcnt lgkmcnt(0)
	v_pk_fma_f16 v66, v76, v67, v66
	v_pk_fma_f16 v65, v77, v67, v65
	v_add_u32_e32 v67, 0x1800, v42
	ds_read2_b64 v[80:83], v67 offset1:32
	v_mul_u32_u24_sdwa v68, v91, s34 dst_sel:DWORD dst_unused:UNUSED_PAD src0_sel:WORD_1 src1_sel:DWORD
	v_pk_fma_f16 v66, v78, v68, v66
	v_pk_fma_f16 v65, v79, v68, v65
	v_mul_u32_u24_sdwa v68, v92, s34 dst_sel:DWORD dst_unused:UNUSED_PAD src0_sel:WORD_0 src1_sel:DWORD
	ds_read2_b64 v[76:79], v67 offset0:64 offset1:96
	s_waitcnt lgkmcnt(1)
	v_pk_fma_f16 v66, v80, v68, v66
	v_pk_fma_f16 v65, v81, v68, v65
	v_mul_u32_u24_sdwa v68, v92, s34 dst_sel:DWORD dst_unused:UNUSED_PAD src0_sel:WORD_1 src1_sel:DWORD
	v_pk_fma_f16 v66, v82, v68, v66
	v_pk_fma_f16 v65, v83, v68, v65
	ds_read2_b64 v[80:83], v67 offset0:128 offset1:160
	v_mul_u32_u24_sdwa v68, v93, s34 dst_sel:DWORD dst_unused:UNUSED_PAD src0_sel:WORD_0 src1_sel:DWORD
	s_waitcnt lgkmcnt(1)
	v_pk_fma_f16 v66, v76, v68, v66
	v_pk_fma_f16 v65, v77, v68, v65
	v_mul_u32_u24_sdwa v68, v93, s34 dst_sel:DWORD dst_unused:UNUSED_PAD src0_sel:WORD_1 src1_sel:DWORD
	v_pk_fma_f16 v66, v78, v68, v66
	v_pk_fma_f16 v65, v79, v68, v65
	v_mul_u32_u24_sdwa v68, v94, s34 dst_sel:DWORD dst_unused:UNUSED_PAD src0_sel:WORD_0 src1_sel:DWORD
	ds_read2_b64 v[76:79], v67 offset0:192 offset1:224
	s_waitcnt lgkmcnt(1)
	v_pk_fma_f16 v66, v80, v68, v66
	v_pk_fma_f16 v65, v81, v68, v65
	v_mul_u32_u24_sdwa v67, v94, s34 dst_sel:DWORD dst_unused:UNUSED_PAD src0_sel:WORD_1 src1_sel:DWORD
	v_pk_fma_f16 v66, v82, v67, v66
	v_pk_fma_f16 v65, v83, v67, v65
	v_add_u32_e32 v68, 0x2000, v42
	ds_read_b128 v[80:83], v53 offset:64
	ds_read2_b64 v[84:87], v68 offset1:32
	v_mul_u32_u24_sdwa v67, v95, s34 dst_sel:DWORD dst_unused:UNUSED_PAD src0_sel:WORD_0 src1_sel:DWORD
	ds_read2_b64 v[88:91], v68 offset0:64 offset1:96
	s_waitcnt lgkmcnt(3)
	v_pk_fma_f16 v66, v76, v67, v66
	v_pk_fma_f16 v65, v77, v67, v65
	v_mul_u32_u24_sdwa v67, v95, s34 dst_sel:DWORD dst_unused:UNUSED_PAD src0_sel:WORD_1 src1_sel:DWORD
	v_pk_fma_f16 v66, v78, v67, v66
	v_pk_fma_f16 v65, v79, v67, v65
	s_waitcnt lgkmcnt(2)
	v_mul_u32_u24_sdwa v67, v80, s34 dst_sel:DWORD dst_unused:UNUSED_PAD src0_sel:WORD_0 src1_sel:DWORD
	s_waitcnt lgkmcnt(1)
	v_pk_fma_f16 v66, v84, v67, v66
	v_pk_fma_f16 v65, v85, v67, v65
	v_mul_u32_u24_sdwa v67, v80, s34 dst_sel:DWORD dst_unused:UNUSED_PAD src0_sel:WORD_1 src1_sel:DWORD
	v_pk_fma_f16 v66, v86, v67, v66
	v_pk_fma_f16 v65, v87, v67, v65
	v_mul_u32_u24_sdwa v67, v81, s34 dst_sel:DWORD dst_unused:UNUSED_PAD src0_sel:WORD_0 src1_sel:DWORD
	ds_read2_b64 v[84:87], v68 offset0:128 offset1:160
	s_waitcnt lgkmcnt(1)
	v_pk_fma_f16 v66, v88, v67, v66
	v_pk_fma_f16 v65, v89, v67, v65
	v_mul_u32_u24_sdwa v67, v81, s34 dst_sel:DWORD dst_unused:UNUSED_PAD src0_sel:WORD_1 src1_sel:DWORD
	v_pk_fma_f16 v66, v90, v67, v66
	v_pk_fma_f16 v65, v91, v67, v65
	ds_read2_b64 v[88:91], v68 offset0:192 offset1:224
	v_mul_u32_u24_sdwa v67, v82, s34 dst_sel:DWORD dst_unused:UNUSED_PAD src0_sel:WORD_0 src1_sel:DWORD
	s_waitcnt lgkmcnt(1)
	v_pk_fma_f16 v66, v84, v67, v66
	v_pk_fma_f16 v65, v85, v67, v65
	v_mul_u32_u24_sdwa v67, v82, s34 dst_sel:DWORD dst_unused:UNUSED_PAD src0_sel:WORD_1 src1_sel:DWORD
	v_pk_fma_f16 v66, v86, v67, v66
	v_pk_fma_f16 v65, v87, v67, v65
	v_mul_u32_u24_sdwa v67, v83, s34 dst_sel:DWORD dst_unused:UNUSED_PAD src0_sel:WORD_0 src1_sel:DWORD
	ds_read_b128 v[76:79], v53 offset:80
	s_waitcnt lgkmcnt(1)
	v_pk_fma_f16 v66, v88, v67, v66
	v_pk_fma_f16 v65, v89, v67, v65
	v_add_u32_e32 v67, 0x2800, v42
	ds_read2_b64 v[84:87], v67 offset1:32
	v_mul_u32_u24_sdwa v68, v83, s34 dst_sel:DWORD dst_unused:UNUSED_PAD src0_sel:WORD_1 src1_sel:DWORD
	ds_read2_b64 v[80:83], v67 offset0:64 offset1:96
	v_pk_fma_f16 v66, v90, v68, v66
	v_pk_fma_f16 v65, v91, v68, v65
	s_waitcnt lgkmcnt(2)
	v_mul_u32_u24_sdwa v68, v76, s34 dst_sel:DWORD dst_unused:UNUSED_PAD src0_sel:WORD_0 src1_sel:DWORD
	s_waitcnt lgkmcnt(1)
	v_pk_fma_f16 v66, v84, v68, v66
	v_pk_fma_f16 v65, v85, v68, v65
	v_mul_u32_u24_sdwa v68, v76, s34 dst_sel:DWORD dst_unused:UNUSED_PAD src0_sel:WORD_1 src1_sel:DWORD
	v_pk_fma_f16 v66, v86, v68, v66
	v_pk_fma_f16 v65, v87, v68, v65
	v_mul_u32_u24_sdwa v68, v77, s34 dst_sel:DWORD dst_unused:UNUSED_PAD src0_sel:WORD_0 src1_sel:DWORD
	ds_read2_b64 v[84:87], v67 offset0:128 offset1:160
	s_waitcnt lgkmcnt(1)
	v_pk_fma_f16 v66, v80, v68, v66
	v_pk_fma_f16 v65, v81, v68, v65
	v_mul_u32_u24_sdwa v68, v77, s34 dst_sel:DWORD dst_unused:UNUSED_PAD src0_sel:WORD_1 src1_sel:DWORD
	v_pk_fma_f16 v66, v82, v68, v66
	v_pk_fma_f16 v65, v83, v68, v65
	ds_read2_b64 v[80:83], v67 offset0:192 offset1:224
	v_mul_u32_u24_sdwa v68, v78, s34 dst_sel:DWORD dst_unused:UNUSED_PAD src0_sel:WORD_0 src1_sel:DWORD
	s_waitcnt lgkmcnt(1)
	v_pk_fma_f16 v66, v84, v68, v66
	v_pk_fma_f16 v65, v85, v68, v65
	v_mul_u32_u24_sdwa v67, v78, s34 dst_sel:DWORD dst_unused:UNUSED_PAD src0_sel:WORD_1 src1_sel:DWORD
	v_pk_fma_f16 v66, v86, v67, v66
	v_pk_fma_f16 v65, v87, v67, v65
	v_mul_u32_u24_sdwa v67, v79, s34 dst_sel:DWORD dst_unused:UNUSED_PAD src0_sel:WORD_0 src1_sel:DWORD
	s_waitcnt lgkmcnt(0)
	v_pk_fma_f16 v66, v80, v67, v66
	v_pk_fma_f16 v65, v81, v67, v65
	v_mul_u32_u24_sdwa v67, v79, s34 dst_sel:DWORD dst_unused:UNUSED_PAD src0_sel:WORD_1 src1_sel:DWORD
	v_add_u32_e32 v68, 0x3000, v42
	ds_read_b128 v[76:79], v53 offset:96
	ds_read2_b64 v[84:87], v68 offset1:32
	ds_read2_b64 v[88:91], v68 offset0:64 offset1:96
	v_pk_fma_f16 v66, v82, v67, v66
	v_pk_fma_f16 v65, v83, v67, v65
	s_waitcnt lgkmcnt(2)
	v_mul_u32_u24_sdwa v67, v76, s34 dst_sel:DWORD dst_unused:UNUSED_PAD src0_sel:WORD_0 src1_sel:DWORD
	s_waitcnt lgkmcnt(1)
	v_pk_fma_f16 v66, v84, v67, v66
	v_pk_fma_f16 v65, v85, v67, v65
	v_mul_u32_u24_sdwa v67, v76, s34 dst_sel:DWORD dst_unused:UNUSED_PAD src0_sel:WORD_1 src1_sel:DWORD
	v_pk_fma_f16 v66, v86, v67, v66
	v_pk_fma_f16 v65, v87, v67, v65
	v_mul_u32_u24_sdwa v67, v77, s34 dst_sel:DWORD dst_unused:UNUSED_PAD src0_sel:WORD_0 src1_sel:DWORD
	ds_read2_b64 v[84:87], v68 offset0:128 offset1:160
	s_waitcnt lgkmcnt(1)
	v_pk_fma_f16 v66, v88, v67, v66
	v_pk_fma_f16 v65, v89, v67, v65
	v_mul_u32_u24_sdwa v67, v77, s34 dst_sel:DWORD dst_unused:UNUSED_PAD src0_sel:WORD_1 src1_sel:DWORD
	v_pk_fma_f16 v66, v90, v67, v66
	v_pk_fma_f16 v65, v91, v67, v65
	ds_read2_b64 v[88:91], v68 offset0:192 offset1:224
	v_mul_u32_u24_sdwa v67, v78, s34 dst_sel:DWORD dst_unused:UNUSED_PAD src0_sel:WORD_0 src1_sel:DWORD
	s_waitcnt lgkmcnt(1)
	v_pk_fma_f16 v66, v84, v67, v66
	v_pk_fma_f16 v65, v85, v67, v65
	v_mul_u32_u24_sdwa v67, v78, s34 dst_sel:DWORD dst_unused:UNUSED_PAD src0_sel:WORD_1 src1_sel:DWORD
	v_pk_fma_f16 v66, v86, v67, v66
	v_pk_fma_f16 v65, v87, v67, v65
	v_mul_u32_u24_sdwa v67, v79, s34 dst_sel:DWORD dst_unused:UNUSED_PAD src0_sel:WORD_0 src1_sel:DWORD
	ds_read_b128 v[80:83], v53 offset:112
	s_waitcnt lgkmcnt(1)
	v_pk_fma_f16 v66, v88, v67, v66
	v_pk_fma_f16 v65, v89, v67, v65
	v_add_u32_e32 v67, 0x3800, v42
	ds_read2_b64 v[84:87], v67 offset1:32
	v_mul_u32_u24_sdwa v68, v79, s34 dst_sel:DWORD dst_unused:UNUSED_PAD src0_sel:WORD_1 src1_sel:DWORD
	ds_read2_b64 v[76:79], v67 offset0:64 offset1:96
	v_pk_fma_f16 v66, v90, v68, v66
	v_pk_fma_f16 v65, v91, v68, v65
	s_waitcnt lgkmcnt(2)
	v_mul_u32_u24_sdwa v68, v80, s34 dst_sel:DWORD dst_unused:UNUSED_PAD src0_sel:WORD_0 src1_sel:DWORD
	s_waitcnt lgkmcnt(1)
	v_pk_fma_f16 v66, v84, v68, v66
	v_pk_fma_f16 v65, v85, v68, v65
	v_mul_u32_u24_sdwa v68, v80, s34 dst_sel:DWORD dst_unused:UNUSED_PAD src0_sel:WORD_1 src1_sel:DWORD
	v_pk_fma_f16 v66, v86, v68, v66
	v_pk_fma_f16 v65, v87, v68, v65
	v_mul_u32_u24_sdwa v68, v81, s34 dst_sel:DWORD dst_unused:UNUSED_PAD src0_sel:WORD_0 src1_sel:DWORD
	s_waitcnt lgkmcnt(0)
	v_pk_fma_f16 v66, v76, v68, v66
	v_pk_fma_f16 v65, v77, v68, v65
	ds_read2_b64 v[84:87], v67 offset0:128 offset1:160
	v_mul_u32_u24_sdwa v68, v81, s34 dst_sel:DWORD dst_unused:UNUSED_PAD src0_sel:WORD_1 src1_sel:DWORD
	v_pk_fma_f16 v66, v78, v68, v66
	v_pk_fma_f16 v65, v79, v68, v65
	ds_read2_b64 v[76:79], v67 offset0:192 offset1:224
	s_waitcnt lgkmcnt(0)
	s_barrier
	s_load_dword s6, s[4:5], 0x4
	v_mul_u32_u24_sdwa v68, v82, s34 dst_sel:DWORD dst_unused:UNUSED_PAD src0_sel:WORD_0 src1_sel:DWORD
	v_pk_fma_f16 v66, v84, v68, v66
	v_pk_fma_f16 v65, v85, v68, v65
	v_mul_u32_u24_sdwa v68, v82, s34 dst_sel:DWORD dst_unused:UNUSED_PAD src0_sel:WORD_1 src1_sel:DWORD
	v_pk_fma_f16 v66, v86, v68, v66
	v_pk_fma_f16 v65, v87, v68, v65
	v_mul_u32_u24_sdwa v67, v83, s34 dst_sel:DWORD dst_unused:UNUSED_PAD src0_sel:WORD_0 src1_sel:DWORD
	s_waitcnt lgkmcnt(0)
	s_lshl_b32 s6, s6, 6
	v_pk_fma_f16 v66, v76, v67, v66
	v_pk_fma_f16 v65, v77, v67, v65
	v_mul_u32_u24_sdwa v67, v83, s34 dst_sel:DWORD dst_unused:UNUSED_PAD src0_sel:WORD_1 src1_sel:DWORD
	s_add_i32 s2, s6, s2
	v_pk_fma_f16 v66, v78, v67, v66
	s_cmp_ge_i32 s2, s28
	v_pk_fma_f16 v65, v79, v67, v65
	s_cbranch_scc1 .LBB79_7
; %bb.20:                               ;   in Loop: Header=BB79_11 Depth=1
	v_mov_b32_e32 v68, v38
	v_mov_b32_e32 v67, v74
	s_branch .LBB79_11
.LBB79_21:
	v_mov_b32_e32 v5, v39
.LBB79_22:
	s_load_dword s2, s[0:1], 0xd4
	v_div_scale_f32 v1, s[0:1], v5, v5, 1.0
	v_rcp_f32_e32 v4, v1
	s_mul_i32 s33, s33, s22
	s_waitcnt lgkmcnt(0)
	s_cmp_lg_u32 s2, 1
	s_cselect_b64 s[0:1], -1, 0
	v_fma_f32 v8, -v1, v4, 1.0
	v_fmac_f32_e32 v4, v8, v4
	v_div_scale_f32 v8, vcc, 1.0, v5, 1.0
	v_mul_f32_e32 v9, v8, v4
	v_fma_f32 v10, -v1, v9, v8
	v_fmac_f32_e32 v9, v10, v4
	v_fma_f32 v1, -v1, v9, v8
	v_div_fmas_f32 v1, v1, v4, v9
	v_div_fixup_f32 v1, v1, v5, 1.0
	v_cndmask_b32_e64 v4, v1, 1.0, s[0:1]
	v_add_u32_e32 v1, s33, v3
	v_mad_u64_u32 v[0:1], s[4:5], v1, s23, v[0:1]
	v_cmp_eq_u32_e32 vcc, 0, v2
	v_cvt_f32_f16_sdwa v3, v66 dst_sel:DWORD dst_unused:UNUSED_PAD src0_sel:WORD_1
	v_cvt_f32_f16_e32 v2, v66
	v_cvt_f32_f16_sdwa v11, v65 dst_sel:DWORD dst_unused:UNUSED_PAD src0_sel:WORD_1
	v_cvt_f32_f16_e32 v10, v65
	v_mul_lo_u32 v0, s2, v0
	v_add_u32_e32 v0, s3, v0
	v_mov_b32_e32 v6, s16
	v_mov_b32_e32 v7, s17
	v_lshl_add_u32 v8, v0, 7, v41
	v_mov_b32_e32 v9, 0
	v_lshl_add_u64 v[6:7], v[8:9], 2, v[6:7]
	s_and_b64 s[0:1], vcc, s[0:1]
	v_pk_mul_f32 v[2:3], v[4:5], v[2:3] op_sel_hi:[0,1]
	v_pk_mul_f32 v[4:5], v[4:5], v[10:11] op_sel_hi:[0,1]
	global_store_dwordx4 v[6:7], v[2:5], off
	s_and_saveexec_b64 s[2:3], s[0:1]
	s_cbranch_execz .LBB79_24
; %bb.23:
	v_mov_b32_e32 v2, s18
	v_mov_b32_e32 v3, s19
	v_ashrrev_i32_e32 v1, 31, v0
	v_lshl_add_u64 v[0:1], v[0:1], 3, v[2:3]
	global_store_dwordx2 v[0:1], v[38:39], off
.LBB79_24:
	s_endpgm
	.section	.rodata,"a",@progbits
	.p2align	6, 0x0
	.amdhsa_kernel _ZL15flash_attn_tileILi128ELi128ELi1ELi4ELb1EEvPKcS1_S1_S1_S1_PKiPfP15HIP_vector_typeIfLj2EEffffjfiS5_IjLj3EEiiiiiiiiiiiliiliiiiil
		.amdhsa_group_segment_fixed_size 18944
		.amdhsa_private_segment_fixed_size 0
		.amdhsa_kernarg_size 464
		.amdhsa_user_sgpr_count 2
		.amdhsa_user_sgpr_dispatch_ptr 0
		.amdhsa_user_sgpr_queue_ptr 0
		.amdhsa_user_sgpr_kernarg_segment_ptr 1
		.amdhsa_user_sgpr_dispatch_id 0
		.amdhsa_user_sgpr_kernarg_preload_length 0
		.amdhsa_user_sgpr_kernarg_preload_offset 0
		.amdhsa_user_sgpr_private_segment_size 0
		.amdhsa_uses_dynamic_stack 0
		.amdhsa_enable_private_segment 0
		.amdhsa_system_sgpr_workgroup_id_x 1
		.amdhsa_system_sgpr_workgroup_id_y 1
		.amdhsa_system_sgpr_workgroup_id_z 1
		.amdhsa_system_sgpr_workgroup_info 0
		.amdhsa_system_vgpr_workitem_id 1
		.amdhsa_next_free_vgpr 119
		.amdhsa_next_free_sgpr 96
		.amdhsa_accum_offset 120
		.amdhsa_reserve_vcc 1
		.amdhsa_float_round_mode_32 0
		.amdhsa_float_round_mode_16_64 0
		.amdhsa_float_denorm_mode_32 3
		.amdhsa_float_denorm_mode_16_64 3
		.amdhsa_dx10_clamp 1
		.amdhsa_ieee_mode 1
		.amdhsa_fp16_overflow 0
		.amdhsa_tg_split 0
		.amdhsa_exception_fp_ieee_invalid_op 0
		.amdhsa_exception_fp_denorm_src 0
		.amdhsa_exception_fp_ieee_div_zero 0
		.amdhsa_exception_fp_ieee_overflow 0
		.amdhsa_exception_fp_ieee_underflow 0
		.amdhsa_exception_fp_ieee_inexact 0
		.amdhsa_exception_int_div_zero 0
	.end_amdhsa_kernel
	.section	.text._ZL15flash_attn_tileILi128ELi128ELi1ELi4ELb1EEvPKcS1_S1_S1_S1_PKiPfP15HIP_vector_typeIfLj2EEffffjfiS5_IjLj3EEiiiiiiiiiiiliiliiiiil,"axG",@progbits,_ZL15flash_attn_tileILi128ELi128ELi1ELi4ELb1EEvPKcS1_S1_S1_S1_PKiPfP15HIP_vector_typeIfLj2EEffffjfiS5_IjLj3EEiiiiiiiiiiiliiliiiiil,comdat
.Lfunc_end79:
	.size	_ZL15flash_attn_tileILi128ELi128ELi1ELi4ELb1EEvPKcS1_S1_S1_S1_PKiPfP15HIP_vector_typeIfLj2EEffffjfiS5_IjLj3EEiiiiiiiiiiiliiliiiiil, .Lfunc_end79-_ZL15flash_attn_tileILi128ELi128ELi1ELi4ELb1EEvPKcS1_S1_S1_S1_PKiPfP15HIP_vector_typeIfLj2EEffffjfiS5_IjLj3EEiiiiiiiiiiiliiliiiiil
                                        ; -- End function
	.set _ZL15flash_attn_tileILi128ELi128ELi1ELi4ELb1EEvPKcS1_S1_S1_S1_PKiPfP15HIP_vector_typeIfLj2EEffffjfiS5_IjLj3EEiiiiiiiiiiiliiliiiiil.num_vgpr, 119
	.set _ZL15flash_attn_tileILi128ELi128ELi1ELi4ELb1EEvPKcS1_S1_S1_S1_PKiPfP15HIP_vector_typeIfLj2EEffffjfiS5_IjLj3EEiiiiiiiiiiiliiliiiiil.num_agpr, 0
	.set _ZL15flash_attn_tileILi128ELi128ELi1ELi4ELb1EEvPKcS1_S1_S1_S1_PKiPfP15HIP_vector_typeIfLj2EEffffjfiS5_IjLj3EEiiiiiiiiiiiliiliiiiil.numbered_sgpr, 40
	.set _ZL15flash_attn_tileILi128ELi128ELi1ELi4ELb1EEvPKcS1_S1_S1_S1_PKiPfP15HIP_vector_typeIfLj2EEffffjfiS5_IjLj3EEiiiiiiiiiiiliiliiiiil.num_named_barrier, 0
	.set _ZL15flash_attn_tileILi128ELi128ELi1ELi4ELb1EEvPKcS1_S1_S1_S1_PKiPfP15HIP_vector_typeIfLj2EEffffjfiS5_IjLj3EEiiiiiiiiiiiliiliiiiil.private_seg_size, 0
	.set _ZL15flash_attn_tileILi128ELi128ELi1ELi4ELb1EEvPKcS1_S1_S1_S1_PKiPfP15HIP_vector_typeIfLj2EEffffjfiS5_IjLj3EEiiiiiiiiiiiliiliiiiil.uses_vcc, 1
	.set _ZL15flash_attn_tileILi128ELi128ELi1ELi4ELb1EEvPKcS1_S1_S1_S1_PKiPfP15HIP_vector_typeIfLj2EEffffjfiS5_IjLj3EEiiiiiiiiiiiliiliiiiil.uses_flat_scratch, 0
	.set _ZL15flash_attn_tileILi128ELi128ELi1ELi4ELb1EEvPKcS1_S1_S1_S1_PKiPfP15HIP_vector_typeIfLj2EEffffjfiS5_IjLj3EEiiiiiiiiiiiliiliiiiil.has_dyn_sized_stack, 0
	.set _ZL15flash_attn_tileILi128ELi128ELi1ELi4ELb1EEvPKcS1_S1_S1_S1_PKiPfP15HIP_vector_typeIfLj2EEffffjfiS5_IjLj3EEiiiiiiiiiiiliiliiiiil.has_recursion, 0
	.set _ZL15flash_attn_tileILi128ELi128ELi1ELi4ELb1EEvPKcS1_S1_S1_S1_PKiPfP15HIP_vector_typeIfLj2EEffffjfiS5_IjLj3EEiiiiiiiiiiiliiliiiiil.has_indirect_call, 0
	.section	.AMDGPU.csdata,"",@progbits
; Kernel info:
; codeLenInByte = 8972
; TotalNumSgprs: 46
; NumVgprs: 119
; NumAgprs: 0
; TotalNumVgprs: 119
; ScratchSize: 0
; MemoryBound: 0
; FloatMode: 240
; IeeeMode: 1
; LDSByteSize: 18944 bytes/workgroup (compile time only)
; SGPRBlocks: 12
; VGPRBlocks: 14
; NumSGPRsForWavesPerEU: 102
; NumVGPRsForWavesPerEU: 119
; AccumOffset: 120
; Occupancy: 4
; WaveLimiterHint : 1
; COMPUTE_PGM_RSRC2:SCRATCH_EN: 0
; COMPUTE_PGM_RSRC2:USER_SGPR: 2
; COMPUTE_PGM_RSRC2:TRAP_HANDLER: 0
; COMPUTE_PGM_RSRC2:TGID_X_EN: 1
; COMPUTE_PGM_RSRC2:TGID_Y_EN: 1
; COMPUTE_PGM_RSRC2:TGID_Z_EN: 1
; COMPUTE_PGM_RSRC2:TIDIG_COMP_CNT: 1
; COMPUTE_PGM_RSRC3_GFX90A:ACCUM_OFFSET: 29
; COMPUTE_PGM_RSRC3_GFX90A:TG_SPLIT: 0
	.section	.text._ZL15flash_attn_tileILi128ELi128ELi32ELi2ELb1EEvPKcS1_S1_S1_S1_PKiPfP15HIP_vector_typeIfLj2EEffffjfiS5_IjLj3EEiiiiiiiiiiiliiliiiiil,"axG",@progbits,_ZL15flash_attn_tileILi128ELi128ELi32ELi2ELb1EEvPKcS1_S1_S1_S1_PKiPfP15HIP_vector_typeIfLj2EEffffjfiS5_IjLj3EEiiiiiiiiiiiliiliiiiil,comdat
	.globl	_ZL15flash_attn_tileILi128ELi128ELi32ELi2ELb1EEvPKcS1_S1_S1_S1_PKiPfP15HIP_vector_typeIfLj2EEffffjfiS5_IjLj3EEiiiiiiiiiiiliiliiiiil ; -- Begin function _ZL15flash_attn_tileILi128ELi128ELi32ELi2ELb1EEvPKcS1_S1_S1_S1_PKiPfP15HIP_vector_typeIfLj2EEffffjfiS5_IjLj3EEiiiiiiiiiiiliiliiiiil
	.p2align	8
	.type	_ZL15flash_attn_tileILi128ELi128ELi32ELi2ELb1EEvPKcS1_S1_S1_S1_PKiPfP15HIP_vector_typeIfLj2EEffffjfiS5_IjLj3EEiiiiiiiiiiiliiliiiiil,@function
_ZL15flash_attn_tileILi128ELi128ELi32ELi2ELb1EEvPKcS1_S1_S1_S1_PKiPfP15HIP_vector_typeIfLj2EEffffjfiS5_IjLj3EEiiiiiiiiiiiliiliiiiil: ; @_ZL15flash_attn_tileILi128ELi128ELi32ELi2ELb1EEvPKcS1_S1_S1_S1_PKiPfP15HIP_vector_typeIfLj2EEffffjfiS5_IjLj3EEiiiiiiiiiiiliiliiiiil
; %bb.0:
	s_load_dwordx4 s[20:23], s[0:1], 0x5c
	s_load_dwordx2 s[30:31], s[0:1], 0x80
	s_load_dwordx2 s[36:37], s[0:1], 0xb8
	s_mov_b64 s[34:35], 0
	s_waitcnt lgkmcnt(0)
	s_lshr_b32 s5, s23, 31
	s_add_i32 s5, s23, s5
	s_ashr_i32 s5, s5, 1
	v_cvt_f32_u32_e32 v1, s5
	s_sub_i32 s6, 0, s5
	v_rcp_iflag_f32_e32 v1, v1
	s_nop 0
	v_mul_f32_e32 v1, 0x4f7ffffe, v1
	v_cvt_u32_f32_e32 v1, v1
	s_nop 0
	v_readfirstlane_b32 s7, v1
	s_mul_i32 s6, s6, s7
	s_mul_hi_u32 s6, s7, s6
	s_add_i32 s7, s7, s6
	s_mul_hi_u32 s6, s4, s7
	s_mul_i32 s7, s6, s5
	s_sub_i32 s7, s4, s7
	s_add_i32 s8, s6, 1
	s_sub_i32 s9, s7, s5
	s_cmp_ge_u32 s7, s5
	s_cselect_b32 s6, s8, s6
	s_cselect_b32 s7, s9, s7
	s_add_i32 s8, s6, 1
	s_cmp_ge_u32 s7, s5
	s_cselect_b32 s33, s8, s6
	s_abs_i32 s5, s31
	v_cvt_f32_u32_e32 v1, s5
	s_lshl_b32 s4, s4, 1
	s_mul_i32 s8, s33, s23
	s_sub_i32 s9, 0, s5
	v_rcp_iflag_f32_e32 v1, v1
	s_sub_i32 s28, s4, s8
	s_abs_i32 s7, s23
	s_xor_b32 s6, s23, s31
	v_mul_f32_e32 v1, 0x4f7ffffe, v1
	v_cvt_u32_f32_e32 v1, v1
	s_ashr_i32 s6, s6, 31
	v_readfirstlane_b32 s4, v1
	s_mul_i32 s9, s9, s4
	s_mul_hi_u32 s8, s4, s9
	s_add_i32 s4, s4, s8
	s_mul_hi_u32 s4, s7, s4
	s_mul_i32 s8, s4, s5
	s_sub_i32 s7, s7, s8
	s_add_i32 s9, s4, 1
	s_sub_i32 s8, s7, s5
	s_cmp_ge_u32 s7, s5
	s_cselect_b32 s4, s9, s4
	s_cselect_b32 s7, s8, s7
	s_add_i32 s8, s4, 1
	s_cmp_ge_u32 s7, s5
	s_cselect_b32 s4, s8, s4
	s_xor_b32 s4, s4, s6
	s_sub_i32 s38, s4, s6
	s_abs_i32 s29, s38
	v_cvt_f32_u32_e32 v1, s29
	s_load_dwordx16 s[4:19], s[0:1], 0x0
	v_rcp_iflag_f32_e32 v1, v1
	s_waitcnt lgkmcnt(0)
	s_cmp_eq_u64 s[10:11], 0
	v_mul_f32_e32 v1, 0x4f7ffffe, v1
	v_cvt_u32_f32_e32 v1, v1
	s_nop 0
	v_readfirstlane_b32 s39, v1
	s_cbranch_scc1 .LBB80_2
; %bb.1:
	s_abs_i32 s26, s36
	v_cvt_f32_u32_e32 v1, s26
	s_sub_i32 s34, 0, s26
	s_abs_i32 s31, s33
	s_ashr_i32 s27, s33, 31
	v_rcp_iflag_f32_e32 v1, v1
	s_load_dwordx2 s[24:25], s[0:1], 0xc8
	v_mul_f32_e32 v1, 0x4f7ffffe, v1
	v_cvt_u32_f32_e32 v1, v1
	s_nop 0
	v_readfirstlane_b32 s35, v1
	s_mul_i32 s34, s34, s35
	s_mul_hi_u32 s34, s35, s34
	s_add_i32 s35, s35, s34
	s_mul_hi_u32 s34, s31, s35
	s_mul_i32 s34, s34, s26
	s_sub_i32 s31, s31, s34
	s_sub_i32 s34, s31, s26
	s_cmp_ge_u32 s31, s26
	s_cselect_b32 s31, s34, s31
	s_sub_i32 s34, s31, s26
	s_cmp_ge_u32 s31, s26
	s_cselect_b32 s26, s34, s31
	s_xor_b32 s26, s26, s27
	s_sub_i32 s26, s26, s27
	s_ashr_i32 s27, s26, 31
	s_waitcnt lgkmcnt(0)
	s_mul_hi_u32 s31, s24, s26
	s_mul_i32 s27, s24, s27
	s_mul_i32 s25, s25, s26
	s_add_i32 s27, s31, s27
	s_add_i32 s27, s27, s25
	s_mul_i32 s24, s24, s26
	s_add_u32 s34, s10, s24
	s_addc_u32 s35, s11, s27
.LBB80_2:
	s_load_dwordx4 s[24:27], s[0:1], 0x70
	v_bfe_u32 v2, v0, 10, 10
	s_lshl_b32 s31, s2, 5
	v_lshlrev_b32_e32 v52, 2, v2
	v_add_u32_e32 v55, s31, v52
	s_waitcnt lgkmcnt(0)
	s_mul_i32 s10, s33, s26
	s_ashr_i32 s26, s10, 31
	s_mul_i32 s11, s28, s25
	s_add_u32 s4, s4, s10
	v_and_b32_e32 v53, 0x3ff, v0
	v_mul_hi_u32 v0, v55, s20
	s_addc_u32 s5, s5, s26
	s_ashr_i32 s26, s11, 31
	v_add_u32_e32 v0, v55, v0
	s_add_u32 s10, s4, s11
	v_lshrrev_b32_e32 v0, s21, v0
	s_addc_u32 s11, s5, s26
	s_ashr_i32 s27, s24, 31
	s_mov_b32 s26, s24
	v_mul_lo_u32 v0, v0, s22
	s_lshr_b64 s[4:5], s[26:27], 2
	v_sub_u32_e32 v4, v55, v0
	v_mad_u64_u32 v[0:1], s[40:41], s4, v4, 0
	v_mov_b32_e32 v6, v1
	s_lshr_b32 s26, s27, 2
	v_mad_u64_u32 v[6:7], s[40:41], s26, v4, v[6:7]
	v_mov_b32_e32 v1, v6
	v_lshlrev_b64 v[10:11], 2, v[0:1]
	v_lshl_add_u64 v[6:7], s[10:11], 0, v[10:11]
	v_lshlrev_b32_e32 v0, 4, v53
	v_mov_b32_e32 v1, 0
	v_lshl_add_u64 v[6:7], v[6:7], 0, v[0:1]
	global_load_dwordx4 v[6:9], v[6:7], off
	v_lshlrev_b32_e32 v5, 3, v2
	v_or_b32_e32 v37, 2, v5
	v_or_b32_e32 v38, 3, v5
	;; [unrolled: 1-line block ×3, first 2 shown]
	v_lshrrev_b32_e32 v51, 1, v37
	v_lshrrev_b32_e32 v48, 1, v38
	v_lshrrev_b32_e32 v45, 1, v39
	v_add_u32_e32 v54, s31, v51
	v_add_u32_e32 v50, s31, v48
	;; [unrolled: 1-line block ×3, first 2 shown]
	v_mul_hi_u32 v12, v54, s20
	s_ashr_i32 s27, s25, 31
	s_and_b32 s24, s25, -4
	v_mul_hi_u32 v13, v50, s20
	v_mul_hi_u32 v14, v47, s20
	v_add_u32_e32 v12, v54, v12
	s_add_u32 s24, s10, s24
	v_add_u32_e32 v13, v50, v13
	v_add_u32_e32 v14, v47, v14
	v_lshrrev_b32_e32 v12, s21, v12
	s_addc_u32 s25, s11, s27
	v_lshrrev_b32_e32 v13, s21, v13
	v_lshrrev_b32_e32 v14, s21, v14
	v_mul_lo_u32 v12, v12, s22
	v_lshl_add_u64 v[10:11], s[24:25], 0, v[10:11]
	s_load_dword s5, s[0:1], 0x40
	v_mul_lo_u32 v13, v13, s22
	v_mul_lo_u32 v14, v14, s22
	v_sub_u32_e32 v19, v54, v12
	v_lshl_add_u64 v[10:11], v[10:11], 0, v[0:1]
	v_sub_u32_e32 v21, v50, v13
	v_sub_u32_e32 v25, v47, v14
	v_mad_u64_u32 v[14:15], s[40:41], s4, v19, 0
	global_load_dwordx4 v[10:13], v[10:11], off
	v_mad_u64_u32 v[16:17], s[40:41], s4, v21, 0
	v_mov_b32_e32 v18, v15
	v_mov_b32_e32 v20, v17
	v_mad_u64_u32 v[18:19], s[40:41], s26, v19, v[18:19]
	v_mad_u64_u32 v[20:21], s[40:41], s26, v21, v[20:21]
	v_mov_b32_e32 v15, v18
	v_mad_u64_u32 v[22:23], s[40:41], s4, v25, 0
	v_mov_b32_e32 v17, v20
	v_lshl_add_u64 v[14:15], v[14:15], 2, s[10:11]
	v_mov_b32_e32 v24, v23
	v_lshl_add_u64 v[16:17], v[16:17], 2, s[24:25]
	v_lshl_add_u64 v[26:27], v[14:15], 0, v[0:1]
	v_or_b32_e32 v57, 5, v5
	v_lshl_add_u64 v[28:29], v[16:17], 0, v[0:1]
	global_load_dwordx4 v[14:17], v[26:27], off
	global_load_dwordx4 v[18:21], v[28:29], off
	v_lshrrev_b32_e32 v44, 1, v57
	v_add_u32_e32 v46, s31, v44
	v_or_b32_e32 v58, 6, v5
	v_lshrrev_b32_e32 v42, 1, v58
	v_add_u32_e32 v43, s31, v42
	v_mul_hi_u32 v26, v43, s20
	v_add_u32_e32 v26, v43, v26
	v_lshrrev_b32_e32 v26, s21, v26
	v_or_b32_e32 v59, 7, v5
	v_mul_lo_u32 v26, v26, s22
	v_lshrrev_b32_e32 v40, 1, v59
	v_sub_u32_e32 v29, v43, v26
	v_add_u32_e32 v41, s31, v40
	v_mad_u64_u32 v[26:27], s[40:41], s4, v29, 0
	v_mul_hi_u32 v30, v41, s20
	v_mov_b32_e32 v28, v27
	v_add_u32_e32 v30, v41, v30
	v_mad_u64_u32 v[28:29], s[40:41], s26, v29, v[28:29]
	v_lshrrev_b32_e32 v30, s21, v30
	v_mov_b32_e32 v27, v28
	v_mul_lo_u32 v30, v30, s22
	v_lshl_add_u64 v[26:27], v[26:27], 2, s[10:11]
	v_sub_u32_e32 v33, v41, v30
	s_waitcnt vmcnt(3) lgkmcnt(0)
	v_fma_mixlo_f16 v6, s5, v6, 0
	v_fma_mixlo_f16 v7, s5, v7, 0
	v_lshlrev_b32_e32 v7, 16, v7
	v_and_b32_e32 v6, 0xffff, v6
	v_or_b32_e32 v49, v7, v6
	v_mad_u64_u32 v[6:7], s[40:41], s26, v25, v[24:25]
	v_mov_b32_e32 v23, v6
	v_lshl_add_u64 v[6:7], v[22:23], 2, s[10:11]
	v_mul_hi_u32 v22, v46, s20
	v_add_u32_e32 v22, v46, v22
	v_lshrrev_b32_e32 v22, s21, v22
	v_mul_lo_u32 v22, v22, s22
	v_sub_u32_e32 v25, v46, v22
	v_fma_mixlo_f16 v8, s5, v8, 0
	v_fma_mixlo_f16 v9, s5, v9, 0
	v_lshl_add_u64 v[6:7], v[6:7], 0, v[0:1]
	v_mad_u64_u32 v[22:23], s[40:41], s4, v25, 0
	v_lshlrev_b32_e32 v34, 16, v9
	v_and_b32_e32 v35, 0xffff, v8
	global_load_dwordx4 v[6:9], v[6:7], off
	v_mov_b32_e32 v24, v23
	v_mad_u64_u32 v[24:25], s[40:41], s26, v25, v[24:25]
	v_mov_b32_e32 v23, v24
	v_lshl_add_u64 v[22:23], v[22:23], 2, s[24:25]
	v_lshl_add_u64 v[22:23], v[22:23], 0, v[0:1]
	global_load_dwordx4 v[22:25], v[22:23], off
	v_lshl_add_u64 v[26:27], v[26:27], 0, v[0:1]
	v_mad_u64_u32 v[30:31], s[10:11], s4, v33, 0
	global_load_dwordx4 v[26:29], v[26:27], off
	v_mov_b32_e32 v32, v31
	v_mad_u64_u32 v[32:33], s[10:11], s26, v33, v[32:33]
	v_mov_b32_e32 v31, v32
	v_lshl_add_u64 v[30:31], v[30:31], 2, s[24:25]
	v_lshl_add_u64 v[30:31], v[30:31], 0, v[0:1]
	global_load_dwordx4 v[30:33], v[30:31], off
	s_waitcnt vmcnt(6)
	v_fma_mixlo_f16 v1, s5, v10, 0
	v_fma_mixlo_f16 v10, s5, v11, 0
	v_lshlrev_b32_e32 v10, 16, v10
	v_and_b32_e32 v1, 0xffff, v1
	v_or_b32_e32 v1, v10, v1
	v_fma_mixlo_f16 v10, s5, v12, 0
	v_fma_mixlo_f16 v11, s5, v13, 0
	v_lshlrev_b32_e32 v3, 3, v53
	v_lshlrev_b32_e32 v56, 11, v2
	v_lshlrev_b32_e32 v11, 16, v11
	v_and_b32_e32 v10, 0xffff, v10
	v_add_u32_e32 v36, v3, v56
	v_or3_b32 v35, v34, v35, 0
	v_or3_b32 v34, 0, 0, v49
	v_or3_b32 v11, v11, v10, 0
	v_or3_b32 v10, 0, 0, v1
	ds_write2_b64 v36, v[34:35], v[10:11] offset1:32
	s_waitcnt vmcnt(5)
	v_fma_mixlo_f16 v1, s5, v14, 0
	v_fma_mixlo_f16 v10, s5, v15, 0
	v_lshlrev_b32_e32 v10, 16, v10
	v_and_b32_e32 v1, 0xffff, v1
	v_or_b32_e32 v1, v10, v1
	v_fma_mixlo_f16 v10, s5, v16, 0
	v_fma_mixlo_f16 v11, s5, v17, 0
	v_lshlrev_b32_e32 v11, 16, v11
	v_and_b32_e32 v10, 0xffff, v10
	v_lshl_add_u32 v12, v37, 8, v3
	v_or3_b32 v11, v11, v10, 0
	v_or3_b32 v10, 0, 0, v1
	ds_write_b64 v12, v[10:11]
	s_waitcnt vmcnt(4)
	v_fma_mixlo_f16 v1, s5, v18, 0
	v_fma_mixlo_f16 v10, s5, v19, 0
	v_lshlrev_b32_e32 v10, 16, v10
	v_and_b32_e32 v1, 0xffff, v1
	v_or_b32_e32 v1, v10, v1
	v_fma_mixlo_f16 v10, s5, v20, 0
	v_fma_mixlo_f16 v11, s5, v21, 0
	v_lshlrev_b32_e32 v11, 16, v11
	v_and_b32_e32 v10, 0xffff, v10
	v_or3_b32 v11, v11, v10, 0
	v_or3_b32 v10, 0, 0, v1
	v_lshl_add_u32 v12, v38, 8, v3
	s_cmp_eq_u64 s[14:15], 0
	ds_write_b64 v12, v[10:11]
	s_waitcnt vmcnt(3)
	v_fma_mixlo_f16 v1, s5, v6, 0
	v_fma_mixlo_f16 v6, s5, v7, 0
	v_lshlrev_b32_e32 v6, 16, v6
	v_and_b32_e32 v1, 0xffff, v1
	v_or_b32_e32 v1, v6, v1
	v_fma_mixlo_f16 v6, s5, v8, 0
	v_fma_mixlo_f16 v7, s5, v9, 0
	v_lshlrev_b32_e32 v7, 16, v7
	v_and_b32_e32 v6, 0xffff, v6
	v_lshl_add_u32 v8, v39, 8, v3
	v_or3_b32 v7, v7, v6, 0
	v_or3_b32 v6, 0, 0, v1
	ds_write_b64 v8, v[6:7]
	s_waitcnt vmcnt(2)
	v_fma_mixlo_f16 v1, s5, v22, 0
	v_fma_mixlo_f16 v6, s5, v23, 0
	v_lshlrev_b32_e32 v6, 16, v6
	v_and_b32_e32 v1, 0xffff, v1
	v_or_b32_e32 v1, v6, v1
	v_fma_mixlo_f16 v6, s5, v24, 0
	v_fma_mixlo_f16 v7, s5, v25, 0
	v_lshlrev_b32_e32 v7, 16, v7
	v_and_b32_e32 v6, 0xffff, v6
	v_lshl_add_u32 v8, v57, 8, v3
	v_or3_b32 v7, v7, v6, 0
	v_or3_b32 v6, 0, 0, v1
	;; [unrolled: 14-line block ×4, first 2 shown]
	ds_write_b64 v8, v[6:7]
	s_waitcnt lgkmcnt(0)
	s_barrier
	s_cbranch_scc1 .LBB80_4
; %bb.3:
	s_load_dword s4, s[0:1], 0xd0
	s_mov_b32 s5, 0
	s_waitcnt lgkmcnt(0)
	s_mul_i32 s4, s4, s33
	s_add_i32 s4, s4, s2
	s_lshl_b64 s[4:5], s[4:5], 2
	s_add_u32 s4, s14, s4
	s_addc_u32 s5, s15, s5
	s_load_dword s30, s[4:5], 0x0
.LBB80_4:
	s_lshl_b32 s2, s3, 6
	s_waitcnt lgkmcnt(0)
	s_cmp_lt_i32 s2, s30
	v_mbcnt_lo_u32_b32 v1, -1, 0
	s_cbranch_scc1 .LBB80_49
; %bb.5:
	v_mbcnt_hi_u32_b32 v20, -1, v1
	v_and_b32_e32 v6, 0x60, v20
	v_add_u32_e32 v86, 32, v6
	v_xor_b32_e32 v88, 16, v20
	v_xor_b32_e32 v91, 8, v20
	v_xor_b32_e32 v90, 4, v20
	v_xor_b32_e32 v89, 2, v20
	v_xor_b32_e32 v87, 1, v20
	v_lshlrev_b32_e32 v49, 2, v53
	s_cbranch_execz .LBB80_50
; %bb.6:
	v_mov_b32_e32 v9, 0
	v_mov_b32_e32 v38, 0
	;; [unrolled: 1-line block ×32, first 2 shown]
.LBB80_7:
	v_cmp_lt_i32_e32 vcc, v88, v86
	s_cmp_lg_u64 s[12:13], 0
	s_cselect_b64 s[4:5], -1, 0
	v_cndmask_b32_e32 v16, v20, v88, vcc
	v_cmp_lt_i32_e32 vcc, v91, v86
	v_lshlrev_b32_e32 v23, 2, v16
	ds_bpermute_b32 v19, v23, v13
	v_cndmask_b32_e32 v18, v20, v91, vcc
	v_cmp_lt_i32_e32 vcc, v90, v86
	v_lshlrev_b32_e32 v26, 2, v18
	ds_bpermute_b32 v16, v23, v14
	v_cndmask_b32_e32 v18, v20, v90, vcc
	v_lshlrev_b32_e32 v27, 2, v18
	ds_bpermute_b32 v18, v23, v12
	ds_bpermute_b32 v17, v23, v15
	;; [unrolled: 1-line block ×4, first 2 shown]
	v_cmp_lt_i32_e32 vcc, v89, v86
	s_waitcnt lgkmcnt(3)
	v_pk_add_f32 v[12:13], v[12:13], v[18:19]
	ds_bpermute_b32 v18, v26, v12
	ds_bpermute_b32 v19, v26, v13
	s_waitcnt lgkmcnt(4)
	v_pk_add_f32 v[14:15], v[14:15], v[16:17]
	v_cndmask_b32_e32 v22, v20, v89, vcc
	s_waitcnt lgkmcnt(2)
	v_pk_add_f32 v[8:9], v[8:9], v[24:25]
	ds_bpermute_b32 v16, v26, v14
	s_waitcnt lgkmcnt(1)
	v_pk_add_f32 v[12:13], v[12:13], v[18:19]
	ds_bpermute_b32 v18, v27, v12
	ds_bpermute_b32 v19, v27, v13
	;; [unrolled: 1-line block ×3, first 2 shown]
	v_lshlrev_b32_e32 v28, 2, v22
	ds_bpermute_b32 v24, v26, v8
	ds_bpermute_b32 v25, v26, v9
	s_waitcnt lgkmcnt(3)
	v_pk_add_f32 v[12:13], v[12:13], v[18:19]
	ds_bpermute_b32 v18, v23, v10
	ds_bpermute_b32 v19, v23, v11
	;; [unrolled: 1-line block ×4, first 2 shown]
	s_waitcnt lgkmcnt(6)
	v_pk_add_f32 v[14:15], v[14:15], v[16:17]
	s_waitcnt lgkmcnt(4)
	v_pk_add_f32 v[8:9], v[8:9], v[24:25]
	s_waitcnt lgkmcnt(2)
	v_pk_add_f32 v[10:11], v[10:11], v[18:19]
	ds_bpermute_b32 v18, v26, v10
	ds_bpermute_b32 v19, v26, v11
	ds_bpermute_b32 v16, v27, v14
	ds_bpermute_b32 v17, v27, v15
	s_waitcnt lgkmcnt(4)
	v_pk_add_f32 v[12:13], v[12:13], v[22:23]
	ds_bpermute_b32 v22, v27, v8
	s_waitcnt lgkmcnt(3)
	v_pk_add_f32 v[10:11], v[10:11], v[18:19]
	ds_bpermute_b32 v18, v27, v10
	ds_bpermute_b32 v19, v27, v11
	;; [unrolled: 1-line block ×3, first 2 shown]
	s_waitcnt lgkmcnt(4)
	v_pk_add_f32 v[14:15], v[14:15], v[16:17]
	ds_bpermute_b32 v16, v28, v14
	ds_bpermute_b32 v17, v28, v15
	s_waitcnt lgkmcnt(3)
	v_pk_add_f32 v[10:11], v[10:11], v[18:19]
	s_waitcnt lgkmcnt(2)
	v_pk_add_f32 v[8:9], v[8:9], v[22:23]
	ds_bpermute_b32 v18, v28, v10
	ds_bpermute_b32 v19, v28, v11
	;; [unrolled: 1-line block ×4, first 2 shown]
	v_cmp_lt_i32_e32 vcc, v87, v86
	s_waitcnt lgkmcnt(4)
	v_pk_add_f32 v[14:15], v[14:15], v[16:17]
	s_waitcnt lgkmcnt(2)
	v_pk_add_f32 v[10:11], v[10:11], v[18:19]
	v_cndmask_b32_e32 v20, v20, v87, vcc
	v_lshlrev_b32_e32 v20, 2, v20
	s_waitcnt lgkmcnt(0)
	v_pk_add_f32 v[8:9], v[8:9], v[22:23]
	ds_bpermute_b32 v16, v20, v14
	ds_bpermute_b32 v17, v20, v15
	;; [unrolled: 1-line block ×8, first 2 shown]
	s_cmp_eq_u32 s3, 0
	s_cselect_b64 s[6:7], -1, 0
	s_and_b64 s[4:5], s[6:7], s[4:5]
	s_waitcnt lgkmcnt(6)
	v_pk_add_f32 v[24:25], v[14:15], v[16:17]
	s_waitcnt lgkmcnt(4)
	v_pk_add_f32 v[22:23], v[12:13], v[26:27]
	;; [unrolled: 2-line block ×4, first 2 shown]
	s_and_b64 vcc, exec, s[4:5]
	s_cbranch_vccz .LBB80_9
; %bb.8:
	s_ashr_i32 s29, s28, 31
	s_lshl_b64 s[4:5], s[28:29], 2
	s_add_u32 s4, s12, s4
	s_addc_u32 s5, s13, s5
	v_mov_b32_e32 v8, 0
	global_load_dwordx2 v[26:27], v8, s[4:5]
	v_max_f32_e32 v8, v0, v0
	v_max_f32_e32 v9, v1, v1
	s_mov_b32 s5, 0x3fb8aa3b
	v_max_f32_e32 v10, v2, v2
	s_mov_b32 s2, 0xc2ce8ed0
	s_mov_b32 s4, 0x42b17218
	v_mov_b32_e32 v20, 0x7f800000
	s_waitcnt vmcnt(0)
	v_max_f32_e32 v14, v26, v26
	v_max_f32_e32 v8, v8, v14
	;; [unrolled: 1-line block ×3, first 2 shown]
	v_sub_f32_e32 v0, v0, v8
	v_max_f32_e32 v9, v9, v15
	v_sub_f32_e32 v11, v26, v8
	v_mul_f32_e32 v28, 0x3fb8aa3b, v0
	v_sub_f32_e32 v1, v1, v9
	v_mul_f32_e32 v29, 0x3fb8aa3b, v11
	v_fma_f32 v60, v0, s5, -v28
	v_rndne_f32_e32 v61, v28
	v_max_f32_e32 v10, v10, v14
	v_sub_f32_e32 v12, v27, v9
	v_mul_f32_e32 v56, 0x3fb8aa3b, v1
	v_fma_f32 v62, v11, s5, -v29
	v_rndne_f32_e32 v63, v29
	v_fmac_f32_e32 v60, 0x32a5705f, v0
	v_sub_f32_e32 v28, v28, v61
	v_sub_f32_e32 v2, v2, v10
	v_mul_f32_e32 v57, 0x3fb8aa3b, v12
	v_fma_f32 v64, v1, s5, -v56
	v_rndne_f32_e32 v65, v56
	v_fmac_f32_e32 v62, 0x32a5705f, v11
	v_sub_f32_e32 v29, v29, v63
	v_add_f32_e32 v28, v28, v60
	v_mul_f32_e32 v58, 0x3fb8aa3b, v2
	v_fma_f32 v66, v12, s5, -v57
	v_rndne_f32_e32 v67, v57
	v_cvt_i32_f32_e32 v61, v61
	v_fmac_f32_e32 v64, 0x32a5705f, v1
	v_sub_f32_e32 v56, v56, v65
	v_add_f32_e32 v29, v29, v62
	v_exp_f32_e32 v28, v28
	v_fma_f32 v68, v2, s5, -v58
	v_rndne_f32_e32 v74, v58
	v_cvt_i32_f32_e32 v63, v63
	v_fmac_f32_e32 v66, 0x32a5705f, v12
	v_sub_f32_e32 v57, v57, v67
	v_add_f32_e32 v56, v56, v64
	v_exp_f32_e32 v29, v29
	v_cvt_i32_f32_e32 v65, v65
	v_fmac_f32_e32 v68, 0x32a5705f, v2
	v_sub_f32_e32 v58, v58, v74
	v_add_f32_e32 v57, v57, v66
	v_exp_f32_e32 v56, v56
	v_cvt_i32_f32_e32 v67, v67
	v_add_f32_e32 v58, v58, v68
	v_exp_f32_e32 v57, v57
	v_cvt_i32_f32_e32 v74, v74
	v_exp_f32_e32 v58, v58
	v_ldexp_f32 v28, v28, v61
	v_cmp_ngt_f32_e32 vcc, s2, v0
	v_ldexp_f32 v29, v29, v63
	v_ldexp_f32 v56, v56, v65
	v_cndmask_b32_e32 v28, 0, v28, vcc
	v_cmp_ngt_f32_e32 vcc, s2, v11
	v_sub_f32_e32 v13, v26, v10
	v_ldexp_f32 v57, v57, v67
	v_cndmask_b32_e32 v29, 0, v29, vcc
	v_cmp_ngt_f32_e32 vcc, s2, v1
	v_mul_f32_e32 v59, 0x3fb8aa3b, v13
	v_ldexp_f32 v58, v58, v74
	v_cndmask_b32_e32 v56, 0, v56, vcc
	v_cmp_ngt_f32_e32 vcc, s2, v12
	v_fma_f32 v75, v13, s5, -v59
	v_rndne_f32_e32 v76, v59
	v_cndmask_b32_e32 v57, 0, v57, vcc
	v_cmp_ngt_f32_e32 vcc, s2, v2
	v_fmac_f32_e32 v75, 0x32a5705f, v13
	v_sub_f32_e32 v59, v59, v76
	v_cndmask_b32_e32 v58, 0, v58, vcc
	v_cmp_nlt_f32_e32 vcc, s4, v0
	v_add_f32_e32 v59, v59, v75
	v_cvt_i32_f32_e32 v76, v76
	v_cndmask_b32_e32 v0, v20, v28, vcc
	v_cmp_nlt_f32_e32 vcc, s4, v11
	v_cvt_f16_f32_e32 v11, v0
	v_exp_f32_e32 v59, v59
	v_cndmask_b32_e32 v28, v20, v29, vcc
	v_cmp_nlt_f32_e32 vcc, s4, v1
	v_mul_u32_u24_e32 v11, 0x10001, v11
	v_pk_mul_f16 v38, v38, v11
	v_cndmask_b32_e32 v1, v20, v56, vcc
	v_cvt_f16_f32_e32 v56, v1
	v_cmp_nlt_f32_e32 vcc, s4, v12
	v_pk_mul_f16 v39, v39, v11
	v_ldexp_f32 v11, v59, v76
	v_cndmask_b32_e32 v29, v20, v57, vcc
	v_cmp_nlt_f32_e32 vcc, s4, v2
	v_mul_u32_u24_e32 v12, 0x10001, v56
	v_pk_mul_f16 v30, v30, v12
	v_cndmask_b32_e32 v2, v20, v58, vcc
	v_cmp_ngt_f32_e32 vcc, s2, v13
	v_pk_mul_f16 v32, v32, v12
	v_cvt_f16_f32_e32 v12, v2
	v_cndmask_b32_e32 v11, 0, v11, vcc
	v_cmp_nlt_f32_e32 vcc, s4, v13
	v_pk_fma_f32 v[24:25], v[24:25], v[0:1], v[28:29]
	v_mul_u32_u24_e32 v12, 0x10001, v12
	v_cndmask_b32_e32 v56, v20, v11, vcc
	v_max_f32_e32 v11, v3, v3
	v_max_f32_e32 v11, v11, v15
	v_sub_f32_e32 v3, v3, v11
	v_mul_f32_e32 v13, 0x3fb8aa3b, v3
	v_fma_f32 v57, v3, s5, -v13
	v_rndne_f32_e32 v58, v13
	v_fmac_f32_e32 v57, 0x32a5705f, v3
	v_sub_f32_e32 v13, v13, v58
	v_add_f32_e32 v13, v13, v57
	v_exp_f32_e32 v13, v13
	v_cvt_i32_f32_e32 v57, v58
	v_pk_mul_f16 v31, v31, v12
	v_pk_mul_f16 v33, v33, v12
	v_cmp_ngt_f32_e32 vcc, s2, v3
	v_ldexp_f32 v12, v13, v57
	v_sub_f32_e32 v13, v27, v11
	v_mul_f32_e32 v57, 0x3fb8aa3b, v13
	v_fma_f32 v58, v13, s5, -v57
	v_rndne_f32_e32 v59, v57
	v_fmac_f32_e32 v58, 0x32a5705f, v13
	v_sub_f32_e32 v57, v57, v59
	v_add_f32_e32 v57, v57, v58
	v_exp_f32_e32 v57, v57
	v_cvt_i32_f32_e32 v58, v59
	v_cndmask_b32_e32 v12, 0, v12, vcc
	v_cmp_nlt_f32_e32 vcc, s4, v3
	s_nop 1
	v_cndmask_b32_e32 v3, v20, v12, vcc
	v_ldexp_f32 v12, v57, v58
	v_cmp_ngt_f32_e32 vcc, s2, v13
	s_nop 1
	v_cndmask_b32_e32 v12, 0, v12, vcc
	v_cmp_nlt_f32_e32 vcc, s4, v13
	v_cvt_f16_f32_e32 v13, v3
	v_mul_u32_u24_e32 v13, 0x10001, v13
	v_cndmask_b32_e32 v57, v20, v12, vcc
	v_max_f32_e32 v12, v4, v4
	v_max_f32_e32 v12, v12, v14
	v_sub_f32_e32 v4, v4, v12
	v_mul_f32_e32 v58, 0x3fb8aa3b, v4
	v_fma_f32 v59, v4, s5, -v58
	v_rndne_f32_e32 v60, v58
	v_fmac_f32_e32 v59, 0x32a5705f, v4
	v_sub_f32_e32 v58, v58, v60
	v_add_f32_e32 v58, v58, v59
	v_exp_f32_e32 v58, v58
	v_cvt_i32_f32_e32 v59, v60
	v_pk_mul_f16 v34, v34, v13
	v_pk_mul_f16 v36, v36, v13
	v_cmp_ngt_f32_e32 vcc, s2, v4
	v_ldexp_f32 v13, v58, v59
	v_sub_f32_e32 v58, v26, v12
	v_mul_f32_e32 v59, 0x3fb8aa3b, v58
	v_fma_f32 v60, v58, s5, -v59
	v_rndne_f32_e32 v61, v59
	v_fmac_f32_e32 v60, 0x32a5705f, v58
	v_sub_f32_e32 v59, v59, v61
	v_add_f32_e32 v59, v59, v60
	v_exp_f32_e32 v59, v59
	v_cvt_i32_f32_e32 v60, v61
	v_cndmask_b32_e32 v13, 0, v13, vcc
	v_cmp_nlt_f32_e32 vcc, s4, v4
	v_pk_fma_f32 v[22:23], v[22:23], v[2:3], v[56:57]
	s_nop 0
	v_cndmask_b32_e32 v4, v20, v13, vcc
	v_ldexp_f32 v13, v59, v60
	v_cmp_ngt_f32_e32 vcc, s2, v58
	v_cvt_f16_f32_e32 v59, v4
	v_mul_u32_u24_e32 v59, 0x10001, v59
	v_cndmask_b32_e32 v13, 0, v13, vcc
	v_cmp_nlt_f32_e32 vcc, s4, v58
	v_pk_mul_f16 v35, v35, v59
	v_pk_mul_f16 v37, v37, v59
	v_cndmask_b32_e32 v58, v20, v13, vcc
	v_max_f32_e32 v13, v5, v5
	v_max_f32_e32 v13, v13, v15
	v_sub_f32_e32 v5, v5, v13
	v_mul_f32_e32 v60, 0x3fb8aa3b, v5
	v_fma_f32 v61, v5, s5, -v60
	v_rndne_f32_e32 v62, v60
	v_fmac_f32_e32 v61, 0x32a5705f, v5
	v_sub_f32_e32 v60, v60, v62
	v_add_f32_e32 v60, v60, v61
	v_exp_f32_e32 v60, v60
	v_cvt_i32_f32_e32 v61, v62
	v_cmp_ngt_f32_e32 vcc, s2, v5
	v_ldexp_f32 v59, v60, v61
	v_sub_f32_e32 v60, v27, v13
	v_mul_f32_e32 v61, 0x3fb8aa3b, v60
	v_fma_f32 v62, v60, s5, -v61
	v_rndne_f32_e32 v63, v61
	v_fmac_f32_e32 v62, 0x32a5705f, v60
	v_sub_f32_e32 v61, v61, v63
	v_add_f32_e32 v61, v61, v62
	v_exp_f32_e32 v61, v61
	v_cvt_i32_f32_e32 v62, v63
	v_cndmask_b32_e32 v59, 0, v59, vcc
	v_cmp_nlt_f32_e32 vcc, s4, v5
	s_nop 1
	v_cndmask_b32_e32 v5, v20, v59, vcc
	v_ldexp_f32 v59, v61, v62
	v_max_f32_e32 v61, v6, v6
	v_max_f32_e32 v14, v61, v14
	v_sub_f32_e32 v6, v6, v14
	v_mul_f32_e32 v61, 0x3fb8aa3b, v6
	v_fma_f32 v62, v6, s5, -v61
	v_rndne_f32_e32 v63, v61
	v_cmp_ngt_f32_e32 vcc, s2, v60
	v_fmac_f32_e32 v62, 0x32a5705f, v6
	v_sub_f32_e32 v61, v61, v63
	v_cndmask_b32_e32 v59, 0, v59, vcc
	v_cmp_nlt_f32_e32 vcc, s4, v60
	v_cvt_f16_f32_e32 v60, v5
	v_add_f32_e32 v61, v61, v62
	v_exp_f32_e32 v61, v61
	v_cvt_i32_f32_e32 v62, v63
	v_mul_u32_u24_e32 v60, 0x10001, v60
	v_sub_f32_e32 v26, v26, v14
	v_pk_mul_f16 v72, v72, v60
	v_pk_mul_f16 v73, v73, v60
	v_ldexp_f32 v60, v61, v62
	v_mul_f32_e32 v61, 0x3fb8aa3b, v26
	v_fma_f32 v62, v26, s5, -v61
	v_rndne_f32_e32 v63, v61
	v_fmac_f32_e32 v62, 0x32a5705f, v26
	v_sub_f32_e32 v61, v61, v63
	v_add_f32_e32 v61, v61, v62
	v_exp_f32_e32 v61, v61
	v_cvt_i32_f32_e32 v62, v63
	v_cndmask_b32_e32 v59, v20, v59, vcc
	v_cmp_ngt_f32_e32 vcc, s2, v6
	v_pk_fma_f32 v[18:19], v[18:19], v[4:5], v[58:59]
	s_nop 0
	v_cndmask_b32_e32 v60, 0, v60, vcc
	v_cmp_nlt_f32_e32 vcc, s4, v6
	s_nop 1
	v_cndmask_b32_e32 v6, v20, v60, vcc
	v_ldexp_f32 v60, v61, v62
	v_max_f32_e32 v61, v7, v7
	v_max_f32_e32 v15, v61, v15
	v_sub_f32_e32 v7, v7, v15
	v_mul_f32_e32 v61, 0x3fb8aa3b, v7
	v_cmp_ngt_f32_e32 vcc, s2, v26
	v_fma_f32 v62, v7, s5, -v61
	v_rndne_f32_e32 v63, v61
	v_cndmask_b32_e32 v60, 0, v60, vcc
	v_cmp_nlt_f32_e32 vcc, s4, v26
	v_fmac_f32_e32 v62, 0x32a5705f, v7
	v_sub_f32_e32 v61, v61, v63
	v_cndmask_b32_e32 v26, v20, v60, vcc
	v_cvt_f16_f32_e32 v60, v6
	v_add_f32_e32 v61, v61, v62
	v_exp_f32_e32 v61, v61
	v_cvt_i32_f32_e32 v62, v63
	v_mul_u32_u24_e32 v60, 0x10001, v60
	v_sub_f32_e32 v27, v27, v15
	v_pk_mul_f16 v70, v70, v60
	v_pk_mul_f16 v71, v71, v60
	v_ldexp_f32 v60, v61, v62
	v_mul_f32_e32 v61, 0x3fb8aa3b, v27
	v_fma_f32 v62, v27, s5, -v61
	v_rndne_f32_e32 v63, v61
	v_fmac_f32_e32 v62, 0x32a5705f, v27
	v_sub_f32_e32 v61, v61, v63
	v_add_f32_e32 v61, v61, v62
	v_exp_f32_e32 v61, v61
	v_cvt_i32_f32_e32 v62, v63
	v_cmp_ngt_f32_e32 vcc, s2, v7
	s_nop 1
	v_cndmask_b32_e32 v60, 0, v60, vcc
	v_cmp_nlt_f32_e32 vcc, s4, v7
	s_nop 1
	v_cndmask_b32_e32 v7, v20, v60, vcc
	v_ldexp_f32 v60, v61, v62
	v_cvt_f16_f32_e32 v61, v7
	v_cmp_ngt_f32_e32 vcc, s2, v27
	s_nop 1
	v_cndmask_b32_e32 v60, 0, v60, vcc
	v_cmp_nlt_f32_e32 vcc, s4, v27
	s_nop 1
	v_cndmask_b32_e32 v27, v20, v60, vcc
	v_mul_u32_u24_e32 v20, 0x10001, v61
	v_pk_fma_f32 v[16:17], v[16:17], v[6:7], v[26:27]
	v_mov_b64_e32 v[0:1], v[8:9]
	v_pk_mul_f16 v69, v69, v20
	v_pk_mul_f16 v21, v21, v20
	v_mov_b64_e32 v[2:3], v[10:11]
	v_mov_b64_e32 v[4:5], v[12:13]
	;; [unrolled: 1-line block ×3, first 2 shown]
.LBB80_9:
	v_cmp_gt_i32_e32 vcc, s22, v55
	s_and_saveexec_b64 s[4:5], vcc
	s_cbranch_execz .LBB80_48
; %bb.10:
	s_load_dword s2, s[0:1], 0xd4
	v_mov_b32_e32 v8, 1.0
	s_waitcnt lgkmcnt(0)
	s_cmp_lg_u32 s2, 1
	s_cselect_b64 s[0:1], -1, 0
	s_cmp_eq_u32 s2, 1
	s_cselect_b64 s[6:7], -1, 0
	s_and_b64 vcc, exec, s[0:1]
	s_cbranch_vccnz .LBB80_12
; %bb.11:
	v_div_scale_f32 v8, s[4:5], v24, v24, 1.0
	v_rcp_f32_e32 v9, v8
	v_div_scale_f32 v10, vcc, 1.0, v24, 1.0
	v_fma_f32 v11, -v8, v9, 1.0
	v_fmac_f32_e32 v9, v11, v9
	v_mul_f32_e32 v11, v10, v9
	v_fma_f32 v12, -v8, v11, v10
	v_fmac_f32_e32 v11, v12, v9
	v_fma_f32 v8, -v8, v11, v10
	v_div_fmas_f32 v8, v8, v9, v11
	v_div_fixup_f32 v8, v8, v24, 1.0
.LBB80_12:
	s_mul_i32 s8, s33, s22
	s_add_i32 s8, s8, s31
	v_add_u32_e32 v9, s8, v52
	v_mul_lo_u32 v9, v9, s23
	v_add_u32_e32 v10, s28, v9
	v_cvt_f32_f16_sdwa v15, v38 dst_sel:DWORD dst_unused:UNUSED_PAD src0_sel:WORD_1
	v_cvt_f32_f16_e32 v14, v38
	v_cvt_f32_f16_sdwa v27, v39 dst_sel:DWORD dst_unused:UNUSED_PAD src0_sel:WORD_1
	v_cvt_f32_f16_e32 v26, v39
	v_mul_lo_u32 v10, s2, v10
	v_add_u32_e32 v10, s3, v10
	v_cmp_eq_u32_e32 vcc, 0, v53
	v_lshl_add_u32 v12, v10, 7, v49
	v_mov_b32_e32 v13, 0
	v_lshl_add_u64 v[28:29], v[12:13], 2, s[16:17]
	v_pk_mul_f32 v[12:13], v[8:9], v[14:15] op_sel_hi:[0,1]
	v_pk_mul_f32 v[14:15], v[8:9], v[26:27] op_sel_hi:[0,1]
	s_and_b64 s[4:5], vcc, s[0:1]
	global_store_dwordx4 v[28:29], v[12:15], off
	s_and_saveexec_b64 s[0:1], s[4:5]
	s_cbranch_execz .LBB80_14
; %bb.13:
	v_ashrrev_i32_e32 v11, 31, v10
	v_lshl_add_u64 v[10:11], v[10:11], 3, s[18:19]
	v_mov_b32_e32 v12, v0
	v_mov_b32_e32 v13, v24
	global_store_dwordx2 v[10:11], v[12:13], off
.LBB80_14:
	s_or_b64 exec, exec, s[0:1]
	v_cndmask_b32_e64 v0, 0, 1, s[6:7]
	v_cmp_ne_u32_e64 s[0:1], 1, v0
	s_andn2_b64 vcc, exec, s[6:7]
	v_mov_b32_e32 v0, 1.0
	s_cbranch_vccnz .LBB80_16
; %bb.15:
	v_div_scale_f32 v0, s[6:7], v25, v25, 1.0
	v_rcp_f32_e32 v8, v0
	v_div_scale_f32 v10, vcc, 1.0, v25, 1.0
	v_fma_f32 v11, -v0, v8, 1.0
	v_fmac_f32_e32 v8, v11, v8
	v_mul_f32_e32 v11, v10, v8
	v_fma_f32 v12, -v0, v11, v10
	v_fmac_f32_e32 v11, v12, v8
	v_fma_f32 v0, -v0, v11, v10
	v_div_fmas_f32 v0, v0, v8, v11
	v_div_fixup_f32 v0, v0, v25, 1.0
.LBB80_16:
	s_add_i32 s9, s28, 1
	v_add_u32_e32 v8, s9, v9
	v_cvt_f32_f16_sdwa v13, v30 dst_sel:DWORD dst_unused:UNUSED_PAD src0_sel:WORD_1
	v_cvt_f32_f16_e32 v12, v30
	v_cvt_f32_f16_sdwa v15, v32 dst_sel:DWORD dst_unused:UNUSED_PAD src0_sel:WORD_1
	v_cvt_f32_f16_e32 v14, v32
	v_mul_lo_u32 v8, s2, v8
	v_add_u32_e32 v8, s3, v8
	v_lshl_add_u32 v10, v8, 7, v49
	v_mov_b32_e32 v11, 0
	v_lshl_add_u64 v[26:27], v[10:11], 2, s[16:17]
	v_pk_mul_f32 v[10:11], v[0:1], v[12:13] op_sel_hi:[0,1]
	v_pk_mul_f32 v[12:13], v[0:1], v[14:15] op_sel_hi:[0,1]
	global_store_dwordx4 v[26:27], v[10:13], off
	s_and_saveexec_b64 s[6:7], s[4:5]
	s_cbranch_execz .LBB80_18
; %bb.17:
	v_ashrrev_i32_e32 v9, 31, v8
	v_lshl_add_u64 v[8:9], v[8:9], 3, s[18:19]
	v_mov_b32_e32 v24, v1
	global_store_dwordx2 v[8:9], v[24:25], off
.LBB80_18:
	s_or_b64 exec, exec, s[6:7]
	v_cmp_gt_i32_e32 vcc, s22, v54
	s_and_b64 exec, exec, vcc
	s_cbranch_execz .LBB80_48
; %bb.19:
	s_and_b64 vcc, exec, s[0:1]
	v_mov_b32_e32 v8, 1.0
	s_cbranch_vccnz .LBB80_21
; %bb.20:
	v_div_scale_f32 v0, s[6:7], v22, v22, 1.0
	v_rcp_f32_e32 v1, v0
	v_div_scale_f32 v8, vcc, 1.0, v22, 1.0
	v_fma_f32 v9, -v0, v1, 1.0
	v_fmac_f32_e32 v1, v9, v1
	v_mul_f32_e32 v9, v8, v1
	v_fma_f32 v10, -v0, v9, v8
	v_fmac_f32_e32 v9, v10, v1
	v_fma_f32 v0, -v0, v9, v8
	v_div_fmas_f32 v0, v0, v1, v9
	v_div_fixup_f32 v8, v0, v22, 1.0
.LBB80_21:
	v_add_u32_e32 v0, s8, v51
	v_mul_lo_u32 v0, v0, s23
	v_add_u32_e32 v0, s28, v0
	v_cvt_f32_f16_sdwa v13, v31 dst_sel:DWORD dst_unused:UNUSED_PAD src0_sel:WORD_1
	v_cvt_f32_f16_e32 v12, v31
	v_cvt_f32_f16_sdwa v15, v33 dst_sel:DWORD dst_unused:UNUSED_PAD src0_sel:WORD_1
	v_cvt_f32_f16_e32 v14, v33
	v_mul_lo_u32 v0, s2, v0
	v_add_u32_e32 v0, s3, v0
	v_lshl_add_u32 v10, v0, 7, v49
	v_mov_b32_e32 v11, 0
	v_lshl_add_u64 v[24:25], v[10:11], 2, s[16:17]
	v_pk_mul_f32 v[10:11], v[8:9], v[12:13] op_sel_hi:[0,1]
	v_pk_mul_f32 v[12:13], v[8:9], v[14:15] op_sel_hi:[0,1]
	global_store_dwordx4 v[24:25], v[10:13], off
	s_and_saveexec_b64 s[6:7], s[4:5]
	s_cbranch_execz .LBB80_23
; %bb.22:
	v_ashrrev_i32_e32 v1, 31, v0
	v_lshl_add_u64 v[0:1], v[0:1], 3, s[18:19]
	v_mov_b32_e32 v8, v2
	v_mov_b32_e32 v9, v22
	global_store_dwordx2 v[0:1], v[8:9], off
.LBB80_23:
	s_or_b64 exec, exec, s[6:7]
	v_cmp_gt_i32_e32 vcc, s22, v50
	s_and_b64 exec, exec, vcc
	s_cbranch_execz .LBB80_48
; %bb.24:
	s_and_b64 vcc, exec, s[0:1]
	v_mov_b32_e32 v2, 1.0
	s_cbranch_vccnz .LBB80_26
; %bb.25:
	v_div_scale_f32 v0, s[6:7], v23, v23, 1.0
	v_rcp_f32_e32 v1, v0
	v_div_scale_f32 v2, vcc, 1.0, v23, 1.0
	v_fma_f32 v8, -v0, v1, 1.0
	v_fmac_f32_e32 v1, v8, v1
	v_mul_f32_e32 v8, v2, v1
	v_fma_f32 v9, -v0, v8, v2
	v_fmac_f32_e32 v8, v9, v1
	v_fma_f32 v0, -v0, v8, v2
	v_div_fmas_f32 v0, v0, v1, v8
	v_div_fixup_f32 v2, v0, v23, 1.0
.LBB80_26:
	v_add_u32_e32 v0, s8, v48
	v_mul_lo_u32 v0, v0, s23
	v_add_u32_e32 v0, s9, v0
	v_cvt_f32_f16_sdwa v11, v34 dst_sel:DWORD dst_unused:UNUSED_PAD src0_sel:WORD_1
	v_cvt_f32_f16_e32 v10, v34
	v_cvt_f32_f16_sdwa v13, v36 dst_sel:DWORD dst_unused:UNUSED_PAD src0_sel:WORD_1
	v_cvt_f32_f16_e32 v12, v36
	v_mul_lo_u32 v0, s2, v0
	v_add_u32_e32 v0, s3, v0
	v_lshl_add_u32 v8, v0, 7, v49
	v_mov_b32_e32 v9, 0
	v_lshl_add_u64 v[14:15], v[8:9], 2, s[16:17]
	v_pk_mul_f32 v[8:9], v[2:3], v[10:11] op_sel_hi:[0,1]
	v_pk_mul_f32 v[10:11], v[2:3], v[12:13] op_sel_hi:[0,1]
	global_store_dwordx4 v[14:15], v[8:11], off
	s_and_saveexec_b64 s[6:7], s[4:5]
	s_cbranch_execz .LBB80_28
; %bb.27:
	v_ashrrev_i32_e32 v1, 31, v0
	v_lshl_add_u64 v[0:1], v[0:1], 3, s[18:19]
	v_mov_b32_e32 v22, v3
	global_store_dwordx2 v[0:1], v[22:23], off
.LBB80_28:
	s_or_b64 exec, exec, s[6:7]
	v_cmp_gt_i32_e32 vcc, s22, v47
	s_and_b64 exec, exec, vcc
	s_cbranch_execz .LBB80_48
; %bb.29:
	s_and_b64 vcc, exec, s[0:1]
	v_mov_b32_e32 v2, 1.0
	s_cbranch_vccnz .LBB80_31
; %bb.30:
	v_div_scale_f32 v0, s[6:7], v18, v18, 1.0
	v_rcp_f32_e32 v1, v0
	v_div_scale_f32 v2, vcc, 1.0, v18, 1.0
	v_fma_f32 v3, -v0, v1, 1.0
	v_fmac_f32_e32 v1, v3, v1
	v_mul_f32_e32 v3, v2, v1
	v_fma_f32 v8, -v0, v3, v2
	v_fmac_f32_e32 v3, v8, v1
	v_fma_f32 v0, -v0, v3, v2
	v_div_fmas_f32 v0, v0, v1, v3
	v_div_fixup_f32 v2, v0, v18, 1.0
.LBB80_31:
	v_add_u32_e32 v0, s8, v45
	v_mul_lo_u32 v0, v0, s23
	v_add_u32_e32 v0, s28, v0
	v_cvt_f32_f16_sdwa v11, v35 dst_sel:DWORD dst_unused:UNUSED_PAD src0_sel:WORD_1
	v_cvt_f32_f16_e32 v10, v35
	v_cvt_f32_f16_sdwa v13, v37 dst_sel:DWORD dst_unused:UNUSED_PAD src0_sel:WORD_1
	v_cvt_f32_f16_e32 v12, v37
	v_mul_lo_u32 v0, s2, v0
	v_add_u32_e32 v0, s3, v0
	v_lshl_add_u32 v8, v0, 7, v49
	v_mov_b32_e32 v9, 0
	v_lshl_add_u64 v[14:15], v[8:9], 2, s[16:17]
	v_pk_mul_f32 v[8:9], v[2:3], v[10:11] op_sel_hi:[0,1]
	v_pk_mul_f32 v[10:11], v[2:3], v[12:13] op_sel_hi:[0,1]
	global_store_dwordx4 v[14:15], v[8:11], off
	s_and_saveexec_b64 s[6:7], s[4:5]
	s_cbranch_execz .LBB80_33
; %bb.32:
	v_ashrrev_i32_e32 v1, 31, v0
	v_lshl_add_u64 v[0:1], v[0:1], 3, s[18:19]
	v_mov_b32_e32 v2, v4
	v_mov_b32_e32 v3, v18
	global_store_dwordx2 v[0:1], v[2:3], off
.LBB80_33:
	s_or_b64 exec, exec, s[6:7]
	v_cmp_gt_i32_e32 vcc, s22, v46
	s_and_b64 exec, exec, vcc
	s_cbranch_execz .LBB80_48
; %bb.34:
	s_and_b64 vcc, exec, s[0:1]
	v_mov_b32_e32 v2, 1.0
	s_cbranch_vccnz .LBB80_36
; %bb.35:
	v_div_scale_f32 v0, s[6:7], v19, v19, 1.0
	v_rcp_f32_e32 v1, v0
	v_div_scale_f32 v2, vcc, 1.0, v19, 1.0
	v_fma_f32 v3, -v0, v1, 1.0
	v_fmac_f32_e32 v1, v3, v1
	v_mul_f32_e32 v3, v2, v1
	v_fma_f32 v4, -v0, v3, v2
	v_fmac_f32_e32 v3, v4, v1
	v_fma_f32 v0, -v0, v3, v2
	v_div_fmas_f32 v0, v0, v1, v3
	v_div_fixup_f32 v2, v0, v19, 1.0
.LBB80_36:
	v_add_u32_e32 v0, s8, v44
	v_mul_lo_u32 v0, v0, s23
	v_add_u32_e32 v0, s9, v0
	v_cvt_f32_f16_sdwa v11, v72 dst_sel:DWORD dst_unused:UNUSED_PAD src0_sel:WORD_1
	v_cvt_f32_f16_e32 v10, v72
	v_cvt_f32_f16_sdwa v13, v73 dst_sel:DWORD dst_unused:UNUSED_PAD src0_sel:WORD_1
	v_cvt_f32_f16_e32 v12, v73
	v_mul_lo_u32 v0, s2, v0
	v_add_u32_e32 v0, s3, v0
	v_lshl_add_u32 v8, v0, 7, v49
	v_mov_b32_e32 v9, 0
	v_lshl_add_u64 v[14:15], v[8:9], 2, s[16:17]
	v_pk_mul_f32 v[8:9], v[2:3], v[10:11] op_sel_hi:[0,1]
	v_pk_mul_f32 v[10:11], v[2:3], v[12:13] op_sel_hi:[0,1]
	global_store_dwordx4 v[14:15], v[8:11], off
	s_and_saveexec_b64 s[6:7], s[4:5]
	s_cbranch_execz .LBB80_38
; %bb.37:
	v_ashrrev_i32_e32 v1, 31, v0
	v_lshl_add_u64 v[0:1], v[0:1], 3, s[18:19]
	v_mov_b32_e32 v18, v5
	global_store_dwordx2 v[0:1], v[18:19], off
.LBB80_38:
	s_or_b64 exec, exec, s[6:7]
	v_cmp_gt_i32_e32 vcc, s22, v43
	s_and_b64 exec, exec, vcc
	s_cbranch_execz .LBB80_48
; %bb.39:
	s_and_b64 vcc, exec, s[0:1]
	v_mov_b32_e32 v2, 1.0
	s_cbranch_vccnz .LBB80_41
; %bb.40:
	v_div_scale_f32 v0, s[6:7], v16, v16, 1.0
	v_rcp_f32_e32 v1, v0
	v_div_scale_f32 v2, vcc, 1.0, v16, 1.0
	v_fma_f32 v3, -v0, v1, 1.0
	v_fmac_f32_e32 v1, v3, v1
	v_mul_f32_e32 v3, v2, v1
	v_fma_f32 v4, -v0, v3, v2
	v_fmac_f32_e32 v3, v4, v1
	v_fma_f32 v0, -v0, v3, v2
	v_div_fmas_f32 v0, v0, v1, v3
	v_div_fixup_f32 v2, v0, v16, 1.0
.LBB80_41:
	v_add_u32_e32 v0, s8, v42
	v_mul_lo_u32 v0, v0, s23
	v_add_u32_e32 v0, s28, v0
	v_cvt_f32_f16_sdwa v9, v70 dst_sel:DWORD dst_unused:UNUSED_PAD src0_sel:WORD_1
	v_cvt_f32_f16_e32 v8, v70
	v_cvt_f32_f16_sdwa v11, v71 dst_sel:DWORD dst_unused:UNUSED_PAD src0_sel:WORD_1
	v_cvt_f32_f16_e32 v10, v71
	v_mul_lo_u32 v0, s2, v0
	v_add_u32_e32 v0, s3, v0
	v_lshl_add_u32 v4, v0, 7, v49
	v_mov_b32_e32 v5, 0
	v_lshl_add_u64 v[4:5], v[4:5], 2, s[16:17]
	v_pk_mul_f32 v[8:9], v[2:3], v[8:9] op_sel_hi:[0,1]
	v_pk_mul_f32 v[10:11], v[2:3], v[10:11] op_sel_hi:[0,1]
	global_store_dwordx4 v[4:5], v[8:11], off
	s_and_saveexec_b64 s[6:7], s[4:5]
	s_cbranch_execz .LBB80_43
; %bb.42:
	v_ashrrev_i32_e32 v1, 31, v0
	v_lshl_add_u64 v[0:1], v[0:1], 3, s[18:19]
	v_mov_b32_e32 v2, v6
	v_mov_b32_e32 v3, v16
	global_store_dwordx2 v[0:1], v[2:3], off
.LBB80_43:
	s_or_b64 exec, exec, s[6:7]
	v_cmp_gt_i32_e32 vcc, s22, v41
	s_and_b64 exec, exec, vcc
	s_cbranch_execz .LBB80_48
; %bb.44:
	s_and_b64 vcc, exec, s[0:1]
	v_mov_b32_e32 v2, 1.0
	s_cbranch_vccnz .LBB80_46
; %bb.45:
	v_div_scale_f32 v0, s[0:1], v17, v17, 1.0
	v_rcp_f32_e32 v1, v0
	v_div_scale_f32 v2, vcc, 1.0, v17, 1.0
	v_fma_f32 v3, -v0, v1, 1.0
	v_fmac_f32_e32 v1, v3, v1
	v_mul_f32_e32 v3, v2, v1
	v_fma_f32 v4, -v0, v3, v2
	v_fmac_f32_e32 v3, v4, v1
	v_fma_f32 v0, -v0, v3, v2
	v_div_fmas_f32 v0, v0, v1, v3
	v_div_fixup_f32 v2, v0, v17, 1.0
.LBB80_46:
	v_add_u32_e32 v0, s8, v40
	v_mul_lo_u32 v0, v0, s23
	v_add_u32_e32 v0, s9, v0
	v_cvt_f32_f16_sdwa v9, v69 dst_sel:DWORD dst_unused:UNUSED_PAD src0_sel:WORD_1
	v_cvt_f32_f16_e32 v8, v69
	v_cvt_f32_f16_sdwa v11, v21 dst_sel:DWORD dst_unused:UNUSED_PAD src0_sel:WORD_1
	v_cvt_f32_f16_e32 v10, v21
	v_mul_lo_u32 v0, s2, v0
	v_add_u32_e32 v0, s3, v0
	v_lshl_add_u32 v4, v0, 7, v49
	v_mov_b32_e32 v5, 0
	v_lshl_add_u64 v[4:5], v[4:5], 2, s[16:17]
	v_pk_mul_f32 v[8:9], v[2:3], v[8:9] op_sel_hi:[0,1]
	v_pk_mul_f32 v[10:11], v[2:3], v[10:11] op_sel_hi:[0,1]
	global_store_dwordx4 v[4:5], v[8:11], off
	s_and_b64 exec, exec, s[4:5]
	s_cbranch_execz .LBB80_48
; %bb.47:
	v_ashrrev_i32_e32 v1, 31, v0
	v_lshl_add_u64 v[0:1], v[0:1], 3, s[18:19]
	v_mov_b32_e32 v16, v7
	global_store_dwordx2 v[0:1], v[16:17], off
.LBB80_48:
	s_endpgm
.LBB80_49:
                                        ; implicit-def: $vgpr20
                                        ; implicit-def: $vgpr86
                                        ; implicit-def: $vgpr88
                                        ; implicit-def: $vgpr91
                                        ; implicit-def: $vgpr90
                                        ; implicit-def: $vgpr89
                                        ; implicit-def: $vgpr87
	v_lshlrev_b32_e32 v49, 2, v53
.LBB80_50:
	s_sub_i32 s4, 0, s29
	s_mul_i32 s4, s4, s39
	s_mul_hi_u32 s4, s39, s4
	s_add_i32 s39, s39, s4
	s_load_dwordx4 s[24:27], s[0:1], 0x98
	s_load_dword s10, s[0:1], 0x54
	s_load_dwordx2 s[4:5], s[0:1], 0x8c
	s_abs_i32 s15, s28
	s_mul_hi_u32 s36, s15, s39
	s_waitcnt lgkmcnt(0)
	s_ashr_i32 s11, s26, 2
	s_ashr_i32 s26, s37, 1
	;; [unrolled: 1-line block ×4, first 2 shown]
	s_mul_hi_u32 s4, s24, s33
	s_mul_i32 s42, s24, s37
	s_add_i32 s4, s4, s42
	s_mul_i32 s25, s25, s33
	s_ashr_i32 s40, s28, 31
	s_ashr_i32 s41, s38, 31
	s_add_i32 s4, s4, s25
	s_mul_i32 s24, s24, s33
	s_add_u32 s6, s6, s24
	s_mul_i32 s24, s36, s29
	s_addc_u32 s7, s7, s4
	s_sub_i32 s15, s15, s24
	s_xor_b32 s4, s40, s41
	s_add_i32 s24, s36, 1
	s_sub_i32 s25, s15, s29
	s_cmp_ge_u32 s15, s29
	s_cselect_b32 s24, s24, s36
	s_cselect_b32 s15, s25, s15
	s_add_i32 s25, s24, 1
	s_cmp_ge_u32 s15, s29
	s_cselect_b32 s15, s25, s24
	s_load_dwordx2 s[38:39], s[0:1], 0xa8
	s_xor_b32 s15, s15, s4
	s_sub_i32 s15, s15, s4
	s_mul_i32 s4, s15, s5
	s_ashr_i32 s5, s4, 31
	s_add_u32 s4, s6, s4
	s_addc_u32 s5, s7, s5
	s_waitcnt lgkmcnt(0)
	s_mul_hi_u32 s6, s38, s33
	s_mul_i32 s7, s38, s37
	s_add_i32 s6, s6, s7
	s_mul_i32 s7, s39, s33
	s_add_i32 s6, s6, s7
	s_mul_i32 s7, s38, s33
	s_add_u32 s7, s8, s7
	s_mul_i32 s15, s15, s27
	s_addc_u32 s8, s9, s6
	s_ashr_i32 s9, s15, 31
	v_lshrrev_b32_e32 v6, 2, v53
	s_add_u32 s6, s7, s15
	v_add_u32_e32 v5, v6, v5
	v_and_b32_e32 v6, 12, v49
	s_addc_u32 s7, s8, s9
	s_movk_i32 s8, 0x50
	v_mul_u32_u24_e32 v7, 0x50, v5
	v_lshlrev_b32_e32 v20, 2, v6
	v_mul_lo_u32 v6, s14, v5
	v_mov_b32_e32 v5, 0x6000
	v_mul_lo_u32 v59, v4, s26
	v_add_u32_e32 v4, 1, v55
	v_mad_u32_u24 v58, v53, s8, v5
	v_mul_hi_u32 v5, s20, v4
	v_add_u32_e32 v5, v4, v5
	v_lshrrev_b32_e32 v5, s21, v5
	v_mul_lo_u32 v5, v5, s22
	v_sub_u32_e32 v4, v4, v5
	v_mul_lo_u32 v60, v4, s26
	v_add_u32_e32 v4, 2, v55
	v_mul_hi_u32 v5, s20, v4
	v_add_u32_e32 v5, v4, v5
	v_lshrrev_b32_e32 v5, s21, v5
	v_mul_lo_u32 v5, v5, s22
	v_sub_u32_e32 v4, v4, v5
	v_mul_lo_u32 v61, v4, s26
	v_add_u32_e32 v4, 3, v55
	v_mul_hi_u32 v5, s20, v4
	v_add_u32_e32 v5, v4, v5
	v_lshrrev_b32_e32 v5, s21, v5
	v_mul_lo_u32 v5, v5, s22
	v_sub_u32_e32 v4, v4, v5
	s_movk_i32 s9, 0x6000
	v_mul_lo_u32 v62, v4, s26
	v_mov_b32_e32 v4, 0x4000
	v_add3_u32 v57, v7, v20, s9
	v_ashrrev_i32_e32 v7, 31, v6
	v_lshl_add_u32 v63, v2, 10, v4
	v_lshrrev_b32_e32 v4, 4, v53
	v_lshl_add_u64 v[6:7], v[6:7], 2, s[4:5]
	v_mov_b32_e32 v21, 0
	v_lshl_add_u32 v2, v2, 1, v4
	v_and_b32_e32 v4, 60, v49
	v_lshl_add_u64 v[16:17], v[6:7], 0, v[20:21]
	v_lshlrev_b32_e32 v20, 2, v4
	v_lshl_or_b32 v4, v2, 8, v20
	v_add_u32_e32 v64, 0x6000, v4
	v_mul_lo_u32 v4, s11, v2
	v_ashrrev_i32_e32 v5, 31, v4
	v_lshl_add_u64 v[4:5], v[4:5], 2, s[6:7]
	s_add_u32 s4, s0, 0xd0
	v_lshl_add_u64 v[18:19], v[4:5], 0, v[20:21]
	v_or_b32_e32 v65, 0x6000, v3
	s_addc_u32 s5, s1, 0
	v_mov_b32_e32 v22, 0xfeffffff
	s_mov_b32 s8, 0x3f200000
	s_mov_b32 s9, 0x3fb8aa3b
	;; [unrolled: 1-line block ×4, first 2 shown]
	v_mov_b32_e32 v66, 0x3ca908c9
	s_brev_b32 s21, -2
	s_mov_b32 s24, 0x10001
	v_add_u32_e32 v67, v63, v0
	v_mov_b32_e32 v68, 0x7f800000
	v_mbcnt_hi_u32_b32 v20, -1, v1
	v_mov_b32_e32 v69, v21
	v_mov_b32_e32 v71, v21
	;; [unrolled: 1-line block ×30, first 2 shown]
                                        ; implicit-def: $vgpr2
                                        ; implicit-def: $vgpr2
	;; [unrolled: 1-line block ×3, first 2 shown]
.LBB80_51:                              ; =>This Inner Loop Header: Depth=1
	s_mul_hi_i32 s7, s2, s14
	s_mul_i32 s6, s2, s14
	v_lshl_add_u64 v[4:5], s[6:7], 2, v[16:17]
	global_load_dwordx4 v[0:3], v[4:5], off
	v_mov_b32_e32 v86, 0
	v_mov_b32_e32 v84, 0
	;; [unrolled: 1-line block ×16, first 2 shown]
	s_waitcnt vmcnt(0)
	ds_write_b128 v57, v[0:3]
	s_waitcnt lgkmcnt(0)
	s_barrier
	ds_read_b128 v[0:3], v58
	ds_read_b128 v[88:91], v58 offset:2560
	ds_read_b128 v[92:95], v56
	ds_read_b128 v[96:99], v56 offset:256
	ds_read_b128 v[100:103], v56 offset:512
	;; [unrolled: 1-line block ×7, first 2 shown]
	s_waitcnt lgkmcnt(7)
	;;#ASMSTART
	v_dot2_f32_f16 v86, v0, v92, v86
	;;#ASMEND
	s_nop 0
	;;#ASMSTART
	v_dot2_f32_f16 v86, v1, v93, v86
	;;#ASMEND
	s_nop 0
	;;#ASMSTART
	v_dot2_f32_f16 v86, v2, v94, v86
	;;#ASMEND
	s_nop 0
	;;#ASMSTART
	v_dot2_f32_f16 v86, v3, v95, v86
	;;#ASMEND
	s_waitcnt lgkmcnt(6)
	;;#ASMSTART
	v_dot2_f32_f16 v84, v0, v96, v84
	;;#ASMEND
	s_nop 0
	;;#ASMSTART
	v_dot2_f32_f16 v84, v1, v97, v84
	;;#ASMEND
	s_nop 0
	;;#ASMSTART
	v_dot2_f32_f16 v84, v2, v98, v84
	;;#ASMEND
	s_nop 0
	;;#ASMSTART
	v_dot2_f32_f16 v84, v3, v99, v84
	;;#ASMEND
	;; [unrolled: 16-line block ×8, first 2 shown]
	;;#ASMSTART
	v_dot2_f32_f16 v87, v88, v92, v87
	;;#ASMEND
	s_nop 0
	;;#ASMSTART
	v_dot2_f32_f16 v87, v89, v93, v87
	;;#ASMEND
	s_nop 0
	;;#ASMSTART
	v_dot2_f32_f16 v87, v90, v94, v87
	;;#ASMEND
	s_nop 0
	;;#ASMSTART
	v_dot2_f32_f16 v87, v91, v95, v87
	;;#ASMEND
	;;#ASMSTART
	v_dot2_f32_f16 v85, v88, v96, v85
	;;#ASMEND
	s_nop 0
	;;#ASMSTART
	v_dot2_f32_f16 v85, v89, v97, v85
	;;#ASMEND
	s_nop 0
	;;#ASMSTART
	v_dot2_f32_f16 v85, v90, v98, v85
	;;#ASMEND
	s_nop 0
	;;#ASMSTART
	v_dot2_f32_f16 v85, v91, v99, v85
	;;#ASMEND
	;; [unrolled: 15-line block ×8, first 2 shown]
	ds_read_b128 v[88:91], v58 offset:16
	ds_read_b128 v[0:3], v58 offset:2576
	;; [unrolled: 1-line block ×10, first 2 shown]
	s_waitcnt lgkmcnt(7)
	;;#ASMSTART
	v_dot2_f32_f16 v86, v88, v92, v86
	;;#ASMEND
	s_nop 0
	;;#ASMSTART
	v_dot2_f32_f16 v86, v89, v93, v86
	;;#ASMEND
	s_nop 0
	;;#ASMSTART
	v_dot2_f32_f16 v86, v90, v94, v86
	;;#ASMEND
	s_nop 0
	;;#ASMSTART
	v_dot2_f32_f16 v86, v91, v95, v86
	;;#ASMEND
	s_waitcnt lgkmcnt(6)
	;;#ASMSTART
	v_dot2_f32_f16 v84, v88, v96, v84
	;;#ASMEND
	s_nop 0
	;;#ASMSTART
	v_dot2_f32_f16 v84, v89, v97, v84
	;;#ASMEND
	s_nop 0
	;;#ASMSTART
	v_dot2_f32_f16 v84, v90, v98, v84
	;;#ASMEND
	s_nop 0
	;;#ASMSTART
	v_dot2_f32_f16 v84, v91, v99, v84
	;;#ASMEND
	;; [unrolled: 16-line block ×8, first 2 shown]
	;;#ASMSTART
	v_dot2_f32_f16 v87, v0, v92, v87
	;;#ASMEND
	s_nop 0
	;;#ASMSTART
	v_dot2_f32_f16 v87, v1, v93, v87
	;;#ASMEND
	s_nop 0
	;;#ASMSTART
	v_dot2_f32_f16 v87, v2, v94, v87
	;;#ASMEND
	s_nop 0
	;;#ASMSTART
	v_dot2_f32_f16 v87, v3, v95, v87
	;;#ASMEND
	;;#ASMSTART
	v_dot2_f32_f16 v85, v0, v96, v85
	;;#ASMEND
	s_nop 0
	;;#ASMSTART
	v_dot2_f32_f16 v85, v1, v97, v85
	;;#ASMEND
	s_nop 0
	;;#ASMSTART
	v_dot2_f32_f16 v85, v2, v98, v85
	;;#ASMEND
	s_nop 0
	;;#ASMSTART
	v_dot2_f32_f16 v85, v3, v99, v85
	;;#ASMEND
	;; [unrolled: 15-line block ×8, first 2 shown]
	ds_read_b128 v[88:91], v58 offset:32
	ds_read_b128 v[0:3], v58 offset:2592
	;; [unrolled: 1-line block ×10, first 2 shown]
	s_waitcnt lgkmcnt(7)
	;;#ASMSTART
	v_dot2_f32_f16 v86, v88, v92, v86
	;;#ASMEND
	s_nop 0
	;;#ASMSTART
	v_dot2_f32_f16 v86, v89, v93, v86
	;;#ASMEND
	s_nop 0
	;;#ASMSTART
	v_dot2_f32_f16 v86, v90, v94, v86
	;;#ASMEND
	s_nop 0
	;;#ASMSTART
	v_dot2_f32_f16 v86, v91, v95, v86
	;;#ASMEND
	s_waitcnt lgkmcnt(6)
	;;#ASMSTART
	v_dot2_f32_f16 v84, v88, v96, v84
	;;#ASMEND
	s_nop 0
	;;#ASMSTART
	v_dot2_f32_f16 v84, v89, v97, v84
	;;#ASMEND
	s_nop 0
	;;#ASMSTART
	v_dot2_f32_f16 v84, v90, v98, v84
	;;#ASMEND
	s_nop 0
	;;#ASMSTART
	v_dot2_f32_f16 v84, v91, v99, v84
	;;#ASMEND
	;; [unrolled: 16-line block ×8, first 2 shown]
	;;#ASMSTART
	v_dot2_f32_f16 v87, v0, v92, v87
	;;#ASMEND
	s_nop 0
	;;#ASMSTART
	v_dot2_f32_f16 v87, v1, v93, v87
	;;#ASMEND
	s_nop 0
	;;#ASMSTART
	v_dot2_f32_f16 v87, v2, v94, v87
	;;#ASMEND
	s_nop 0
	;;#ASMSTART
	v_dot2_f32_f16 v87, v3, v95, v87
	;;#ASMEND
	;;#ASMSTART
	v_dot2_f32_f16 v85, v0, v96, v85
	;;#ASMEND
	s_nop 0
	;;#ASMSTART
	v_dot2_f32_f16 v85, v1, v97, v85
	;;#ASMEND
	s_nop 0
	;;#ASMSTART
	v_dot2_f32_f16 v85, v2, v98, v85
	;;#ASMEND
	s_nop 0
	;;#ASMSTART
	v_dot2_f32_f16 v85, v3, v99, v85
	;;#ASMEND
	;; [unrolled: 15-line block ×8, first 2 shown]
	ds_read_b128 v[88:91], v58 offset:48
	ds_read_b128 v[0:3], v58 offset:2608
	;; [unrolled: 1-line block ×10, first 2 shown]
	s_waitcnt lgkmcnt(7)
	;;#ASMSTART
	v_dot2_f32_f16 v86, v88, v92, v86
	;;#ASMEND
	s_nop 0
	;;#ASMSTART
	v_dot2_f32_f16 v86, v89, v93, v86
	;;#ASMEND
	s_nop 0
	;;#ASMSTART
	v_dot2_f32_f16 v86, v90, v94, v86
	;;#ASMEND
	s_nop 0
	;;#ASMSTART
	v_dot2_f32_f16 v86, v91, v95, v86
	;;#ASMEND
	s_waitcnt lgkmcnt(6)
	;;#ASMSTART
	v_dot2_f32_f16 v84, v88, v96, v84
	;;#ASMEND
	s_nop 0
	;;#ASMSTART
	v_dot2_f32_f16 v84, v89, v97, v84
	;;#ASMEND
	s_nop 0
	;;#ASMSTART
	v_dot2_f32_f16 v84, v90, v98, v84
	;;#ASMEND
	s_nop 0
	;;#ASMSTART
	v_dot2_f32_f16 v84, v91, v99, v84
	;;#ASMEND
	;; [unrolled: 16-line block ×8, first 2 shown]
	;;#ASMSTART
	v_dot2_f32_f16 v87, v0, v92, v87
	;;#ASMEND
	s_nop 0
	;;#ASMSTART
	v_dot2_f32_f16 v87, v1, v93, v87
	;;#ASMEND
	s_nop 0
	;;#ASMSTART
	v_dot2_f32_f16 v87, v2, v94, v87
	;;#ASMEND
	s_nop 0
	;;#ASMSTART
	v_dot2_f32_f16 v87, v3, v95, v87
	;;#ASMEND
	;;#ASMSTART
	v_dot2_f32_f16 v85, v0, v96, v85
	;;#ASMEND
	s_nop 0
	;;#ASMSTART
	v_dot2_f32_f16 v85, v1, v97, v85
	;;#ASMEND
	s_nop 0
	;;#ASMSTART
	v_dot2_f32_f16 v85, v2, v98, v85
	;;#ASMEND
	s_nop 0
	;;#ASMSTART
	v_dot2_f32_f16 v85, v3, v99, v85
	;;#ASMEND
	;;#ASMSTART
	v_dot2_f32_f16 v83, v0, v100, v83
	;;#ASMEND
	s_nop 0
	;;#ASMSTART
	v_dot2_f32_f16 v83, v1, v101, v83
	;;#ASMEND
	s_nop 0
	;;#ASMSTART
	v_dot2_f32_f16 v83, v2, v102, v83
	;;#ASMEND
	s_nop 0
	;;#ASMSTART
	v_dot2_f32_f16 v83, v3, v103, v83
	;;#ASMEND
	;;#ASMSTART
	v_dot2_f32_f16 v82, v0, v104, v82
	;;#ASMEND
	s_nop 0
	;;#ASMSTART
	v_dot2_f32_f16 v82, v1, v105, v82
	;;#ASMEND
	s_nop 0
	;;#ASMSTART
	v_dot2_f32_f16 v82, v2, v106, v82
	;;#ASMEND
	s_nop 0
	;;#ASMSTART
	v_dot2_f32_f16 v82, v3, v107, v82
	;;#ASMEND
	;;#ASMSTART
	v_dot2_f32_f16 v79, v0, v108, v79
	;;#ASMEND
	s_nop 0
	;;#ASMSTART
	v_dot2_f32_f16 v79, v1, v109, v79
	;;#ASMEND
	s_nop 0
	;;#ASMSTART
	v_dot2_f32_f16 v79, v2, v110, v79
	;;#ASMEND
	s_nop 0
	;;#ASMSTART
	v_dot2_f32_f16 v79, v3, v111, v79
	;;#ASMEND
	;;#ASMSTART
	v_dot2_f32_f16 v27, v0, v112, v27
	;;#ASMEND
	s_nop 0
	;;#ASMSTART
	v_dot2_f32_f16 v27, v1, v113, v27
	;;#ASMEND
	s_nop 0
	;;#ASMSTART
	v_dot2_f32_f16 v27, v2, v114, v27
	;;#ASMEND
	s_nop 0
	;;#ASMSTART
	v_dot2_f32_f16 v27, v3, v115, v27
	;;#ASMEND
	;;#ASMSTART
	v_dot2_f32_f16 v25, v0, v116, v25
	;;#ASMEND
	s_nop 0
	;;#ASMSTART
	v_dot2_f32_f16 v25, v1, v117, v25
	;;#ASMEND
	s_nop 0
	;;#ASMSTART
	v_dot2_f32_f16 v25, v2, v118, v25
	;;#ASMEND
	s_nop 0
	;;#ASMSTART
	v_dot2_f32_f16 v25, v3, v119, v25
	;;#ASMEND
	;;#ASMSTART
	v_dot2_f32_f16 v7, v0, v120, v7
	;;#ASMEND
	s_nop 0
	;;#ASMSTART
	v_dot2_f32_f16 v7, v1, v121, v7
	;;#ASMEND
	s_nop 0
	;;#ASMSTART
	v_dot2_f32_f16 v7, v2, v122, v7
	;;#ASMEND
	s_nop 0
	;;#ASMSTART
	v_dot2_f32_f16 v7, v3, v123, v7
	;;#ASMEND
	s_barrier
	global_load_dwordx4 v[0:3], v[4:5], off offset:64
	s_waitcnt vmcnt(0)
	ds_write_b128 v57, v[0:3]
	s_waitcnt lgkmcnt(0)
	s_barrier
	ds_read_b128 v[88:91], v58
	ds_read_b128 v[0:3], v58 offset:2560
	ds_read_b128 v[92:95], v56 offset:64
	;; [unrolled: 1-line block ×9, first 2 shown]
	s_waitcnt lgkmcnt(7)
	;;#ASMSTART
	v_dot2_f32_f16 v86, v88, v92, v86
	;;#ASMEND
	s_nop 0
	;;#ASMSTART
	v_dot2_f32_f16 v86, v89, v93, v86
	;;#ASMEND
	s_nop 0
	;;#ASMSTART
	v_dot2_f32_f16 v86, v90, v94, v86
	;;#ASMEND
	s_nop 0
	;;#ASMSTART
	v_dot2_f32_f16 v86, v91, v95, v86
	;;#ASMEND
	s_waitcnt lgkmcnt(6)
	;;#ASMSTART
	v_dot2_f32_f16 v84, v88, v96, v84
	;;#ASMEND
	s_nop 0
	;;#ASMSTART
	v_dot2_f32_f16 v84, v89, v97, v84
	;;#ASMEND
	s_nop 0
	;;#ASMSTART
	v_dot2_f32_f16 v84, v90, v98, v84
	;;#ASMEND
	s_nop 0
	;;#ASMSTART
	v_dot2_f32_f16 v84, v91, v99, v84
	;;#ASMEND
	;; [unrolled: 16-line block ×8, first 2 shown]
	;;#ASMSTART
	v_dot2_f32_f16 v87, v0, v92, v87
	;;#ASMEND
	s_nop 0
	;;#ASMSTART
	v_dot2_f32_f16 v87, v1, v93, v87
	;;#ASMEND
	s_nop 0
	;;#ASMSTART
	v_dot2_f32_f16 v87, v2, v94, v87
	;;#ASMEND
	s_nop 0
	;;#ASMSTART
	v_dot2_f32_f16 v87, v3, v95, v87
	;;#ASMEND
	;;#ASMSTART
	v_dot2_f32_f16 v85, v0, v96, v85
	;;#ASMEND
	s_nop 0
	;;#ASMSTART
	v_dot2_f32_f16 v85, v1, v97, v85
	;;#ASMEND
	s_nop 0
	;;#ASMSTART
	v_dot2_f32_f16 v85, v2, v98, v85
	;;#ASMEND
	s_nop 0
	;;#ASMSTART
	v_dot2_f32_f16 v85, v3, v99, v85
	;;#ASMEND
	;; [unrolled: 15-line block ×8, first 2 shown]
	ds_read_b128 v[88:91], v58 offset:16
	ds_read_b128 v[0:3], v58 offset:2576
	;; [unrolled: 1-line block ×10, first 2 shown]
	s_waitcnt lgkmcnt(7)
	;;#ASMSTART
	v_dot2_f32_f16 v86, v88, v92, v86
	;;#ASMEND
	s_nop 0
	;;#ASMSTART
	v_dot2_f32_f16 v86, v89, v93, v86
	;;#ASMEND
	s_nop 0
	;;#ASMSTART
	v_dot2_f32_f16 v86, v90, v94, v86
	;;#ASMEND
	s_nop 0
	;;#ASMSTART
	v_dot2_f32_f16 v86, v91, v95, v86
	;;#ASMEND
	s_waitcnt lgkmcnt(6)
	;;#ASMSTART
	v_dot2_f32_f16 v84, v88, v96, v84
	;;#ASMEND
	s_nop 0
	;;#ASMSTART
	v_dot2_f32_f16 v84, v89, v97, v84
	;;#ASMEND
	s_nop 0
	;;#ASMSTART
	v_dot2_f32_f16 v84, v90, v98, v84
	;;#ASMEND
	s_nop 0
	;;#ASMSTART
	v_dot2_f32_f16 v84, v91, v99, v84
	;;#ASMEND
	;; [unrolled: 16-line block ×8, first 2 shown]
	;;#ASMSTART
	v_dot2_f32_f16 v87, v0, v92, v87
	;;#ASMEND
	s_nop 0
	;;#ASMSTART
	v_dot2_f32_f16 v87, v1, v93, v87
	;;#ASMEND
	s_nop 0
	;;#ASMSTART
	v_dot2_f32_f16 v87, v2, v94, v87
	;;#ASMEND
	s_nop 0
	;;#ASMSTART
	v_dot2_f32_f16 v87, v3, v95, v87
	;;#ASMEND
	;;#ASMSTART
	v_dot2_f32_f16 v85, v0, v96, v85
	;;#ASMEND
	s_nop 0
	;;#ASMSTART
	v_dot2_f32_f16 v85, v1, v97, v85
	;;#ASMEND
	s_nop 0
	;;#ASMSTART
	v_dot2_f32_f16 v85, v2, v98, v85
	;;#ASMEND
	s_nop 0
	;;#ASMSTART
	v_dot2_f32_f16 v85, v3, v99, v85
	;;#ASMEND
	;; [unrolled: 15-line block ×8, first 2 shown]
	ds_read_b128 v[88:91], v58 offset:32
	ds_read_b128 v[0:3], v58 offset:2592
	;; [unrolled: 1-line block ×10, first 2 shown]
	s_waitcnt lgkmcnt(7)
	;;#ASMSTART
	v_dot2_f32_f16 v86, v88, v92, v86
	;;#ASMEND
	s_nop 0
	;;#ASMSTART
	v_dot2_f32_f16 v86, v89, v93, v86
	;;#ASMEND
	s_nop 0
	;;#ASMSTART
	v_dot2_f32_f16 v86, v90, v94, v86
	;;#ASMEND
	s_nop 0
	;;#ASMSTART
	v_dot2_f32_f16 v86, v91, v95, v86
	;;#ASMEND
	s_waitcnt lgkmcnt(6)
	;;#ASMSTART
	v_dot2_f32_f16 v84, v88, v96, v84
	;;#ASMEND
	s_nop 0
	;;#ASMSTART
	v_dot2_f32_f16 v84, v89, v97, v84
	;;#ASMEND
	s_nop 0
	;;#ASMSTART
	v_dot2_f32_f16 v84, v90, v98, v84
	;;#ASMEND
	s_nop 0
	;;#ASMSTART
	v_dot2_f32_f16 v84, v91, v99, v84
	;;#ASMEND
	;; [unrolled: 16-line block ×8, first 2 shown]
	;;#ASMSTART
	v_dot2_f32_f16 v87, v0, v92, v87
	;;#ASMEND
	s_nop 0
	;;#ASMSTART
	v_dot2_f32_f16 v87, v1, v93, v87
	;;#ASMEND
	s_nop 0
	;;#ASMSTART
	v_dot2_f32_f16 v87, v2, v94, v87
	;;#ASMEND
	s_nop 0
	;;#ASMSTART
	v_dot2_f32_f16 v87, v3, v95, v87
	;;#ASMEND
	;;#ASMSTART
	v_dot2_f32_f16 v85, v0, v96, v85
	;;#ASMEND
	s_nop 0
	;;#ASMSTART
	v_dot2_f32_f16 v85, v1, v97, v85
	;;#ASMEND
	s_nop 0
	;;#ASMSTART
	v_dot2_f32_f16 v85, v2, v98, v85
	;;#ASMEND
	s_nop 0
	;;#ASMSTART
	v_dot2_f32_f16 v85, v3, v99, v85
	;;#ASMEND
	;;#ASMSTART
	v_dot2_f32_f16 v83, v0, v100, v83
	;;#ASMEND
	s_nop 0
	;;#ASMSTART
	v_dot2_f32_f16 v83, v1, v101, v83
	;;#ASMEND
	s_nop 0
	;;#ASMSTART
	v_dot2_f32_f16 v83, v2, v102, v83
	;;#ASMEND
	s_nop 0
	;;#ASMSTART
	v_dot2_f32_f16 v83, v3, v103, v83
	;;#ASMEND
	;;#ASMSTART
	v_dot2_f32_f16 v82, v0, v104, v82
	;;#ASMEND
	s_nop 0
	;;#ASMSTART
	v_dot2_f32_f16 v82, v1, v105, v82
	;;#ASMEND
	s_nop 0
	;;#ASMSTART
	v_dot2_f32_f16 v82, v2, v106, v82
	;;#ASMEND
	s_nop 0
	;;#ASMSTART
	v_dot2_f32_f16 v82, v3, v107, v82
	;;#ASMEND
	;;#ASMSTART
	v_dot2_f32_f16 v79, v0, v108, v79
	;;#ASMEND
	s_nop 0
	;;#ASMSTART
	v_dot2_f32_f16 v79, v1, v109, v79
	;;#ASMEND
	s_nop 0
	;;#ASMSTART
	v_dot2_f32_f16 v79, v2, v110, v79
	;;#ASMEND
	s_nop 0
	;;#ASMSTART
	v_dot2_f32_f16 v79, v3, v111, v79
	;;#ASMEND
	;;#ASMSTART
	v_dot2_f32_f16 v27, v0, v112, v27
	;;#ASMEND
	s_nop 0
	;;#ASMSTART
	v_dot2_f32_f16 v27, v1, v113, v27
	;;#ASMEND
	s_nop 0
	;;#ASMSTART
	v_dot2_f32_f16 v27, v2, v114, v27
	;;#ASMEND
	s_nop 0
	;;#ASMSTART
	v_dot2_f32_f16 v27, v3, v115, v27
	;;#ASMEND
	;;#ASMSTART
	v_dot2_f32_f16 v25, v0, v116, v25
	;;#ASMEND
	s_nop 0
	;;#ASMSTART
	v_dot2_f32_f16 v25, v1, v117, v25
	;;#ASMEND
	s_nop 0
	;;#ASMSTART
	v_dot2_f32_f16 v25, v2, v118, v25
	;;#ASMEND
	s_nop 0
	;;#ASMSTART
	v_dot2_f32_f16 v25, v3, v119, v25
	;;#ASMEND
	;;#ASMSTART
	v_dot2_f32_f16 v7, v0, v120, v7
	;;#ASMEND
	s_nop 0
	;;#ASMSTART
	v_dot2_f32_f16 v7, v1, v121, v7
	;;#ASMEND
	s_nop 0
	;;#ASMSTART
	v_dot2_f32_f16 v7, v2, v122, v7
	;;#ASMEND
	s_nop 0
	;;#ASMSTART
	v_dot2_f32_f16 v7, v3, v123, v7
	;;#ASMEND
	ds_read_b128 v[88:91], v58 offset:48
	ds_read_b128 v[0:3], v58 offset:2608
	;; [unrolled: 1-line block ×10, first 2 shown]
	s_waitcnt lgkmcnt(7)
	;;#ASMSTART
	v_dot2_f32_f16 v86, v88, v92, v86
	;;#ASMEND
	s_nop 0
	;;#ASMSTART
	v_dot2_f32_f16 v86, v89, v93, v86
	;;#ASMEND
	s_nop 0
	;;#ASMSTART
	v_dot2_f32_f16 v86, v90, v94, v86
	;;#ASMEND
	s_nop 0
	;;#ASMSTART
	v_dot2_f32_f16 v86, v91, v95, v86
	;;#ASMEND
	s_waitcnt lgkmcnt(6)
	;;#ASMSTART
	v_dot2_f32_f16 v84, v88, v96, v84
	;;#ASMEND
	s_nop 0
	;;#ASMSTART
	v_dot2_f32_f16 v84, v89, v97, v84
	;;#ASMEND
	s_nop 0
	;;#ASMSTART
	v_dot2_f32_f16 v84, v90, v98, v84
	;;#ASMEND
	s_nop 0
	;;#ASMSTART
	v_dot2_f32_f16 v84, v91, v99, v84
	;;#ASMEND
	;; [unrolled: 16-line block ×8, first 2 shown]
	;;#ASMSTART
	v_dot2_f32_f16 v87, v0, v92, v87
	;;#ASMEND
	s_nop 0
	;;#ASMSTART
	v_dot2_f32_f16 v87, v1, v93, v87
	;;#ASMEND
	s_nop 0
	;;#ASMSTART
	v_dot2_f32_f16 v87, v2, v94, v87
	;;#ASMEND
	s_nop 0
	;;#ASMSTART
	v_dot2_f32_f16 v87, v3, v95, v87
	;;#ASMEND
	;;#ASMSTART
	v_dot2_f32_f16 v85, v0, v96, v85
	;;#ASMEND
	s_nop 0
	;;#ASMSTART
	v_dot2_f32_f16 v85, v1, v97, v85
	;;#ASMEND
	s_nop 0
	;;#ASMSTART
	v_dot2_f32_f16 v85, v2, v98, v85
	;;#ASMEND
	s_nop 0
	;;#ASMSTART
	v_dot2_f32_f16 v85, v3, v99, v85
	;;#ASMEND
	;; [unrolled: 15-line block ×8, first 2 shown]
	s_barrier
	global_load_dwordx4 v[0:3], v[4:5], off offset:128
	s_waitcnt vmcnt(0)
	ds_write_b128 v57, v[0:3]
	s_waitcnt lgkmcnt(0)
	s_barrier
	ds_read_b128 v[88:91], v58
	ds_read_b128 v[0:3], v58 offset:2560
	ds_read_b128 v[92:95], v56 offset:128
	;; [unrolled: 1-line block ×9, first 2 shown]
	s_waitcnt lgkmcnt(7)
	;;#ASMSTART
	v_dot2_f32_f16 v86, v88, v92, v86
	;;#ASMEND
	s_nop 0
	;;#ASMSTART
	v_dot2_f32_f16 v86, v89, v93, v86
	;;#ASMEND
	s_nop 0
	;;#ASMSTART
	v_dot2_f32_f16 v86, v90, v94, v86
	;;#ASMEND
	s_nop 0
	;;#ASMSTART
	v_dot2_f32_f16 v86, v91, v95, v86
	;;#ASMEND
	s_waitcnt lgkmcnt(6)
	;;#ASMSTART
	v_dot2_f32_f16 v84, v88, v96, v84
	;;#ASMEND
	s_nop 0
	;;#ASMSTART
	v_dot2_f32_f16 v84, v89, v97, v84
	;;#ASMEND
	s_nop 0
	;;#ASMSTART
	v_dot2_f32_f16 v84, v90, v98, v84
	;;#ASMEND
	s_nop 0
	;;#ASMSTART
	v_dot2_f32_f16 v84, v91, v99, v84
	;;#ASMEND
	;; [unrolled: 16-line block ×8, first 2 shown]
	;;#ASMSTART
	v_dot2_f32_f16 v87, v0, v92, v87
	;;#ASMEND
	s_nop 0
	;;#ASMSTART
	v_dot2_f32_f16 v87, v1, v93, v87
	;;#ASMEND
	s_nop 0
	;;#ASMSTART
	v_dot2_f32_f16 v87, v2, v94, v87
	;;#ASMEND
	s_nop 0
	;;#ASMSTART
	v_dot2_f32_f16 v87, v3, v95, v87
	;;#ASMEND
	;;#ASMSTART
	v_dot2_f32_f16 v85, v0, v96, v85
	;;#ASMEND
	s_nop 0
	;;#ASMSTART
	v_dot2_f32_f16 v85, v1, v97, v85
	;;#ASMEND
	s_nop 0
	;;#ASMSTART
	v_dot2_f32_f16 v85, v2, v98, v85
	;;#ASMEND
	s_nop 0
	;;#ASMSTART
	v_dot2_f32_f16 v85, v3, v99, v85
	;;#ASMEND
	;; [unrolled: 15-line block ×8, first 2 shown]
	ds_read_b128 v[88:91], v58 offset:16
	ds_read_b128 v[0:3], v58 offset:2576
	;; [unrolled: 1-line block ×10, first 2 shown]
	s_waitcnt lgkmcnt(7)
	;;#ASMSTART
	v_dot2_f32_f16 v86, v88, v92, v86
	;;#ASMEND
	s_nop 0
	;;#ASMSTART
	v_dot2_f32_f16 v86, v89, v93, v86
	;;#ASMEND
	s_nop 0
	;;#ASMSTART
	v_dot2_f32_f16 v86, v90, v94, v86
	;;#ASMEND
	s_nop 0
	;;#ASMSTART
	v_dot2_f32_f16 v86, v91, v95, v86
	;;#ASMEND
	s_waitcnt lgkmcnt(6)
	;;#ASMSTART
	v_dot2_f32_f16 v84, v88, v96, v84
	;;#ASMEND
	s_nop 0
	;;#ASMSTART
	v_dot2_f32_f16 v84, v89, v97, v84
	;;#ASMEND
	s_nop 0
	;;#ASMSTART
	v_dot2_f32_f16 v84, v90, v98, v84
	;;#ASMEND
	s_nop 0
	;;#ASMSTART
	v_dot2_f32_f16 v84, v91, v99, v84
	;;#ASMEND
	;; [unrolled: 16-line block ×8, first 2 shown]
	;;#ASMSTART
	v_dot2_f32_f16 v87, v0, v92, v87
	;;#ASMEND
	s_nop 0
	;;#ASMSTART
	v_dot2_f32_f16 v87, v1, v93, v87
	;;#ASMEND
	s_nop 0
	;;#ASMSTART
	v_dot2_f32_f16 v87, v2, v94, v87
	;;#ASMEND
	s_nop 0
	;;#ASMSTART
	v_dot2_f32_f16 v87, v3, v95, v87
	;;#ASMEND
	;;#ASMSTART
	v_dot2_f32_f16 v85, v0, v96, v85
	;;#ASMEND
	s_nop 0
	;;#ASMSTART
	v_dot2_f32_f16 v85, v1, v97, v85
	;;#ASMEND
	s_nop 0
	;;#ASMSTART
	v_dot2_f32_f16 v85, v2, v98, v85
	;;#ASMEND
	s_nop 0
	;;#ASMSTART
	v_dot2_f32_f16 v85, v3, v99, v85
	;;#ASMEND
	;; [unrolled: 15-line block ×8, first 2 shown]
	ds_read_b128 v[88:91], v58 offset:32
	ds_read_b128 v[0:3], v58 offset:2592
	;; [unrolled: 1-line block ×10, first 2 shown]
	s_waitcnt lgkmcnt(7)
	;;#ASMSTART
	v_dot2_f32_f16 v86, v88, v92, v86
	;;#ASMEND
	s_nop 0
	;;#ASMSTART
	v_dot2_f32_f16 v86, v89, v93, v86
	;;#ASMEND
	s_nop 0
	;;#ASMSTART
	v_dot2_f32_f16 v86, v90, v94, v86
	;;#ASMEND
	s_nop 0
	;;#ASMSTART
	v_dot2_f32_f16 v86, v91, v95, v86
	;;#ASMEND
	s_waitcnt lgkmcnt(6)
	;;#ASMSTART
	v_dot2_f32_f16 v84, v88, v96, v84
	;;#ASMEND
	s_nop 0
	;;#ASMSTART
	v_dot2_f32_f16 v84, v89, v97, v84
	;;#ASMEND
	s_nop 0
	;;#ASMSTART
	v_dot2_f32_f16 v84, v90, v98, v84
	;;#ASMEND
	s_nop 0
	;;#ASMSTART
	v_dot2_f32_f16 v84, v91, v99, v84
	;;#ASMEND
	;; [unrolled: 16-line block ×8, first 2 shown]
	;;#ASMSTART
	v_dot2_f32_f16 v87, v0, v92, v87
	;;#ASMEND
	s_nop 0
	;;#ASMSTART
	v_dot2_f32_f16 v87, v1, v93, v87
	;;#ASMEND
	s_nop 0
	;;#ASMSTART
	v_dot2_f32_f16 v87, v2, v94, v87
	;;#ASMEND
	s_nop 0
	;;#ASMSTART
	v_dot2_f32_f16 v87, v3, v95, v87
	;;#ASMEND
	;;#ASMSTART
	v_dot2_f32_f16 v85, v0, v96, v85
	;;#ASMEND
	s_nop 0
	;;#ASMSTART
	v_dot2_f32_f16 v85, v1, v97, v85
	;;#ASMEND
	s_nop 0
	;;#ASMSTART
	v_dot2_f32_f16 v85, v2, v98, v85
	;;#ASMEND
	s_nop 0
	;;#ASMSTART
	v_dot2_f32_f16 v85, v3, v99, v85
	;;#ASMEND
	;; [unrolled: 15-line block ×8, first 2 shown]
	ds_read_b128 v[88:91], v58 offset:48
	ds_read_b128 v[0:3], v58 offset:2608
	ds_read_b128 v[92:95], v56 offset:176
	ds_read_b128 v[96:99], v56 offset:432
	ds_read_b128 v[100:103], v56 offset:688
	ds_read_b128 v[104:107], v56 offset:944
	ds_read_b128 v[108:111], v56 offset:1200
	ds_read_b128 v[112:115], v56 offset:1456
	ds_read_b128 v[116:119], v56 offset:1712
	ds_read_b128 v[120:123], v56 offset:1968
	s_waitcnt lgkmcnt(7)
	;;#ASMSTART
	v_dot2_f32_f16 v86, v88, v92, v86
	;;#ASMEND
	s_nop 0
	;;#ASMSTART
	v_dot2_f32_f16 v86, v89, v93, v86
	;;#ASMEND
	s_nop 0
	;;#ASMSTART
	v_dot2_f32_f16 v86, v90, v94, v86
	;;#ASMEND
	s_nop 0
	;;#ASMSTART
	v_dot2_f32_f16 v86, v91, v95, v86
	;;#ASMEND
	s_waitcnt lgkmcnt(6)
	;;#ASMSTART
	v_dot2_f32_f16 v84, v88, v96, v84
	;;#ASMEND
	s_nop 0
	;;#ASMSTART
	v_dot2_f32_f16 v84, v89, v97, v84
	;;#ASMEND
	s_nop 0
	;;#ASMSTART
	v_dot2_f32_f16 v84, v90, v98, v84
	;;#ASMEND
	s_nop 0
	;;#ASMSTART
	v_dot2_f32_f16 v84, v91, v99, v84
	;;#ASMEND
	;; [unrolled: 16-line block ×8, first 2 shown]
	;;#ASMSTART
	v_dot2_f32_f16 v87, v0, v92, v87
	;;#ASMEND
	s_nop 0
	;;#ASMSTART
	v_dot2_f32_f16 v87, v1, v93, v87
	;;#ASMEND
	s_nop 0
	;;#ASMSTART
	v_dot2_f32_f16 v87, v2, v94, v87
	;;#ASMEND
	s_nop 0
	;;#ASMSTART
	v_dot2_f32_f16 v87, v3, v95, v87
	;;#ASMEND
	;;#ASMSTART
	v_dot2_f32_f16 v85, v0, v96, v85
	;;#ASMEND
	s_nop 0
	;;#ASMSTART
	v_dot2_f32_f16 v85, v1, v97, v85
	;;#ASMEND
	s_nop 0
	;;#ASMSTART
	v_dot2_f32_f16 v85, v2, v98, v85
	;;#ASMEND
	s_nop 0
	;;#ASMSTART
	v_dot2_f32_f16 v85, v3, v99, v85
	;;#ASMEND
	;; [unrolled: 15-line block ×8, first 2 shown]
	s_barrier
	global_load_dwordx4 v[0:3], v[4:5], off offset:192
	s_waitcnt vmcnt(0)
	ds_write_b128 v57, v[0:3]
	s_waitcnt lgkmcnt(0)
	s_barrier
	ds_read_b128 v[88:91], v58
	ds_read_b128 v[0:3], v58 offset:2560
	ds_read_b128 v[92:95], v56 offset:192
	;; [unrolled: 1-line block ×9, first 2 shown]
	s_waitcnt lgkmcnt(7)
	;;#ASMSTART
	v_dot2_f32_f16 v86, v88, v92, v86
	;;#ASMEND
	s_nop 0
	;;#ASMSTART
	v_dot2_f32_f16 v86, v89, v93, v86
	;;#ASMEND
	s_nop 0
	;;#ASMSTART
	v_dot2_f32_f16 v86, v90, v94, v86
	;;#ASMEND
	s_nop 0
	;;#ASMSTART
	v_dot2_f32_f16 v86, v91, v95, v86
	;;#ASMEND
	s_waitcnt lgkmcnt(6)
	;;#ASMSTART
	v_dot2_f32_f16 v84, v88, v96, v84
	;;#ASMEND
	s_nop 0
	;;#ASMSTART
	v_dot2_f32_f16 v84, v89, v97, v84
	;;#ASMEND
	s_nop 0
	;;#ASMSTART
	v_dot2_f32_f16 v84, v90, v98, v84
	;;#ASMEND
	s_nop 0
	;;#ASMSTART
	v_dot2_f32_f16 v84, v91, v99, v84
	;;#ASMEND
	;; [unrolled: 16-line block ×8, first 2 shown]
	;;#ASMSTART
	v_dot2_f32_f16 v87, v0, v92, v87
	;;#ASMEND
	s_nop 0
	;;#ASMSTART
	v_dot2_f32_f16 v87, v1, v93, v87
	;;#ASMEND
	s_nop 0
	;;#ASMSTART
	v_dot2_f32_f16 v87, v2, v94, v87
	;;#ASMEND
	s_nop 0
	;;#ASMSTART
	v_dot2_f32_f16 v87, v3, v95, v87
	;;#ASMEND
	;;#ASMSTART
	v_dot2_f32_f16 v85, v0, v96, v85
	;;#ASMEND
	s_nop 0
	;;#ASMSTART
	v_dot2_f32_f16 v85, v1, v97, v85
	;;#ASMEND
	s_nop 0
	;;#ASMSTART
	v_dot2_f32_f16 v85, v2, v98, v85
	;;#ASMEND
	s_nop 0
	;;#ASMSTART
	v_dot2_f32_f16 v85, v3, v99, v85
	;;#ASMEND
	;; [unrolled: 15-line block ×8, first 2 shown]
	ds_read_b128 v[88:91], v58 offset:16
	ds_read_b128 v[0:3], v58 offset:2576
	;; [unrolled: 1-line block ×10, first 2 shown]
	s_waitcnt lgkmcnt(7)
	;;#ASMSTART
	v_dot2_f32_f16 v86, v88, v92, v86
	;;#ASMEND
	s_nop 0
	;;#ASMSTART
	v_dot2_f32_f16 v86, v89, v93, v86
	;;#ASMEND
	s_nop 0
	;;#ASMSTART
	v_dot2_f32_f16 v86, v90, v94, v86
	;;#ASMEND
	s_nop 0
	;;#ASMSTART
	v_dot2_f32_f16 v86, v91, v95, v86
	;;#ASMEND
	s_waitcnt lgkmcnt(6)
	;;#ASMSTART
	v_dot2_f32_f16 v84, v88, v96, v84
	;;#ASMEND
	s_nop 0
	;;#ASMSTART
	v_dot2_f32_f16 v84, v89, v97, v84
	;;#ASMEND
	s_nop 0
	;;#ASMSTART
	v_dot2_f32_f16 v84, v90, v98, v84
	;;#ASMEND
	s_nop 0
	;;#ASMSTART
	v_dot2_f32_f16 v84, v91, v99, v84
	;;#ASMEND
	;; [unrolled: 16-line block ×8, first 2 shown]
	;;#ASMSTART
	v_dot2_f32_f16 v87, v0, v92, v87
	;;#ASMEND
	s_nop 0
	;;#ASMSTART
	v_dot2_f32_f16 v87, v1, v93, v87
	;;#ASMEND
	s_nop 0
	;;#ASMSTART
	v_dot2_f32_f16 v87, v2, v94, v87
	;;#ASMEND
	s_nop 0
	;;#ASMSTART
	v_dot2_f32_f16 v87, v3, v95, v87
	;;#ASMEND
	;;#ASMSTART
	v_dot2_f32_f16 v85, v0, v96, v85
	;;#ASMEND
	s_nop 0
	;;#ASMSTART
	v_dot2_f32_f16 v85, v1, v97, v85
	;;#ASMEND
	s_nop 0
	;;#ASMSTART
	v_dot2_f32_f16 v85, v2, v98, v85
	;;#ASMEND
	s_nop 0
	;;#ASMSTART
	v_dot2_f32_f16 v85, v3, v99, v85
	;;#ASMEND
	;; [unrolled: 15-line block ×8, first 2 shown]
	ds_read_b128 v[88:91], v58 offset:32
	ds_read_b128 v[0:3], v58 offset:2592
	;; [unrolled: 1-line block ×10, first 2 shown]
	s_waitcnt lgkmcnt(7)
	;;#ASMSTART
	v_dot2_f32_f16 v86, v88, v92, v86
	;;#ASMEND
	s_nop 0
	;;#ASMSTART
	v_dot2_f32_f16 v86, v89, v93, v86
	;;#ASMEND
	s_nop 0
	;;#ASMSTART
	v_dot2_f32_f16 v86, v90, v94, v86
	;;#ASMEND
	s_nop 0
	;;#ASMSTART
	v_dot2_f32_f16 v86, v91, v95, v86
	;;#ASMEND
	s_waitcnt lgkmcnt(6)
	;;#ASMSTART
	v_dot2_f32_f16 v84, v88, v96, v84
	;;#ASMEND
	s_nop 0
	;;#ASMSTART
	v_dot2_f32_f16 v84, v89, v97, v84
	;;#ASMEND
	s_nop 0
	;;#ASMSTART
	v_dot2_f32_f16 v84, v90, v98, v84
	;;#ASMEND
	s_nop 0
	;;#ASMSTART
	v_dot2_f32_f16 v84, v91, v99, v84
	;;#ASMEND
	;; [unrolled: 16-line block ×8, first 2 shown]
	;;#ASMSTART
	v_dot2_f32_f16 v87, v0, v92, v87
	;;#ASMEND
	s_nop 0
	;;#ASMSTART
	v_dot2_f32_f16 v87, v1, v93, v87
	;;#ASMEND
	s_nop 0
	;;#ASMSTART
	v_dot2_f32_f16 v87, v2, v94, v87
	;;#ASMEND
	s_nop 0
	;;#ASMSTART
	v_dot2_f32_f16 v87, v3, v95, v87
	;;#ASMEND
	;;#ASMSTART
	v_dot2_f32_f16 v85, v0, v96, v85
	;;#ASMEND
	s_nop 0
	;;#ASMSTART
	v_dot2_f32_f16 v85, v1, v97, v85
	;;#ASMEND
	s_nop 0
	;;#ASMSTART
	v_dot2_f32_f16 v85, v2, v98, v85
	;;#ASMEND
	s_nop 0
	;;#ASMSTART
	v_dot2_f32_f16 v85, v3, v99, v85
	;;#ASMEND
	;; [unrolled: 15-line block ×8, first 2 shown]
	ds_read_b128 v[88:91], v58 offset:48
	ds_read_b128 v[0:3], v58 offset:2608
	;; [unrolled: 1-line block ×10, first 2 shown]
	s_waitcnt lgkmcnt(7)
	;;#ASMSTART
	v_dot2_f32_f16 v86, v88, v92, v86
	;;#ASMEND
	s_nop 0
	;;#ASMSTART
	v_dot2_f32_f16 v86, v89, v93, v86
	;;#ASMEND
	s_nop 0
	;; [unrolled: 4-line block ×3, first 2 shown]
	;;#ASMSTART
	v_dot2_f32_f16 v86, v91, v95, v86
	;;#ASMEND
	s_waitcnt lgkmcnt(6)
	;;#ASMSTART
	v_dot2_f32_f16 v84, v88, v96, v84
	;;#ASMEND
	s_nop 0
	;;#ASMSTART
	v_dot2_f32_f16 v84, v89, v97, v84
	;;#ASMEND
	v_cmp_nlt_f32_e64 s[6:7], |v86|, s8
	;;#ASMSTART
	v_dot2_f32_f16 v84, v90, v98, v84
	;;#ASMEND
	s_nop 0
	;;#ASMSTART
	v_dot2_f32_f16 v84, v91, v99, v84
	;;#ASMEND
	s_waitcnt lgkmcnt(5)
	;;#ASMSTART
	v_dot2_f32_f16 v81, v88, v100, v81
	;;#ASMEND
	s_nop 0
	;;#ASMSTART
	v_dot2_f32_f16 v81, v89, v101, v81
	;;#ASMEND
	s_nop 0
	;;#ASMSTART
	v_dot2_f32_f16 v81, v90, v102, v81
	;;#ASMEND
	s_nop 0
	;;#ASMSTART
	v_dot2_f32_f16 v81, v91, v103, v81
	;;#ASMEND
	s_waitcnt lgkmcnt(4)
	;;#ASMSTART
	v_dot2_f32_f16 v80, v88, v104, v80
	;;#ASMEND
	s_nop 0
	;;#ASMSTART
	v_dot2_f32_f16 v80, v89, v105, v80
	;;#ASMEND
	s_nop 0
	;; [unrolled: 16-line block ×6, first 2 shown]
	;;#ASMSTART
	v_dot2_f32_f16 v6, v90, v122, v6
	;;#ASMEND
	s_nop 0
	;;#ASMSTART
	v_dot2_f32_f16 v6, v91, v123, v6
	;;#ASMEND
	;;#ASMSTART
	v_dot2_f32_f16 v87, v0, v92, v87
	;;#ASMEND
	s_nop 0
	;;#ASMSTART
	v_dot2_f32_f16 v87, v1, v93, v87
	;;#ASMEND
	s_nop 0
	;;#ASMSTART
	v_dot2_f32_f16 v87, v2, v94, v87
	;;#ASMEND
	s_nop 0
	;;#ASMSTART
	v_dot2_f32_f16 v87, v3, v95, v87
	;;#ASMEND
	;;#ASMSTART
	v_dot2_f32_f16 v85, v0, v96, v85
	;;#ASMEND
	s_nop 0
	;;#ASMSTART
	v_dot2_f32_f16 v85, v1, v97, v85
	;;#ASMEND
	s_nop 0
	;; [unrolled: 15-line block ×8, first 2 shown]
	;;#ASMSTART
	v_dot2_f32_f16 v7, v2, v122, v7
	;;#ASMEND
                                        ; implicit-def: $vgpr2
	s_nop 0
	;;#ASMSTART
	v_dot2_f32_f16 v7, v3, v123, v7
	;;#ASMEND
	s_and_saveexec_b64 s[26:27], s[6:7]
	s_xor_b64 s[6:7], exec, s[26:27]
	s_cbranch_execz .LBB80_53
; %bb.52:                               ;   in Loop: Header=BB80_51 Depth=1
	v_add_f32_e64 v0, |v86|, |v86|
	v_mul_f32_e32 v1, 0x3fb8aa3b, v0
	v_rndne_f32_e32 v2, v1
	v_sub_f32_e32 v3, v1, v2
	v_fma_f32 v1, v0, s9, -v1
	v_fmac_f32_e32 v1, 0x32a5705f, v0
	v_add_f32_e32 v1, v3, v1
	v_cvt_i32_f32_e32 v2, v2
	v_exp_f32_e32 v1, v1
	v_cmp_ngt_f32_e32 vcc, s15, v0
	v_ldexp_f32 v1, v1, v2
	s_nop 0
	v_cndmask_b32_e32 v1, 0, v1, vcc
	v_cmp_nlt_f32_e32 vcc, s20, v0
	s_nop 1
	v_cndmask_b32_e32 v0, v68, v1, vcc
	v_add_f32_e32 v0, 1.0, v0
	v_rcp_f32_e32 v0, v0
	s_nop 0
	v_fma_f32 v2, v0, -2.0, 1.0
.LBB80_53:                              ;   in Loop: Header=BB80_51 Depth=1
	s_andn2_saveexec_b64 s[6:7], s[6:7]
; %bb.54:                               ;   in Loop: Header=BB80_51 Depth=1
	v_mul_f32_e32 v0, v86, v86
	v_fmamk_f32 v1, v0, 0xbbbac73d, v66
	v_fmaak_f32 v1, v0, v1, 0xbd5c1c4e
	v_fmaak_f32 v1, v0, v1, 0x3e088382
	;; [unrolled: 1-line block ×3, first 2 shown]
	v_mul_f32_e64 v1, |v86|, v1
	v_fma_f32 v2, v0, v1, |v86|
; %bb.55:                               ;   in Loop: Header=BB80_51 Depth=1
	s_or_b64 exec, exec, s[6:7]
	v_add_u32_e32 v4, s2, v53
	v_add_u32_e32 v0, v4, v59
	v_ashrrev_i32_e32 v1, 31, v0
	v_lshl_add_u64 v[0:1], v[0:1], 1, s[34:35]
	global_load_ushort v5, v[0:1], off
	v_cmp_nlt_f32_e64 s[6:7], |v87|, s8
                                        ; implicit-def: $vgpr3
	s_and_saveexec_b64 s[26:27], s[6:7]
	s_xor_b64 s[6:7], exec, s[26:27]
	s_cbranch_execz .LBB80_57
; %bb.56:                               ;   in Loop: Header=BB80_51 Depth=1
	v_add_f32_e64 v3, |v87|, |v87|
	v_mul_f32_e32 v88, 0x3fb8aa3b, v3
	v_rndne_f32_e32 v89, v88
	v_sub_f32_e32 v90, v88, v89
	v_fma_f32 v88, v3, s9, -v88
	v_fmac_f32_e32 v88, 0x32a5705f, v3
	v_add_f32_e32 v88, v90, v88
	v_cvt_i32_f32_e32 v89, v89
	v_exp_f32_e32 v88, v88
	v_cmp_ngt_f32_e32 vcc, s15, v3
	v_ldexp_f32 v88, v88, v89
	s_nop 0
	v_cndmask_b32_e32 v88, 0, v88, vcc
	v_cmp_nlt_f32_e32 vcc, s20, v3
	s_nop 1
	v_cndmask_b32_e32 v3, v68, v88, vcc
	v_add_f32_e32 v3, 1.0, v3
	v_rcp_f32_e32 v3, v3
	s_nop 0
	v_fma_f32 v3, v3, -2.0, 1.0
.LBB80_57:                              ;   in Loop: Header=BB80_51 Depth=1
	s_andn2_saveexec_b64 s[6:7], s[6:7]
; %bb.58:                               ;   in Loop: Header=BB80_51 Depth=1
	v_mul_f32_e32 v3, v87, v87
	v_fmamk_f32 v88, v3, 0xbbbac73d, v66
	v_fmaak_f32 v88, v3, v88, 0xbd5c1c4e
	v_fmaak_f32 v88, v3, v88, 0x3e088382
	;; [unrolled: 1-line block ×3, first 2 shown]
	v_mul_f32_e64 v88, |v87|, v88
	v_fma_f32 v3, v3, v88, |v87|
; %bb.59:                               ;   in Loop: Header=BB80_51 Depth=1
	s_or_b64 exec, exec, s[6:7]
	global_load_ushort v0, v[0:1], off offset:64
	v_bfi_b32 v1, s21, v2, v86
	v_and_b32_e32 v2, 0x60, v20
	v_add_u32_e32 v86, 32, v2
	v_xor_b32_e32 v88, 16, v20
	v_bfi_b32 v3, s21, v3, v87
	s_waitcnt vmcnt(1)
	v_fma_mix_f32 v93, s10, v1, v5 op_sel_hi:[0,0,1]
	v_cmp_lt_i32_e32 vcc, v88, v86
	v_add_f32_e32 v1, 0x40051340, v93
	v_xor_b32_e32 v91, 8, v20
	v_cndmask_b32_e32 v2, v20, v88, vcc
	v_lshlrev_b32_e32 v2, 2, v2
	v_cmp_lt_i32_e32 vcc, v91, v86
	v_xor_b32_e32 v90, 4, v20
	v_cmp_nlt_f32_e64 s[6:7], |v84|, s8
	s_waitcnt vmcnt(0)
	v_fma_mix_f32 v92, s10, v3, v0 op_sel_hi:[0,0,1]
	v_add_f32_e32 v3, 0x40051340, v92
	v_max3_f32 v1, v22, v1, v3
	ds_bpermute_b32 v87, v2, v1
	v_cndmask_b32_e32 v3, v20, v91, vcc
	v_lshlrev_b32_e32 v3, 2, v3
	v_cmp_lt_i32_e32 vcc, v90, v86
	s_waitcnt lgkmcnt(0)
	v_max_f32_e32 v87, v87, v87
	v_max_f32_e32 v1, v1, v87
	ds_bpermute_b32 v87, v3, v1
	v_cndmask_b32_e32 v89, v20, v90, vcc
	v_lshlrev_b32_e32 v95, 2, v89
	v_xor_b32_e32 v89, 2, v20
	v_cmp_lt_i32_e32 vcc, v89, v86
	s_waitcnt lgkmcnt(0)
	v_max_f32_e32 v87, v87, v87
	v_max_f32_e32 v1, v1, v87
	ds_bpermute_b32 v87, v95, v1
	v_cndmask_b32_e32 v94, v20, v89, vcc
	v_lshlrev_b32_e32 v96, 2, v94
	s_waitcnt lgkmcnt(0)
	v_max_f32_e32 v87, v87, v87
	v_max_f32_e32 v1, v1, v87
	ds_bpermute_b32 v94, v96, v1
	v_xor_b32_e32 v87, 1, v20
	v_cmp_lt_i32_e32 vcc, v87, v86
	s_waitcnt lgkmcnt(0)
	v_max_f32_e32 v94, v94, v94
	v_cndmask_b32_e32 v97, v20, v87, vcc
	v_lshlrev_b32_e32 v97, 2, v97
	v_max_f32_e32 v94, v1, v94
	ds_bpermute_b32 v98, v97, v94
                                        ; implicit-def: $vgpr1
	s_and_saveexec_b64 s[26:27], s[6:7]
	s_xor_b64 s[6:7], exec, s[26:27]
	s_cbranch_execz .LBB80_61
; %bb.60:                               ;   in Loop: Header=BB80_51 Depth=1
	v_add_f32_e64 v1, |v84|, |v84|
	v_mul_f32_e32 v99, 0x3fb8aa3b, v1
	v_rndne_f32_e32 v100, v99
	v_sub_f32_e32 v101, v99, v100
	v_fma_f32 v99, v1, s9, -v99
	v_fmac_f32_e32 v99, 0x32a5705f, v1
	v_add_f32_e32 v99, v101, v99
	v_cvt_i32_f32_e32 v100, v100
	v_exp_f32_e32 v99, v99
	v_cmp_ngt_f32_e32 vcc, s15, v1
	v_ldexp_f32 v99, v99, v100
	s_nop 0
	v_cndmask_b32_e32 v99, 0, v99, vcc
	v_cmp_nlt_f32_e32 vcc, s20, v1
	s_nop 1
	v_cndmask_b32_e32 v1, v68, v99, vcc
	v_add_f32_e32 v1, 1.0, v1
	v_rcp_f32_e32 v1, v1
	s_nop 0
	v_fma_f32 v1, v1, -2.0, 1.0
.LBB80_61:                              ;   in Loop: Header=BB80_51 Depth=1
	s_andn2_saveexec_b64 s[6:7], s[6:7]
; %bb.62:                               ;   in Loop: Header=BB80_51 Depth=1
	v_mul_f32_e32 v1, v84, v84
	v_fmamk_f32 v99, v1, 0xbbbac73d, v66
	v_fmaak_f32 v99, v1, v99, 0xbd5c1c4e
	v_fmaak_f32 v99, v1, v99, 0x3e088382
	;; [unrolled: 1-line block ×3, first 2 shown]
	v_mul_f32_e64 v99, |v84|, v99
	v_fma_f32 v1, v1, v99, |v84|
; %bb.63:                               ;   in Loop: Header=BB80_51 Depth=1
	s_or_b64 exec, exec, s[6:7]
	v_cmp_nlt_f32_e64 s[6:7], |v85|, s8
                                        ; implicit-def: $vgpr101
	s_and_saveexec_b64 s[26:27], s[6:7]
	s_xor_b64 s[6:7], exec, s[26:27]
	s_cbranch_execz .LBB80_65
; %bb.64:                               ;   in Loop: Header=BB80_51 Depth=1
	v_add_f32_e64 v99, |v85|, |v85|
	v_mul_f32_e32 v100, 0x3fb8aa3b, v99
	v_rndne_f32_e32 v101, v100
	v_sub_f32_e32 v102, v100, v101
	v_fma_f32 v100, v99, s9, -v100
	v_fmac_f32_e32 v100, 0x32a5705f, v99
	v_add_f32_e32 v100, v102, v100
	v_cvt_i32_f32_e32 v101, v101
	v_exp_f32_e32 v100, v100
	v_cmp_ngt_f32_e32 vcc, s15, v99
	v_ldexp_f32 v100, v100, v101
	s_nop 0
	v_cndmask_b32_e32 v100, 0, v100, vcc
	v_cmp_nlt_f32_e32 vcc, s20, v99
	s_nop 1
	v_cndmask_b32_e32 v99, v68, v100, vcc
	v_add_f32_e32 v99, 1.0, v99
	v_rcp_f32_e32 v99, v99
	s_nop 0
	v_fma_f32 v101, v99, -2.0, 1.0
.LBB80_65:                              ;   in Loop: Header=BB80_51 Depth=1
	s_andn2_saveexec_b64 s[6:7], s[6:7]
; %bb.66:                               ;   in Loop: Header=BB80_51 Depth=1
	v_mul_f32_e32 v99, v85, v85
	v_fmamk_f32 v100, v99, 0xbbbac73d, v66
	v_fmaak_f32 v100, v99, v100, 0xbd5c1c4e
	v_fmaak_f32 v100, v99, v100, 0x3e088382
	;; [unrolled: 1-line block ×3, first 2 shown]
	v_mul_f32_e64 v100, |v85|, v100
	v_fma_f32 v101, v99, v100, |v85|
; %bb.67:                               ;   in Loop: Header=BB80_51 Depth=1
	s_or_b64 exec, exec, s[6:7]
	v_cvt_f32_f16_e32 v100, v5
	v_cvt_f32_f16_e32 v99, v0
	v_bfi_b32 v0, s21, v1, v84
	v_bfi_b32 v1, s21, v101, v85
	v_fmac_f32_e32 v100, s10, v0
	v_fmac_f32_e32 v99, s10, v1
	v_add_f32_e32 v0, 0x40051340, v100
	v_add_f32_e32 v1, 0x40051340, v99
	v_max3_f32 v0, v23, v0, v1
	ds_bpermute_b32 v1, v2, v0
	v_cmp_nlt_f32_e64 s[6:7], |v81|, s8
                                        ; implicit-def: $vgpr84
	s_waitcnt lgkmcnt(0)
	v_max_f32_e32 v1, v1, v1
	v_max_f32_e32 v0, v0, v1
	ds_bpermute_b32 v1, v3, v0
	s_waitcnt lgkmcnt(0)
	v_max_f32_e32 v1, v1, v1
	v_max_f32_e32 v0, v0, v1
	ds_bpermute_b32 v1, v95, v0
	;; [unrolled: 4-line block ×4, first 2 shown]
	s_and_saveexec_b64 s[26:27], s[6:7]
	s_xor_b64 s[6:7], exec, s[26:27]
	s_cbranch_execz .LBB80_69
; %bb.68:                               ;   in Loop: Header=BB80_51 Depth=1
	v_add_f32_e64 v0, |v81|, |v81|
	v_mul_f32_e32 v1, 0x3fb8aa3b, v0
	v_rndne_f32_e32 v5, v1
	v_sub_f32_e32 v84, v1, v5
	v_fma_f32 v1, v0, s9, -v1
	v_fmac_f32_e32 v1, 0x32a5705f, v0
	v_add_f32_e32 v1, v84, v1
	v_cvt_i32_f32_e32 v5, v5
	v_exp_f32_e32 v1, v1
	v_cmp_ngt_f32_e32 vcc, s15, v0
	v_ldexp_f32 v1, v1, v5
	s_nop 0
	v_cndmask_b32_e32 v1, 0, v1, vcc
	v_cmp_nlt_f32_e32 vcc, s20, v0
	s_nop 1
	v_cndmask_b32_e32 v0, v68, v1, vcc
	v_add_f32_e32 v0, 1.0, v0
	v_rcp_f32_e32 v0, v0
	s_nop 0
	v_fma_f32 v84, v0, -2.0, 1.0
.LBB80_69:                              ;   in Loop: Header=BB80_51 Depth=1
	s_andn2_saveexec_b64 s[6:7], s[6:7]
; %bb.70:                               ;   in Loop: Header=BB80_51 Depth=1
	v_mul_f32_e32 v0, v81, v81
	v_fmamk_f32 v1, v0, 0xbbbac73d, v66
	v_fmaak_f32 v1, v0, v1, 0xbd5c1c4e
	v_fmaak_f32 v1, v0, v1, 0x3e088382
	;; [unrolled: 1-line block ×3, first 2 shown]
	v_mul_f32_e64 v1, |v81|, v1
	v_fma_f32 v84, v0, v1, |v81|
; %bb.71:                               ;   in Loop: Header=BB80_51 Depth=1
	s_or_b64 exec, exec, s[6:7]
	v_add_u32_e32 v0, v4, v60
	v_ashrrev_i32_e32 v1, 31, v0
	v_lshl_add_u64 v[0:1], v[0:1], 1, s[34:35]
	global_load_ushort v5, v[0:1], off
	v_cmp_nlt_f32_e64 s[6:7], |v83|, s8
                                        ; implicit-def: $vgpr102
	s_and_saveexec_b64 s[26:27], s[6:7]
	s_xor_b64 s[6:7], exec, s[26:27]
	s_cbranch_execz .LBB80_73
; %bb.72:                               ;   in Loop: Header=BB80_51 Depth=1
	v_add_f32_e64 v102, |v83|, |v83|
	v_mul_f32_e32 v103, 0x3fb8aa3b, v102
	v_rndne_f32_e32 v104, v103
	v_sub_f32_e32 v105, v103, v104
	v_fma_f32 v103, v102, s9, -v103
	v_fmac_f32_e32 v103, 0x32a5705f, v102
	v_add_f32_e32 v103, v105, v103
	v_cvt_i32_f32_e32 v104, v104
	v_exp_f32_e32 v103, v103
	v_cmp_ngt_f32_e32 vcc, s15, v102
	v_ldexp_f32 v103, v103, v104
	s_nop 0
	v_cndmask_b32_e32 v103, 0, v103, vcc
	v_cmp_nlt_f32_e32 vcc, s20, v102
	s_nop 1
	v_cndmask_b32_e32 v102, v68, v103, vcc
	v_add_f32_e32 v102, 1.0, v102
	v_rcp_f32_e32 v102, v102
	s_nop 0
	v_fma_f32 v102, v102, -2.0, 1.0
.LBB80_73:                              ;   in Loop: Header=BB80_51 Depth=1
	s_andn2_saveexec_b64 s[6:7], s[6:7]
; %bb.74:                               ;   in Loop: Header=BB80_51 Depth=1
	v_mul_f32_e32 v102, v83, v83
	v_fmamk_f32 v103, v102, 0xbbbac73d, v66
	v_fmaak_f32 v103, v102, v103, 0xbd5c1c4e
	v_fmaak_f32 v103, v102, v103, 0x3e088382
	;; [unrolled: 1-line block ×3, first 2 shown]
	v_mul_f32_e64 v103, |v83|, v103
	v_fma_f32 v102, v102, v103, |v83|
; %bb.75:                               ;   in Loop: Header=BB80_51 Depth=1
	s_or_b64 exec, exec, s[6:7]
	global_load_ushort v0, v[0:1], off offset:64
	v_bfi_b32 v1, s21, v84, v81
	v_bfi_b32 v81, s21, v102, v83
	s_waitcnt vmcnt(1)
	v_fma_mix_f32 v84, s10, v1, v5 op_sel_hi:[0,0,1]
	v_add_f32_e32 v1, 0x40051340, v84
	v_cmp_nlt_f32_e64 s[6:7], |v80|, s8
	s_waitcnt vmcnt(0)
	v_fma_mix_f32 v81, s10, v81, v0 op_sel_hi:[0,0,1]
	v_add_f32_e32 v83, 0x40051340, v81
	v_max3_f32 v1, v28, v1, v83
	ds_bpermute_b32 v83, v2, v1
	s_waitcnt lgkmcnt(0)
	v_max_f32_e32 v83, v83, v83
	v_max_f32_e32 v1, v1, v83
	ds_bpermute_b32 v83, v3, v1
	s_waitcnt lgkmcnt(0)
	v_max_f32_e32 v83, v83, v83
	v_max_f32_e32 v1, v1, v83
	;; [unrolled: 4-line block ×4, first 2 shown]
	ds_bpermute_b32 v104, v97, v103
                                        ; implicit-def: $vgpr1
	s_and_saveexec_b64 s[26:27], s[6:7]
	s_xor_b64 s[6:7], exec, s[26:27]
	s_cbranch_execz .LBB80_77
; %bb.76:                               ;   in Loop: Header=BB80_51 Depth=1
	v_add_f32_e64 v1, |v80|, |v80|
	v_mul_f32_e32 v83, 0x3fb8aa3b, v1
	v_rndne_f32_e32 v102, v83
	v_sub_f32_e32 v105, v83, v102
	v_fma_f32 v83, v1, s9, -v83
	v_fmac_f32_e32 v83, 0x32a5705f, v1
	v_add_f32_e32 v83, v105, v83
	v_cvt_i32_f32_e32 v102, v102
	v_exp_f32_e32 v83, v83
	v_cmp_ngt_f32_e32 vcc, s15, v1
	v_ldexp_f32 v83, v83, v102
	s_nop 0
	v_cndmask_b32_e32 v83, 0, v83, vcc
	v_cmp_nlt_f32_e32 vcc, s20, v1
	s_nop 1
	v_cndmask_b32_e32 v1, v68, v83, vcc
	v_add_f32_e32 v1, 1.0, v1
	v_rcp_f32_e32 v1, v1
	s_nop 0
	v_fma_f32 v1, v1, -2.0, 1.0
.LBB80_77:                              ;   in Loop: Header=BB80_51 Depth=1
	s_andn2_saveexec_b64 s[6:7], s[6:7]
; %bb.78:                               ;   in Loop: Header=BB80_51 Depth=1
	v_mul_f32_e32 v1, v80, v80
	v_fmamk_f32 v83, v1, 0xbbbac73d, v66
	v_fmaak_f32 v83, v1, v83, 0xbd5c1c4e
	v_fmaak_f32 v83, v1, v83, 0x3e088382
	v_fmaak_f32 v83, v1, v83, 0xbeaaaa99
	v_mul_f32_e64 v83, |v80|, v83
	v_fma_f32 v1, v1, v83, |v80|
; %bb.79:                               ;   in Loop: Header=BB80_51 Depth=1
	s_or_b64 exec, exec, s[6:7]
	v_cmp_nlt_f32_e64 s[6:7], |v82|, s8
                                        ; implicit-def: $vgpr105
	s_and_saveexec_b64 s[26:27], s[6:7]
	s_xor_b64 s[6:7], exec, s[26:27]
	s_cbranch_execz .LBB80_81
; %bb.80:                               ;   in Loop: Header=BB80_51 Depth=1
	v_add_f32_e64 v83, |v82|, |v82|
	v_mul_f32_e32 v102, 0x3fb8aa3b, v83
	v_rndne_f32_e32 v105, v102
	v_sub_f32_e32 v106, v102, v105
	v_fma_f32 v102, v83, s9, -v102
	v_fmac_f32_e32 v102, 0x32a5705f, v83
	v_add_f32_e32 v102, v106, v102
	v_cvt_i32_f32_e32 v105, v105
	v_exp_f32_e32 v102, v102
	v_cmp_ngt_f32_e32 vcc, s15, v83
	v_ldexp_f32 v102, v102, v105
	s_nop 0
	v_cndmask_b32_e32 v102, 0, v102, vcc
	v_cmp_nlt_f32_e32 vcc, s20, v83
	s_nop 1
	v_cndmask_b32_e32 v83, v68, v102, vcc
	v_add_f32_e32 v83, 1.0, v83
	v_rcp_f32_e32 v83, v83
	s_nop 0
	v_fma_f32 v105, v83, -2.0, 1.0
.LBB80_81:                              ;   in Loop: Header=BB80_51 Depth=1
	s_andn2_saveexec_b64 s[6:7], s[6:7]
; %bb.82:                               ;   in Loop: Header=BB80_51 Depth=1
	v_mul_f32_e32 v83, v82, v82
	v_fmamk_f32 v102, v83, 0xbbbac73d, v66
	v_fmaak_f32 v102, v83, v102, 0xbd5c1c4e
	v_fmaak_f32 v102, v83, v102, 0x3e088382
	v_fmaak_f32 v102, v83, v102, 0xbeaaaa99
	v_mul_f32_e64 v102, |v82|, v102
	v_fma_f32 v105, v83, v102, |v82|
; %bb.83:                               ;   in Loop: Header=BB80_51 Depth=1
	s_or_b64 exec, exec, s[6:7]
	v_cvt_f32_f16_e32 v102, v5
	v_cvt_f32_f16_e32 v83, v0
	v_bfi_b32 v0, s21, v1, v80
	v_bfi_b32 v1, s21, v105, v82
	v_fmac_f32_e32 v102, s10, v0
	v_fmac_f32_e32 v83, s10, v1
	v_add_f32_e32 v0, 0x40051340, v102
	v_add_f32_e32 v1, 0x40051340, v83
	v_max3_f32 v0, v29, v0, v1
	ds_bpermute_b32 v1, v2, v0
	v_cmp_nlt_f32_e64 s[6:7], |v78|, s8
                                        ; implicit-def: $vgpr80
	s_waitcnt lgkmcnt(0)
	v_max_f32_e32 v1, v1, v1
	v_max_f32_e32 v0, v0, v1
	ds_bpermute_b32 v1, v3, v0
	s_waitcnt lgkmcnt(0)
	v_max_f32_e32 v1, v1, v1
	v_max_f32_e32 v0, v0, v1
	ds_bpermute_b32 v1, v95, v0
	;; [unrolled: 4-line block ×4, first 2 shown]
	s_and_saveexec_b64 s[26:27], s[6:7]
	s_xor_b64 s[6:7], exec, s[26:27]
	s_cbranch_execz .LBB80_85
; %bb.84:                               ;   in Loop: Header=BB80_51 Depth=1
	v_add_f32_e64 v0, |v78|, |v78|
	v_mul_f32_e32 v1, 0x3fb8aa3b, v0
	v_rndne_f32_e32 v5, v1
	v_sub_f32_e32 v80, v1, v5
	v_fma_f32 v1, v0, s9, -v1
	v_fmac_f32_e32 v1, 0x32a5705f, v0
	v_add_f32_e32 v1, v80, v1
	v_cvt_i32_f32_e32 v5, v5
	v_exp_f32_e32 v1, v1
	v_cmp_ngt_f32_e32 vcc, s15, v0
	v_ldexp_f32 v1, v1, v5
	s_nop 0
	v_cndmask_b32_e32 v1, 0, v1, vcc
	v_cmp_nlt_f32_e32 vcc, s20, v0
	s_nop 1
	v_cndmask_b32_e32 v0, v68, v1, vcc
	v_add_f32_e32 v0, 1.0, v0
	v_rcp_f32_e32 v0, v0
	s_nop 0
	v_fma_f32 v80, v0, -2.0, 1.0
.LBB80_85:                              ;   in Loop: Header=BB80_51 Depth=1
	s_andn2_saveexec_b64 s[6:7], s[6:7]
; %bb.86:                               ;   in Loop: Header=BB80_51 Depth=1
	v_mul_f32_e32 v0, v78, v78
	v_fmamk_f32 v1, v0, 0xbbbac73d, v66
	v_fmaak_f32 v1, v0, v1, 0xbd5c1c4e
	v_fmaak_f32 v1, v0, v1, 0x3e088382
	;; [unrolled: 1-line block ×3, first 2 shown]
	v_mul_f32_e64 v1, |v78|, v1
	v_fma_f32 v80, v0, v1, |v78|
; %bb.87:                               ;   in Loop: Header=BB80_51 Depth=1
	s_or_b64 exec, exec, s[6:7]
	v_add_u32_e32 v0, v4, v61
	v_ashrrev_i32_e32 v1, 31, v0
	v_lshl_add_u64 v[0:1], v[0:1], 1, s[34:35]
	global_load_ushort v5, v[0:1], off
	v_cmp_nlt_f32_e64 s[6:7], |v79|, s8
                                        ; implicit-def: $vgpr82
	s_and_saveexec_b64 s[26:27], s[6:7]
	s_xor_b64 s[6:7], exec, s[26:27]
	s_cbranch_execz .LBB80_89
; %bb.88:                               ;   in Loop: Header=BB80_51 Depth=1
	v_add_f32_e64 v82, |v79|, |v79|
	v_mul_f32_e32 v105, 0x3fb8aa3b, v82
	v_rndne_f32_e32 v106, v105
	v_sub_f32_e32 v107, v105, v106
	v_fma_f32 v105, v82, s9, -v105
	v_fmac_f32_e32 v105, 0x32a5705f, v82
	v_add_f32_e32 v105, v107, v105
	v_cvt_i32_f32_e32 v106, v106
	v_exp_f32_e32 v105, v105
	v_cmp_ngt_f32_e32 vcc, s15, v82
	v_ldexp_f32 v105, v105, v106
	s_nop 0
	v_cndmask_b32_e32 v105, 0, v105, vcc
	v_cmp_nlt_f32_e32 vcc, s20, v82
	s_nop 1
	v_cndmask_b32_e32 v82, v68, v105, vcc
	v_add_f32_e32 v82, 1.0, v82
	v_rcp_f32_e32 v82, v82
	s_nop 0
	v_fma_f32 v82, v82, -2.0, 1.0
.LBB80_89:                              ;   in Loop: Header=BB80_51 Depth=1
	s_andn2_saveexec_b64 s[6:7], s[6:7]
; %bb.90:                               ;   in Loop: Header=BB80_51 Depth=1
	v_mul_f32_e32 v82, v79, v79
	v_fmamk_f32 v105, v82, 0xbbbac73d, v66
	v_fmaak_f32 v105, v82, v105, 0xbd5c1c4e
	v_fmaak_f32 v105, v82, v105, 0x3e088382
	;; [unrolled: 1-line block ×3, first 2 shown]
	v_mul_f32_e64 v105, |v79|, v105
	v_fma_f32 v82, v82, v105, |v79|
; %bb.91:                               ;   in Loop: Header=BB80_51 Depth=1
	s_or_b64 exec, exec, s[6:7]
	global_load_ushort v0, v[0:1], off offset:64
	v_bfi_b32 v1, s21, v80, v78
	v_bfi_b32 v78, s21, v82, v79
	s_waitcnt vmcnt(1)
	v_fma_mix_f32 v80, s10, v1, v5 op_sel_hi:[0,0,1]
	v_add_f32_e32 v1, 0x40051340, v80
	v_cmp_nlt_f32_e64 s[6:7], |v26|, s8
	s_waitcnt vmcnt(0)
	v_fma_mix_f32 v78, s10, v78, v0 op_sel_hi:[0,0,1]
	v_add_f32_e32 v79, 0x40051340, v78
	v_max3_f32 v1, v77, v1, v79
	ds_bpermute_b32 v79, v2, v1
	s_waitcnt lgkmcnt(0)
	v_max_f32_e32 v79, v79, v79
	v_max_f32_e32 v1, v1, v79
	ds_bpermute_b32 v79, v3, v1
	s_waitcnt lgkmcnt(0)
	v_max_f32_e32 v79, v79, v79
	v_max_f32_e32 v1, v1, v79
	;; [unrolled: 4-line block ×4, first 2 shown]
	ds_bpermute_b32 v112, v97, v111
                                        ; implicit-def: $vgpr1
	s_and_saveexec_b64 s[26:27], s[6:7]
	s_xor_b64 s[6:7], exec, s[26:27]
	s_cbranch_execz .LBB80_93
; %bb.92:                               ;   in Loop: Header=BB80_51 Depth=1
	v_add_f32_e64 v1, |v26|, |v26|
	v_mul_f32_e32 v79, 0x3fb8aa3b, v1
	v_rndne_f32_e32 v82, v79
	v_sub_f32_e32 v105, v79, v82
	v_fma_f32 v79, v1, s9, -v79
	v_fmac_f32_e32 v79, 0x32a5705f, v1
	v_add_f32_e32 v79, v105, v79
	v_cvt_i32_f32_e32 v82, v82
	v_exp_f32_e32 v79, v79
	v_cmp_ngt_f32_e32 vcc, s15, v1
	v_ldexp_f32 v79, v79, v82
	s_nop 0
	v_cndmask_b32_e32 v79, 0, v79, vcc
	v_cmp_nlt_f32_e32 vcc, s20, v1
	s_nop 1
	v_cndmask_b32_e32 v1, v68, v79, vcc
	v_add_f32_e32 v1, 1.0, v1
	v_rcp_f32_e32 v1, v1
	s_nop 0
	v_fma_f32 v1, v1, -2.0, 1.0
.LBB80_93:                              ;   in Loop: Header=BB80_51 Depth=1
	s_andn2_saveexec_b64 s[6:7], s[6:7]
; %bb.94:                               ;   in Loop: Header=BB80_51 Depth=1
	v_mul_f32_e32 v1, v26, v26
	v_fmamk_f32 v79, v1, 0xbbbac73d, v66
	v_fmaak_f32 v79, v1, v79, 0xbd5c1c4e
	v_fmaak_f32 v79, v1, v79, 0x3e088382
	;; [unrolled: 1-line block ×3, first 2 shown]
	v_mul_f32_e64 v79, |v26|, v79
	v_fma_f32 v1, v1, v79, |v26|
; %bb.95:                               ;   in Loop: Header=BB80_51 Depth=1
	s_or_b64 exec, exec, s[6:7]
	v_cmp_nlt_f32_e64 s[6:7], |v27|, s8
                                        ; implicit-def: $vgpr105
	s_and_saveexec_b64 s[26:27], s[6:7]
	s_xor_b64 s[6:7], exec, s[26:27]
	s_cbranch_execz .LBB80_97
; %bb.96:                               ;   in Loop: Header=BB80_51 Depth=1
	v_add_f32_e64 v79, |v27|, |v27|
	v_mul_f32_e32 v82, 0x3fb8aa3b, v79
	v_rndne_f32_e32 v105, v82
	v_sub_f32_e32 v106, v82, v105
	v_fma_f32 v82, v79, s9, -v82
	v_fmac_f32_e32 v82, 0x32a5705f, v79
	v_add_f32_e32 v82, v106, v82
	v_cvt_i32_f32_e32 v105, v105
	v_exp_f32_e32 v82, v82
	v_cmp_ngt_f32_e32 vcc, s15, v79
	v_ldexp_f32 v82, v82, v105
	s_nop 0
	v_cndmask_b32_e32 v82, 0, v82, vcc
	v_cmp_nlt_f32_e32 vcc, s20, v79
	s_nop 1
	v_cndmask_b32_e32 v79, v68, v82, vcc
	v_add_f32_e32 v79, 1.0, v79
	v_rcp_f32_e32 v79, v79
	s_nop 0
	v_fma_f32 v105, v79, -2.0, 1.0
.LBB80_97:                              ;   in Loop: Header=BB80_51 Depth=1
	s_andn2_saveexec_b64 s[6:7], s[6:7]
; %bb.98:                               ;   in Loop: Header=BB80_51 Depth=1
	v_mul_f32_e32 v79, v27, v27
	v_fmamk_f32 v82, v79, 0xbbbac73d, v66
	v_fmaak_f32 v82, v79, v82, 0xbd5c1c4e
	v_fmaak_f32 v82, v79, v82, 0x3e088382
	;; [unrolled: 1-line block ×3, first 2 shown]
	v_mul_f32_e64 v82, |v27|, v82
	v_fma_f32 v105, v79, v82, |v27|
; %bb.99:                               ;   in Loop: Header=BB80_51 Depth=1
	s_or_b64 exec, exec, s[6:7]
	v_cvt_f32_f16_e32 v82, v5
	v_cvt_f32_f16_e32 v79, v0
	v_bfi_b32 v0, s21, v1, v26
	v_bfi_b32 v1, s21, v105, v27
	v_fmac_f32_e32 v82, s10, v0
	v_fmac_f32_e32 v79, s10, v1
	v_add_f32_e32 v0, 0x40051340, v82
	v_add_f32_e32 v1, 0x40051340, v79
	v_max3_f32 v0, v76, v0, v1
	ds_bpermute_b32 v1, v2, v0
	v_cmp_nlt_f32_e64 s[6:7], |v24|, s8
                                        ; implicit-def: $vgpr27
	s_waitcnt lgkmcnt(0)
	v_max_f32_e32 v1, v1, v1
	v_max_f32_e32 v0, v0, v1
	ds_bpermute_b32 v1, v3, v0
	s_waitcnt lgkmcnt(0)
	v_max_f32_e32 v1, v1, v1
	v_max_f32_e32 v0, v0, v1
	ds_bpermute_b32 v1, v95, v0
	;; [unrolled: 4-line block ×4, first 2 shown]
	s_and_saveexec_b64 s[26:27], s[6:7]
	s_xor_b64 s[6:7], exec, s[26:27]
	s_cbranch_execz .LBB80_101
; %bb.100:                              ;   in Loop: Header=BB80_51 Depth=1
	v_add_f32_e64 v0, |v24|, |v24|
	v_mul_f32_e32 v1, 0x3fb8aa3b, v0
	v_rndne_f32_e32 v27, v1
	v_sub_f32_e32 v105, v1, v27
	v_fma_f32 v1, v0, s9, -v1
	v_fmac_f32_e32 v1, 0x32a5705f, v0
	v_add_f32_e32 v1, v105, v1
	v_cvt_i32_f32_e32 v27, v27
	v_exp_f32_e32 v1, v1
	v_cmp_ngt_f32_e32 vcc, s15, v0
	v_ldexp_f32 v1, v1, v27
	s_nop 0
	v_cndmask_b32_e32 v1, 0, v1, vcc
	v_cmp_nlt_f32_e32 vcc, s20, v0
	s_nop 1
	v_cndmask_b32_e32 v0, v68, v1, vcc
	v_add_f32_e32 v0, 1.0, v0
	v_rcp_f32_e32 v0, v0
	s_nop 0
	v_fma_f32 v27, v0, -2.0, 1.0
.LBB80_101:                             ;   in Loop: Header=BB80_51 Depth=1
	s_andn2_saveexec_b64 s[6:7], s[6:7]
; %bb.102:                              ;   in Loop: Header=BB80_51 Depth=1
	v_mul_f32_e32 v0, v24, v24
	v_fmamk_f32 v1, v0, 0xbbbac73d, v66
	v_fmaak_f32 v1, v0, v1, 0xbd5c1c4e
	v_fmaak_f32 v1, v0, v1, 0x3e088382
	;; [unrolled: 1-line block ×3, first 2 shown]
	v_mul_f32_e64 v1, |v24|, v1
	v_fma_f32 v27, v0, v1, |v24|
; %bb.103:                              ;   in Loop: Header=BB80_51 Depth=1
	s_or_b64 exec, exec, s[6:7]
	v_add_u32_e32 v0, v4, v62
	v_ashrrev_i32_e32 v1, 31, v0
	v_lshl_add_u64 v[0:1], v[0:1], 1, s[34:35]
	global_load_ushort v4, v[0:1], off
	v_cmp_nlt_f32_e64 s[6:7], |v25|, s8
                                        ; implicit-def: $vgpr105
	s_and_saveexec_b64 s[26:27], s[6:7]
	s_xor_b64 s[6:7], exec, s[26:27]
	s_cbranch_execz .LBB80_105
; %bb.104:                              ;   in Loop: Header=BB80_51 Depth=1
	v_add_f32_e64 v105, |v25|, |v25|
	v_mul_f32_e32 v106, 0x3fb8aa3b, v105
	v_rndne_f32_e32 v107, v106
	v_sub_f32_e32 v108, v106, v107
	v_fma_f32 v106, v105, s9, -v106
	v_fmac_f32_e32 v106, 0x32a5705f, v105
	v_add_f32_e32 v106, v108, v106
	v_cvt_i32_f32_e32 v107, v107
	v_exp_f32_e32 v106, v106
	v_cmp_ngt_f32_e32 vcc, s15, v105
	v_ldexp_f32 v106, v106, v107
	s_nop 0
	v_cndmask_b32_e32 v106, 0, v106, vcc
	v_cmp_nlt_f32_e32 vcc, s20, v105
	s_nop 1
	v_cndmask_b32_e32 v105, v68, v106, vcc
	v_add_f32_e32 v105, 1.0, v105
	v_rcp_f32_e32 v105, v105
	s_nop 0
	v_fma_f32 v105, v105, -2.0, 1.0
.LBB80_105:                             ;   in Loop: Header=BB80_51 Depth=1
	s_andn2_saveexec_b64 s[6:7], s[6:7]
; %bb.106:                              ;   in Loop: Header=BB80_51 Depth=1
	v_mul_f32_e32 v105, v25, v25
	v_fmamk_f32 v106, v105, 0xbbbac73d, v66
	v_fmaak_f32 v106, v105, v106, 0xbd5c1c4e
	v_fmaak_f32 v106, v105, v106, 0x3e088382
	;; [unrolled: 1-line block ×3, first 2 shown]
	v_mul_f32_e64 v106, |v25|, v106
	v_fma_f32 v105, v105, v106, |v25|
; %bb.107:                              ;   in Loop: Header=BB80_51 Depth=1
	s_or_b64 exec, exec, s[6:7]
	global_load_ushort v1, v[0:1], off offset:64
	v_bfi_b32 v0, s21, v27, v24
	v_bfi_b32 v24, s21, v105, v25
	s_waitcnt vmcnt(1)
	v_fma_mix_f32 v108, s10, v0, v4 op_sel_hi:[0,0,1]
	v_add_f32_e32 v0, 0x40051340, v108
	v_cmp_nlt_f32_e64 s[6:7], |v6|, s8
                                        ; implicit-def: $vgpr25
	s_waitcnt vmcnt(0)
	v_fma_mix_f32 v107, s10, v24, v1 op_sel_hi:[0,0,1]
	v_add_f32_e32 v24, 0x40051340, v107
	v_max3_f32 v0, v75, v0, v24
	ds_bpermute_b32 v24, v2, v0
	s_waitcnt lgkmcnt(0)
	v_max_f32_e32 v24, v24, v24
	v_max_f32_e32 v0, v0, v24
	ds_bpermute_b32 v24, v3, v0
	s_waitcnt lgkmcnt(0)
	v_max_f32_e32 v24, v24, v24
	v_max_f32_e32 v0, v0, v24
	;; [unrolled: 4-line block ×4, first 2 shown]
	ds_bpermute_b32 v24, v97, v0
	s_and_saveexec_b64 s[26:27], s[6:7]
	s_xor_b64 s[6:7], exec, s[26:27]
	s_cbranch_execz .LBB80_109
; %bb.108:                              ;   in Loop: Header=BB80_51 Depth=1
	v_add_f32_e64 v25, |v6|, |v6|
	v_mul_f32_e32 v27, 0x3fb8aa3b, v25
	v_rndne_f32_e32 v105, v27
	v_sub_f32_e32 v106, v27, v105
	v_fma_f32 v27, v25, s9, -v27
	v_fmac_f32_e32 v27, 0x32a5705f, v25
	v_add_f32_e32 v27, v106, v27
	v_cvt_i32_f32_e32 v105, v105
	v_exp_f32_e32 v27, v27
	v_cmp_ngt_f32_e32 vcc, s15, v25
	v_ldexp_f32 v27, v27, v105
	s_nop 0
	v_cndmask_b32_e32 v27, 0, v27, vcc
	v_cmp_nlt_f32_e32 vcc, s20, v25
	s_nop 1
	v_cndmask_b32_e32 v25, v68, v27, vcc
	v_add_f32_e32 v25, 1.0, v25
	v_rcp_f32_e32 v25, v25
	s_nop 0
	v_fma_f32 v25, v25, -2.0, 1.0
.LBB80_109:                             ;   in Loop: Header=BB80_51 Depth=1
	s_andn2_saveexec_b64 s[6:7], s[6:7]
; %bb.110:                              ;   in Loop: Header=BB80_51 Depth=1
	v_mul_f32_e32 v25, v6, v6
	v_fmamk_f32 v27, v25, 0xbbbac73d, v66
	v_fmaak_f32 v27, v25, v27, 0xbd5c1c4e
	v_fmaak_f32 v27, v25, v27, 0x3e088382
	;; [unrolled: 1-line block ×3, first 2 shown]
	v_mul_f32_e64 v27, |v6|, v27
	v_fma_f32 v25, v25, v27, |v6|
; %bb.111:                              ;   in Loop: Header=BB80_51 Depth=1
	s_or_b64 exec, exec, s[6:7]
	v_cmp_nlt_f32_e64 s[6:7], |v7|, s8
                                        ; implicit-def: $vgpr27
	s_and_saveexec_b64 s[26:27], s[6:7]
	s_xor_b64 s[6:7], exec, s[26:27]
	s_cbranch_execz .LBB80_113
; %bb.112:                              ;   in Loop: Header=BB80_51 Depth=1
	v_add_f32_e64 v27, |v7|, |v7|
	v_mul_f32_e32 v105, 0x3fb8aa3b, v27
	v_rndne_f32_e32 v106, v105
	v_sub_f32_e32 v113, v105, v106
	v_fma_f32 v105, v27, s9, -v105
	v_fmac_f32_e32 v105, 0x32a5705f, v27
	v_add_f32_e32 v105, v113, v105
	v_cvt_i32_f32_e32 v106, v106
	v_exp_f32_e32 v105, v105
	v_cmp_ngt_f32_e32 vcc, s15, v27
	v_ldexp_f32 v105, v105, v106
	s_nop 0
	v_cndmask_b32_e32 v105, 0, v105, vcc
	v_cmp_nlt_f32_e32 vcc, s20, v27
	s_nop 1
	v_cndmask_b32_e32 v27, v68, v105, vcc
	v_add_f32_e32 v27, 1.0, v27
	v_rcp_f32_e32 v27, v27
	s_nop 0
	v_fma_f32 v27, v27, -2.0, 1.0
.LBB80_113:                             ;   in Loop: Header=BB80_51 Depth=1
	s_andn2_saveexec_b64 s[6:7], s[6:7]
; %bb.114:                              ;   in Loop: Header=BB80_51 Depth=1
	v_mul_f32_e32 v27, v7, v7
	v_fmamk_f32 v105, v27, 0xbbbac73d, v66
	v_fmaak_f32 v105, v27, v105, 0xbd5c1c4e
	v_fmaak_f32 v105, v27, v105, 0x3e088382
	;; [unrolled: 1-line block ×3, first 2 shown]
	v_mul_f32_e64 v105, |v7|, v105
	v_fma_f32 v27, v27, v105, |v7|
; %bb.115:                              ;   in Loop: Header=BB80_51 Depth=1
	s_or_b64 exec, exec, s[6:7]
	v_cvt_f32_f16_e32 v106, v4
	v_cvt_f32_f16_e32 v105, v1
	v_bfi_b32 v1, s21, v25, v6
	v_bfi_b32 v6, s21, v27, v7
	v_fmac_f32_e32 v106, s10, v1
	v_fmac_f32_e32 v105, s10, v6
	v_add_f32_e32 v1, 0x40051340, v106
	v_add_f32_e32 v6, 0x40051340, v105
	v_max3_f32 v1, v74, v1, v6
	ds_bpermute_b32 v2, v2, v1
	s_waitcnt lgkmcnt(1)
	v_max_f32_e32 v4, v24, v24
	v_max_f32_e32 v0, v0, v0
	;; [unrolled: 1-line block ×4, first 2 shown]
	s_waitcnt lgkmcnt(0)
	v_max_f32_e32 v2, v2, v2
	v_max_f32_e32 v1, v1, v2
	ds_bpermute_b32 v2, v3, v1
	v_max_f32_e32 v4, v5, v5
	v_max_f32_e32 v5, v4, v0
	v_max_f32_e32 v0, v112, v112
	v_max_f32_e32 v3, v111, v111
	v_max_f32_e32 v4, v3, v0
	s_waitcnt lgkmcnt(0)
	v_max_f32_e32 v0, v2, v2
	v_max_f32_e32 v0, v1, v0
	ds_bpermute_b32 v1, v95, v0
	v_max_f32_e32 v2, v110, v110
	v_max_f32_e32 v3, v109, v109
	v_max_f32_e32 v3, v3, v2
	v_max_f32_e32 v2, v104, v104
	s_waitcnt lgkmcnt(0)
	v_max_f32_e32 v1, v1, v1
	v_max_f32_e32 v0, v0, v1
	ds_bpermute_b32 v1, v96, v0
	v_max_f32_e32 v7, v103, v103
	v_max_f32_e32 v2, v7, v2
	v_max_f32_e32 v7, v101, v101
	v_max_f32_e32 v24, v85, v85
	;; [unrolled: 8-line block ×3, first 2 shown]
	s_waitcnt lgkmcnt(0)
	v_max_f32_e32 v7, v26, v26
	v_sub_f32_e32 v24, v93, v0
	v_max_f32_e32 v7, v25, v7
	v_mul_f32_e32 v25, 0x3fb8aa3b, v24
	v_fma_f32 v26, v24, s9, -v25
	v_rndne_f32_e32 v27, v25
	v_fmac_f32_e32 v26, 0x32a5705f, v24
	v_sub_f32_e32 v25, v25, v27
	v_add_f32_e32 v25, v25, v26
	v_exp_f32_e32 v25, v25
	v_cvt_i32_f32_e32 v26, v27
	v_sub_f32_e32 v27, v22, v0
	v_cmp_ngt_f32_e32 vcc, s15, v24
	v_sub_f32_e32 v75, v75, v6
	v_ldexp_f32 v22, v25, v26
	v_sub_f32_e32 v25, v92, v0
	v_mul_f32_e32 v26, 0x3fb8aa3b, v25
	v_fma_f32 v85, v25, s9, -v26
	v_rndne_f32_e32 v92, v26
	v_fmac_f32_e32 v85, 0x32a5705f, v25
	v_sub_f32_e32 v26, v26, v92
	v_add_f32_e32 v26, v26, v85
	v_cvt_i32_f32_e32 v85, v92
	v_mul_f32_e32 v92, 0x3fb8aa3b, v27
	v_fma_f32 v93, v27, s9, -v92
	v_rndne_f32_e32 v94, v92
	v_fmac_f32_e32 v93, 0x32a5705f, v27
	v_sub_f32_e32 v92, v92, v94
	v_add_f32_e32 v92, v92, v93
	v_exp_f32_e32 v26, v26
	v_exp_f32_e32 v92, v92
	v_cvt_i32_f32_e32 v93, v94
	v_cndmask_b32_e32 v22, 0, v22, vcc
	v_cmp_nlt_f32_e32 vcc, s20, v24
	v_ldexp_f32 v24, v26, v85
	v_ldexp_f32 v26, v92, v93
	v_cndmask_b32_e32 v22, v68, v22, vcc
	v_cmp_ngt_f32_e32 vcc, s15, v27
	s_mul_hi_i32 s7, s2, s11
	s_mul_i32 s6, s2, s11
	v_cndmask_b32_e32 v26, 0, v26, vcc
	v_cmp_nlt_f32_e32 vcc, s20, v27
	s_barrier
	s_nop 0
	v_cndmask_b32_e32 v26, v68, v26, vcc
	v_cvt_f16_f32_e32 v27, v26
	v_cmp_ngt_f32_e32 vcc, s15, v25
	s_nop 1
	v_cndmask_b32_e32 v24, 0, v24, vcc
	v_cmp_nlt_f32_e32 vcc, s20, v25
	v_mul_u32_u24_e32 v25, 0x10001, v27
	v_sub_f32_e32 v27, v100, v1
	v_mul_f32_e32 v85, 0x3fb8aa3b, v27
	v_fma_f32 v92, v27, s9, -v85
	v_rndne_f32_e32 v93, v85
	v_fmac_f32_e32 v92, 0x32a5705f, v27
	v_sub_f32_e32 v85, v85, v93
	v_add_f32_e32 v85, v85, v92
	v_exp_f32_e32 v94, v85
	v_cvt_i32_f32_e32 v93, v93
	v_pk_mul_f16 v92, v38, v25
	v_sub_f32_e32 v38, v99, v1
	v_pk_mul_f16 v85, v39, v25
	v_mul_f32_e32 v39, 0x3fb8aa3b, v38
	v_sub_f32_e32 v25, v23, v1
	v_ldexp_f32 v23, v94, v93
	v_fma_f32 v93, v38, s9, -v39
	v_rndne_f32_e32 v94, v39
	v_fmac_f32_e32 v93, 0x32a5705f, v38
	v_sub_f32_e32 v39, v39, v94
	v_add_f32_e32 v39, v39, v93
	v_cvt_i32_f32_e32 v93, v94
	v_mul_f32_e32 v94, 0x3fb8aa3b, v25
	v_fma_f32 v95, v25, s9, -v94
	v_rndne_f32_e32 v96, v94
	v_fmac_f32_e32 v95, 0x32a5705f, v25
	v_sub_f32_e32 v94, v94, v96
	v_add_f32_e32 v94, v94, v95
	v_exp_f32_e32 v94, v94
	v_cvt_i32_f32_e32 v95, v96
	v_cndmask_b32_e32 v24, v68, v24, vcc
	v_cmp_ngt_f32_e32 vcc, s15, v27
	v_exp_f32_e32 v39, v39
	s_nop 0
	v_cndmask_b32_e32 v23, 0, v23, vcc
	v_cmp_nlt_f32_e32 vcc, s20, v27
	v_ldexp_f32 v27, v94, v95
	v_ldexp_f32 v39, v39, v93
	v_cndmask_b32_e32 v23, v68, v23, vcc
	v_cmp_ngt_f32_e32 vcc, s15, v25
	s_nop 1
	v_cndmask_b32_e32 v27, 0, v27, vcc
	v_cmp_nlt_f32_e32 vcc, s20, v25
	s_nop 1
	v_cndmask_b32_e32 v27, v68, v27, vcc
	v_cvt_f16_f32_e32 v93, v27
	v_cmp_ngt_f32_e32 vcc, s15, v38
	s_nop 1
	v_cndmask_b32_e32 v25, 0, v39, vcc
	v_sub_f32_e32 v39, v84, v2
	v_mul_f32_e32 v84, 0x3fb8aa3b, v39
	v_cmp_nlt_f32_e32 vcc, s20, v38
	v_mul_u32_u24_e32 v38, 0x10001, v93
	v_fma_f32 v93, v39, s9, -v84
	v_rndne_f32_e32 v94, v84
	v_fmac_f32_e32 v93, 0x32a5705f, v39
	v_sub_f32_e32 v84, v84, v94
	v_add_f32_e32 v84, v84, v93
	v_exp_f32_e32 v84, v84
	v_cvt_i32_f32_e32 v93, v94
	v_pk_mul_f16 v98, v30, v38
	v_pk_mul_f16 v99, v32, v38
	v_sub_f32_e32 v38, v81, v2
	v_mul_f32_e32 v32, 0x3fb8aa3b, v38
	v_sub_f32_e32 v30, v28, v2
	v_ldexp_f32 v28, v84, v93
	v_fma_f32 v81, v38, s9, -v32
	v_rndne_f32_e32 v84, v32
	v_fmac_f32_e32 v81, 0x32a5705f, v38
	v_sub_f32_e32 v32, v32, v84
	v_add_f32_e32 v32, v32, v81
	v_cvt_i32_f32_e32 v81, v84
	v_mul_f32_e32 v84, 0x3fb8aa3b, v30
	v_fma_f32 v93, v30, s9, -v84
	v_rndne_f32_e32 v94, v84
	v_fmac_f32_e32 v93, 0x32a5705f, v30
	v_sub_f32_e32 v84, v84, v94
	v_add_f32_e32 v84, v84, v93
	v_exp_f32_e32 v32, v32
	v_exp_f32_e32 v84, v84
	v_cvt_i32_f32_e32 v93, v94
	v_cndmask_b32_e32 v25, v68, v25, vcc
	v_cmp_ngt_f32_e32 vcc, s15, v39
	s_nop 1
	v_cndmask_b32_e32 v28, 0, v28, vcc
	v_cmp_nlt_f32_e32 vcc, s20, v39
	v_ldexp_f32 v39, v32, v81
	v_ldexp_f32 v32, v84, v93
	v_cndmask_b32_e32 v28, v68, v28, vcc
	v_cmp_ngt_f32_e32 vcc, s15, v30
	s_nop 1
	v_cndmask_b32_e32 v32, 0, v32, vcc
	v_cmp_nlt_f32_e32 vcc, s20, v30
	s_nop 1
	v_cndmask_b32_e32 v32, v68, v32, vcc
	v_cvt_f16_f32_e32 v81, v32
	v_cmp_ngt_f32_e32 vcc, s15, v38
	s_nop 1
	v_cndmask_b32_e32 v30, 0, v39, vcc
	v_sub_f32_e32 v39, v102, v3
	v_cmp_nlt_f32_e32 vcc, s20, v38
	v_mul_u32_u24_e32 v38, 0x10001, v81
	v_mul_f32_e32 v81, 0x3fb8aa3b, v39
	v_fma_f32 v84, v39, s9, -v81
	v_rndne_f32_e32 v93, v81
	v_fmac_f32_e32 v84, 0x32a5705f, v39
	v_sub_f32_e32 v81, v81, v93
	v_add_f32_e32 v81, v81, v84
	v_exp_f32_e32 v81, v81
	v_cvt_i32_f32_e32 v84, v93
	v_pk_mul_f16 v93, v31, v38
	v_pk_mul_f16 v100, v33, v38
	v_sub_f32_e32 v38, v83, v3
	v_mul_f32_e32 v33, 0x3fb8aa3b, v38
	v_sub_f32_e32 v31, v29, v3
	v_ldexp_f32 v29, v81, v84
	v_fma_f32 v81, v38, s9, -v33
	v_rndne_f32_e32 v83, v33
	v_fmac_f32_e32 v81, 0x32a5705f, v38
	v_sub_f32_e32 v33, v33, v83
	v_add_f32_e32 v33, v33, v81
	v_cvt_i32_f32_e32 v81, v83
	v_mul_f32_e32 v83, 0x3fb8aa3b, v31
	v_fma_f32 v84, v31, s9, -v83
	v_rndne_f32_e32 v94, v83
	v_fmac_f32_e32 v84, 0x32a5705f, v31
	v_sub_f32_e32 v83, v83, v94
	v_add_f32_e32 v83, v83, v84
	v_exp_f32_e32 v33, v33
	v_exp_f32_e32 v83, v83
	v_cvt_i32_f32_e32 v84, v94
	v_cndmask_b32_e32 v30, v68, v30, vcc
	v_cmp_ngt_f32_e32 vcc, s15, v39
	s_nop 1
	v_cndmask_b32_e32 v29, 0, v29, vcc
	v_cmp_nlt_f32_e32 vcc, s20, v39
	v_ldexp_f32 v39, v33, v81
	v_ldexp_f32 v33, v83, v84
	v_cndmask_b32_e32 v29, v68, v29, vcc
	v_cmp_ngt_f32_e32 vcc, s15, v31
	s_nop 1
	v_cndmask_b32_e32 v33, 0, v33, vcc
	v_cmp_nlt_f32_e32 vcc, s20, v31
	s_nop 1
	v_cndmask_b32_e32 v33, v68, v33, vcc
	v_cvt_f16_f32_e32 v81, v33
	v_cmp_ngt_f32_e32 vcc, s15, v38
	s_nop 1
	v_cndmask_b32_e32 v31, 0, v39, vcc
	v_sub_f32_e32 v39, v80, v4
	v_mul_f32_e32 v80, 0x3fb8aa3b, v39
	v_cmp_nlt_f32_e32 vcc, s20, v38
	v_mul_u32_u24_e32 v38, 0x10001, v81
	v_fma_f32 v81, v39, s9, -v80
	v_rndne_f32_e32 v83, v80
	v_fmac_f32_e32 v81, 0x32a5705f, v39
	v_sub_f32_e32 v80, v80, v83
	v_add_f32_e32 v80, v80, v81
	v_exp_f32_e32 v80, v80
	v_cvt_i32_f32_e32 v81, v83
	v_pk_mul_f16 v101, v36, v38
	v_sub_f32_e32 v36, v77, v4
	v_sub_f32_e32 v77, v78, v4
	v_pk_mul_f16 v84, v34, v38
	v_mul_f32_e32 v38, 0x3fb8aa3b, v77
	v_ldexp_f32 v34, v80, v81
	v_fma_f32 v78, v77, s9, -v38
	v_rndne_f32_e32 v80, v38
	v_fmac_f32_e32 v78, 0x32a5705f, v77
	v_sub_f32_e32 v38, v38, v80
	v_add_f32_e32 v38, v38, v78
	v_cvt_i32_f32_e32 v78, v80
	v_mul_f32_e32 v80, 0x3fb8aa3b, v36
	v_fma_f32 v81, v36, s9, -v80
	v_rndne_f32_e32 v83, v80
	v_fmac_f32_e32 v81, 0x32a5705f, v36
	v_sub_f32_e32 v80, v80, v83
	v_add_f32_e32 v80, v80, v81
	v_exp_f32_e32 v38, v38
	v_exp_f32_e32 v80, v80
	v_cvt_i32_f32_e32 v81, v83
	v_cndmask_b32_e32 v31, v68, v31, vcc
	v_cmp_ngt_f32_e32 vcc, s15, v39
	s_nop 1
	v_cndmask_b32_e32 v34, 0, v34, vcc
	v_cmp_nlt_f32_e32 vcc, s20, v39
	v_ldexp_f32 v39, v38, v78
	v_ldexp_f32 v38, v80, v81
	v_cndmask_b32_e32 v34, v68, v34, vcc
	v_cmp_ngt_f32_e32 vcc, s15, v36
	s_nop 1
	v_cndmask_b32_e32 v38, 0, v38, vcc
	v_cmp_nlt_f32_e32 vcc, s20, v36
	s_nop 1
	v_cndmask_b32_e32 v38, v68, v38, vcc
	v_cvt_f16_f32_e32 v78, v38
	v_cmp_ngt_f32_e32 vcc, s15, v77
	s_nop 1
	v_cndmask_b32_e32 v36, 0, v39, vcc
	v_cmp_nlt_f32_e32 vcc, s20, v77
	v_sub_f32_e32 v77, v82, v5
	v_mul_u32_u24_e32 v39, 0x10001, v78
	v_mul_f32_e32 v78, 0x3fb8aa3b, v77
	v_fma_f32 v80, v77, s9, -v78
	v_rndne_f32_e32 v81, v78
	v_fmac_f32_e32 v80, 0x32a5705f, v77
	v_sub_f32_e32 v78, v78, v81
	v_add_f32_e32 v78, v78, v80
	v_exp_f32_e32 v78, v78
	v_cvt_i32_f32_e32 v80, v81
	v_pk_mul_f16 v103, v37, v39
	v_sub_f32_e32 v37, v76, v5
	v_sub_f32_e32 v76, v79, v5
	v_pk_mul_f16 v102, v35, v39
	v_mul_f32_e32 v39, 0x3fb8aa3b, v76
	v_ldexp_f32 v35, v78, v80
	v_fma_f32 v78, v76, s9, -v39
	v_rndne_f32_e32 v79, v39
	v_fmac_f32_e32 v78, 0x32a5705f, v76
	v_sub_f32_e32 v39, v39, v79
	v_add_f32_e32 v39, v39, v78
	v_cvt_i32_f32_e32 v78, v79
	v_mul_f32_e32 v79, 0x3fb8aa3b, v37
	v_fma_f32 v80, v37, s9, -v79
	v_rndne_f32_e32 v81, v79
	v_fmac_f32_e32 v80, 0x32a5705f, v37
	v_sub_f32_e32 v79, v79, v81
	v_add_f32_e32 v79, v79, v80
	v_exp_f32_e32 v39, v39
	v_exp_f32_e32 v79, v79
	v_cvt_i32_f32_e32 v80, v81
	v_cndmask_b32_e32 v36, v68, v36, vcc
	v_cmp_ngt_f32_e32 vcc, s15, v77
	v_sub_f32_e32 v82, v107, v6
	s_nop 0
	v_cndmask_b32_e32 v35, 0, v35, vcc
	v_cmp_nlt_f32_e32 vcc, s20, v77
	v_ldexp_f32 v77, v39, v78
	v_ldexp_f32 v39, v79, v80
	v_cndmask_b32_e32 v35, v68, v35, vcc
	v_cmp_ngt_f32_e32 vcc, s15, v37
	v_sub_f32_e32 v80, v108, v6
	s_nop 0
	v_cndmask_b32_e32 v39, 0, v39, vcc
	v_cmp_nlt_f32_e32 vcc, s20, v37
	s_nop 1
	v_cndmask_b32_e32 v39, v68, v39, vcc
	v_cvt_f16_f32_e32 v78, v39
	v_cmp_ngt_f32_e32 vcc, s15, v76
	s_nop 1
	v_cndmask_b32_e32 v37, 0, v77, vcc
	v_mul_f32_e32 v77, 0x3fb8aa3b, v80
	v_cmp_nlt_f32_e32 vcc, s20, v76
	v_mul_u32_u24_e32 v76, 0x10001, v78
	v_fma_f32 v78, v80, s9, -v77
	v_rndne_f32_e32 v79, v77
	v_fmac_f32_e32 v78, 0x32a5705f, v80
	v_sub_f32_e32 v77, v77, v79
	v_add_f32_e32 v77, v77, v78
	v_exp_f32_e32 v77, v77
	v_cvt_i32_f32_e32 v78, v79
	v_cndmask_b32_e32 v37, v68, v37, vcc
	v_pk_mul_f16 v104, v72, v76
	v_cmp_ngt_f32_e32 vcc, s15, v80
	v_ldexp_f32 v72, v77, v78
	v_pk_mul_f16 v108, v73, v76
	v_cndmask_b32_e32 v81, 0, v72, vcc
	v_mul_f32_e32 v72, 0x3fb8aa3b, v82
	v_fma_f32 v73, v82, s9, -v72
	v_rndne_f32_e32 v76, v72
	v_fmac_f32_e32 v73, 0x32a5705f, v82
	v_sub_f32_e32 v72, v72, v76
	v_add_f32_e32 v72, v72, v73
	v_exp_f32_e32 v83, v72
	v_mul_f32_e32 v72, 0x3fb8aa3b, v75
	v_cvt_i32_f32_e32 v94, v76
	v_fma_f32 v73, v75, s9, -v72
	v_rndne_f32_e32 v76, v72
	v_fmac_f32_e32 v73, 0x32a5705f, v75
	v_sub_f32_e32 v72, v72, v76
	v_add_f32_e32 v72, v72, v73
	v_exp_f32_e32 v95, v72
	v_lshl_add_u64 v[72:73], s[6:7], 2, v[18:19]
	v_cvt_i32_f32_e32 v96, v76
	global_load_dwordx4 v[76:79], v[72:73], off
	v_cmp_nlt_f32_e32 vcc, s20, v80
	v_ldexp_f32 v73, v83, v94
	v_ldexp_f32 v80, v95, v96
	v_cndmask_b32_e32 v72, v68, v81, vcc
	v_cmp_ngt_f32_e32 vcc, s15, v75
	s_or_b32 s6, s2, 16
	s_mul_hi_i32 s7, s6, s11
	v_cndmask_b32_e32 v80, 0, v80, vcc
	v_cmp_nlt_f32_e32 vcc, s20, v75
	s_mul_i32 s6, s6, s11
	s_nop 0
	v_cndmask_b32_e32 v80, v68, v80, vcc
	v_cvt_f16_f32_e32 v75, v80
	v_cmp_ngt_f32_e32 vcc, s15, v82
	s_nop 1
	v_cndmask_b32_e32 v73, 0, v73, vcc
	v_cmp_nlt_f32_e32 vcc, s20, v82
	s_nop 1
	v_cndmask_b32_e32 v82, v68, v73, vcc
	v_mul_u32_u24_e32 v73, 0x10001, v75
	v_sub_f32_e32 v75, v106, v7
	v_mul_f32_e32 v81, 0x3fb8aa3b, v75
	v_fma_f32 v83, v75, s9, -v81
	v_rndne_f32_e32 v94, v81
	v_fmac_f32_e32 v83, 0x32a5705f, v75
	v_sub_f32_e32 v81, v81, v94
	v_add_f32_e32 v81, v81, v83
	v_exp_f32_e32 v81, v81
	v_cvt_i32_f32_e32 v83, v94
	v_pk_mul_f16 v106, v70, v73
	v_sub_f32_e32 v70, v74, v7
	v_sub_f32_e32 v74, v105, v7
	v_pk_mul_f16 v107, v71, v73
	v_mul_f32_e32 v73, 0x3fb8aa3b, v74
	v_ldexp_f32 v71, v81, v83
	v_fma_f32 v81, v74, s9, -v73
	v_rndne_f32_e32 v83, v73
	v_fmac_f32_e32 v81, 0x32a5705f, v74
	v_sub_f32_e32 v73, v73, v83
	v_add_f32_e32 v73, v73, v81
	v_exp_f32_e32 v81, v73
	v_cvt_i32_f32_e32 v83, v83
	v_cmp_ngt_f32_e32 vcc, s15, v75
	v_pk_add_f32 v[94:95], v[34:35], v[36:37]
	s_nop 0
	v_cndmask_b32_e32 v71, 0, v71, vcc
	v_cmp_nlt_f32_e32 vcc, s20, v75
	v_mul_f32_e32 v75, 0x3fb8aa3b, v70
	v_pk_fma_f32 v[10:11], v[10:11], v[38:39], v[94:95]
	v_cndmask_b32_e32 v73, v68, v71, vcc
	v_ldexp_f32 v71, v81, v83
	v_fma_f32 v81, v70, s9, -v75
	v_rndne_f32_e32 v83, v75
	v_fmac_f32_e32 v81, 0x32a5705f, v70
	v_sub_f32_e32 v75, v75, v83
	v_add_f32_e32 v75, v75, v81
	v_exp_f32_e32 v75, v75
	v_cvt_i32_f32_e32 v81, v83
	v_cmp_ngt_f32_e32 vcc, s15, v74
	s_nop 1
	v_cndmask_b32_e32 v71, 0, v71, vcc
	v_cmp_nlt_f32_e32 vcc, s20, v74
	s_nop 1
	v_cndmask_b32_e32 v83, v68, v71, vcc
	v_ldexp_f32 v71, v75, v81
	v_cmp_ngt_f32_e32 vcc, s15, v70
	v_pk_add_f32 v[96:97], v[72:73], v[82:83]
	v_pk_add_f32 v[74:75], v[28:29], v[30:31]
	v_cndmask_b32_e32 v71, 0, v71, vcc
	v_cmp_nlt_f32_e32 vcc, s20, v70
	v_cvt_pk_f16_f32 v73, v72, v73
	v_cvt_pk_f16_f32 v72, v34, v35
	v_cndmask_b32_e32 v81, v68, v71, vcc
	v_pk_fma_f32 v[8:9], v[8:9], v[80:81], v[96:97]
	v_cvt_f16_f32_e32 v80, v81
	v_pk_add_f32 v[70:71], v[22:23], v[24:25]
	v_pk_fma_f32 v[12:13], v[12:13], v[32:33], v[74:75]
	v_pk_fma_f32 v[14:15], v[14:15], v[26:27], v[70:71]
	v_mul_u32_u24_e32 v26, 0x10001, v80
	v_pk_mul_f16 v38, v69, v26
	v_pk_mul_f16 v21, v21, v26
	v_cvt_pk_f16_f32 v71, v28, v29
	v_cvt_pk_f16_f32 v70, v22, v23
	;; [unrolled: 1-line block ×6, first 2 shown]
	ds_write_b128 v67, v[70:73]
	ds_write_b128 v67, v[26:29] offset:512
	s_waitcnt vmcnt(0)
	ds_write_b128 v64, v[76:79]
	s_waitcnt lgkmcnt(0)
	s_barrier
	ds_read_b128 v[22:25], v63
	ds_read2_b64 v[26:29], v65 offset1:32
	ds_read_b128 v[30:33], v63 offset:16
	ds_read_b128 v[34:37], v63 offset:32
	;; [unrolled: 1-line block ×3, first 2 shown]
	s_waitcnt lgkmcnt(4)
	v_mul_u32_u24_sdwa v39, v22, s24 dst_sel:DWORD dst_unused:UNUSED_PAD src0_sel:WORD_0 src1_sel:DWORD
	v_mul_u32_u24_sdwa v22, v22, s24 dst_sel:DWORD dst_unused:UNUSED_PAD src0_sel:WORD_1 src1_sel:DWORD
	v_mul_u32_u24_sdwa v69, v23, s24 dst_sel:DWORD dst_unused:UNUSED_PAD src0_sel:WORD_0 src1_sel:DWORD
	v_mul_u32_u24_sdwa v23, v23, s24 dst_sel:DWORD dst_unused:UNUSED_PAD src0_sel:WORD_1 src1_sel:DWORD
	;; [unrolled: 2-line block ×4, first 2 shown]
	s_waitcnt lgkmcnt(3)
	v_pk_fma_f16 v76, v26, v39, v92
	v_pk_fma_f16 v77, v26, v22, v98
	;; [unrolled: 1-line block ×16, first 2 shown]
	s_waitcnt lgkmcnt(2)
	v_mul_u32_u24_sdwa v25, v30, s24 dst_sel:DWORD dst_unused:UNUSED_PAD src0_sel:WORD_0 src1_sel:DWORD
	v_mul_u32_u24_sdwa v27, v30, s24 dst_sel:DWORD dst_unused:UNUSED_PAD src0_sel:WORD_1 src1_sel:DWORD
	v_mul_u32_u24_sdwa v30, v31, s24 dst_sel:DWORD dst_unused:UNUSED_PAD src0_sel:WORD_0 src1_sel:DWORD
	v_mul_u32_u24_sdwa v31, v31, s24 dst_sel:DWORD dst_unused:UNUSED_PAD src0_sel:WORD_1 src1_sel:DWORD
	v_mul_u32_u24_sdwa v75, v32, s24 dst_sel:DWORD dst_unused:UNUSED_PAD src0_sel:WORD_0 src1_sel:DWORD
	v_mul_u32_u24_sdwa v32, v32, s24 dst_sel:DWORD dst_unused:UNUSED_PAD src0_sel:WORD_1 src1_sel:DWORD
	v_mul_u32_u24_sdwa v83, v33, s24 dst_sel:DWORD dst_unused:UNUSED_PAD src0_sel:WORD_0 src1_sel:DWORD
	v_mul_u32_u24_sdwa v33, v33, s24 dst_sel:DWORD dst_unused:UNUSED_PAD src0_sel:WORD_1 src1_sel:DWORD
	v_pk_fma_f16 v76, v28, v25, v76
	v_pk_fma_f16 v77, v28, v27, v77
	;; [unrolled: 1-line block ×12, first 2 shown]
	ds_read2_b64 v[22:25], v65 offset0:64 offset1:96
	v_pk_fma_f16 v30, v29, v30, v39
	v_pk_fma_f16 v38, v29, v75, v69
	;; [unrolled: 1-line block ×4, first 2 shown]
	s_waitcnt lgkmcnt(2)
	v_mul_u32_u24_sdwa v29, v34, s24 dst_sel:DWORD dst_unused:UNUSED_PAD src0_sel:WORD_0 src1_sel:DWORD
	v_mul_u32_u24_sdwa v33, v34, s24 dst_sel:DWORD dst_unused:UNUSED_PAD src0_sel:WORD_1 src1_sel:DWORD
	v_mul_u32_u24_sdwa v34, v35, s24 dst_sel:DWORD dst_unused:UNUSED_PAD src0_sel:WORD_0 src1_sel:DWORD
	v_mul_u32_u24_sdwa v35, v35, s24 dst_sel:DWORD dst_unused:UNUSED_PAD src0_sel:WORD_1 src1_sel:DWORD
	;; [unrolled: 2-line block ×4, first 2 shown]
	s_waitcnt lgkmcnt(0)
	v_pk_fma_f16 v75, v22, v29, v76
	v_pk_fma_f16 v76, v22, v33, v77
	;; [unrolled: 1-line block ×16, first 2 shown]
	v_mul_u32_u24_sdwa v23, v70, s24 dst_sel:DWORD dst_unused:UNUSED_PAD src0_sel:WORD_0 src1_sel:DWORD
	v_mul_u32_u24_sdwa v33, v70, s24 dst_sel:DWORD dst_unused:UNUSED_PAD src0_sel:WORD_1 src1_sel:DWORD
	v_mul_u32_u24_sdwa v34, v71, s24 dst_sel:DWORD dst_unused:UNUSED_PAD src0_sel:WORD_0 src1_sel:DWORD
	v_mul_u32_u24_sdwa v35, v71, s24 dst_sel:DWORD dst_unused:UNUSED_PAD src0_sel:WORD_1 src1_sel:DWORD
	;; [unrolled: 2-line block ×4, first 2 shown]
	v_pk_fma_f16 v71, v24, v34, v77
	v_pk_fma_f16 v72, v24, v35, v78
	;; [unrolled: 1-line block ×6, first 2 shown]
	ds_read_b128 v[26:29], v63 offset:64
	v_pk_fma_f16 v69, v24, v23, v75
	v_pk_fma_f16 v70, v24, v33, v76
	;; [unrolled: 1-line block ×10, first 2 shown]
	ds_read2_b64 v[22:25], v65 offset0:128 offset1:160
	ds_read_b128 v[30:33], v63 offset:80
	s_waitcnt lgkmcnt(2)
	v_mul_u32_u24_sdwa v39, v26, s24 dst_sel:DWORD dst_unused:UNUSED_PAD src0_sel:WORD_0 src1_sel:DWORD
	v_mul_u32_u24_sdwa v26, v26, s24 dst_sel:DWORD dst_unused:UNUSED_PAD src0_sel:WORD_1 src1_sel:DWORD
	v_mul_u32_u24_sdwa v79, v27, s24 dst_sel:DWORD dst_unused:UNUSED_PAD src0_sel:WORD_0 src1_sel:DWORD
	v_mul_u32_u24_sdwa v27, v27, s24 dst_sel:DWORD dst_unused:UNUSED_PAD src0_sel:WORD_1 src1_sel:DWORD
	;; [unrolled: 2-line block ×4, first 2 shown]
	s_waitcnt lgkmcnt(1)
	v_pk_fma_f16 v69, v22, v39, v69
	v_pk_fma_f16 v70, v22, v26, v70
	;; [unrolled: 1-line block ×16, first 2 shown]
	s_waitcnt lgkmcnt(0)
	v_mul_u32_u24_sdwa v23, v30, s24 dst_sel:DWORD dst_unused:UNUSED_PAD src0_sel:WORD_0 src1_sel:DWORD
	v_mul_u32_u24_sdwa v29, v30, s24 dst_sel:DWORD dst_unused:UNUSED_PAD src0_sel:WORD_1 src1_sel:DWORD
	v_mul_u32_u24_sdwa v30, v31, s24 dst_sel:DWORD dst_unused:UNUSED_PAD src0_sel:WORD_0 src1_sel:DWORD
	v_mul_u32_u24_sdwa v31, v31, s24 dst_sel:DWORD dst_unused:UNUSED_PAD src0_sel:WORD_1 src1_sel:DWORD
	;; [unrolled: 2-line block ×4, first 2 shown]
	v_pk_fma_f16 v70, v24, v29, v70
	v_pk_fma_f16 v73, v24, v37, v73
	v_pk_fma_f16 v77, v25, v29, v26
	v_pk_fma_f16 v78, v25, v31, v27
	v_pk_fma_f16 v35, v25, v37, v35
	v_pk_fma_f16 v37, v25, v32, v28
	ds_read_b128 v[26:29], v63 offset:96
	v_pk_fma_f16 v69, v24, v23, v69
	v_pk_fma_f16 v71, v24, v30, v71
	;; [unrolled: 1-line block ×10, first 2 shown]
	ds_read2_b64 v[22:25], v65 offset0:192 offset1:224
	ds_read_b128 v[30:33], v63 offset:112
	s_waitcnt lgkmcnt(2)
	v_mul_u32_u24_sdwa v38, v26, s24 dst_sel:DWORD dst_unused:UNUSED_PAD src0_sel:WORD_0 src1_sel:DWORD
	v_mul_u32_u24_sdwa v26, v26, s24 dst_sel:DWORD dst_unused:UNUSED_PAD src0_sel:WORD_1 src1_sel:DWORD
	v_mul_u32_u24_sdwa v79, v27, s24 dst_sel:DWORD dst_unused:UNUSED_PAD src0_sel:WORD_0 src1_sel:DWORD
	v_mul_u32_u24_sdwa v27, v27, s24 dst_sel:DWORD dst_unused:UNUSED_PAD src0_sel:WORD_1 src1_sel:DWORD
	;; [unrolled: 2-line block ×4, first 2 shown]
	s_waitcnt lgkmcnt(1)
	v_pk_fma_f16 v69, v22, v38, v69
	v_pk_fma_f16 v70, v22, v26, v70
	;; [unrolled: 1-line block ×16, first 2 shown]
	s_waitcnt lgkmcnt(0)
	v_mul_u32_u24_sdwa v23, v30, s24 dst_sel:DWORD dst_unused:UNUSED_PAD src0_sel:WORD_0 src1_sel:DWORD
	v_mul_u32_u24_sdwa v29, v30, s24 dst_sel:DWORD dst_unused:UNUSED_PAD src0_sel:WORD_1 src1_sel:DWORD
	v_mul_u32_u24_sdwa v30, v31, s24 dst_sel:DWORD dst_unused:UNUSED_PAD src0_sel:WORD_0 src1_sel:DWORD
	v_mul_u32_u24_sdwa v31, v31, s24 dst_sel:DWORD dst_unused:UNUSED_PAD src0_sel:WORD_1 src1_sel:DWORD
	;; [unrolled: 2-line block ×4, first 2 shown]
	v_pk_fma_f16 v70, v24, v29, v70
	v_pk_fma_f16 v73, v24, v37, v73
	;; [unrolled: 1-line block ×8, first 2 shown]
	ds_read_b128 v[26:29], v63 offset:128
	v_pk_fma_f16 v39, v25, v33, v21
	v_add_u32_e32 v21, 0x800, v65
	v_pk_fma_f16 v69, v24, v23, v69
	v_pk_fma_f16 v71, v24, v30, v71
	;; [unrolled: 1-line block ×7, first 2 shown]
	ds_read2_b64 v[22:25], v21 offset1:32
	ds_read_b128 v[30:33], v63 offset:144
	s_waitcnt lgkmcnt(2)
	v_mul_u32_u24_sdwa v79, v26, s24 dst_sel:DWORD dst_unused:UNUSED_PAD src0_sel:WORD_0 src1_sel:DWORD
	v_mul_u32_u24_sdwa v26, v26, s24 dst_sel:DWORD dst_unused:UNUSED_PAD src0_sel:WORD_1 src1_sel:DWORD
	v_mul_u32_u24_sdwa v80, v27, s24 dst_sel:DWORD dst_unused:UNUSED_PAD src0_sel:WORD_0 src1_sel:DWORD
	v_mul_u32_u24_sdwa v27, v27, s24 dst_sel:DWORD dst_unused:UNUSED_PAD src0_sel:WORD_1 src1_sel:DWORD
	;; [unrolled: 2-line block ×4, first 2 shown]
	s_waitcnt lgkmcnt(1)
	v_pk_fma_f16 v69, v22, v79, v69
	v_pk_fma_f16 v70, v22, v26, v70
	;; [unrolled: 1-line block ×16, first 2 shown]
	s_waitcnt lgkmcnt(0)
	v_mul_u32_u24_sdwa v29, v30, s24 dst_sel:DWORD dst_unused:UNUSED_PAD src0_sel:WORD_0 src1_sel:DWORD
	v_mul_u32_u24_sdwa v30, v30, s24 dst_sel:DWORD dst_unused:UNUSED_PAD src0_sel:WORD_1 src1_sel:DWORD
	v_mul_u32_u24_sdwa v37, v31, s24 dst_sel:DWORD dst_unused:UNUSED_PAD src0_sel:WORD_0 src1_sel:DWORD
	v_mul_u32_u24_sdwa v31, v31, s24 dst_sel:DWORD dst_unused:UNUSED_PAD src0_sel:WORD_1 src1_sel:DWORD
	;; [unrolled: 2-line block ×4, first 2 shown]
	v_pk_fma_f16 v69, v24, v29, v69
	v_pk_fma_f16 v71, v24, v37, v71
	;; [unrolled: 1-line block ×9, first 2 shown]
	ds_read_b128 v[26:29], v63 offset:160
	v_pk_fma_f16 v70, v24, v30, v70
	v_pk_fma_f16 v72, v24, v31, v72
	v_pk_fma_f16 v74, v24, v32, v74
	v_pk_fma_f16 v75, v24, v76, v75
	v_pk_fma_f16 v77, v24, v33, v22
	v_pk_fma_f16 v36, v25, v76, v36
	v_pk_fma_f16 v76, v25, v33, v23
	ds_read2_b64 v[22:25], v21 offset0:64 offset1:96
	ds_read_b128 v[30:33], v63 offset:176
	s_waitcnt lgkmcnt(2)
	v_mul_u32_u24_sdwa v79, v26, s24 dst_sel:DWORD dst_unused:UNUSED_PAD src0_sel:WORD_0 src1_sel:DWORD
	v_mul_u32_u24_sdwa v26, v26, s24 dst_sel:DWORD dst_unused:UNUSED_PAD src0_sel:WORD_1 src1_sel:DWORD
	v_mul_u32_u24_sdwa v80, v27, s24 dst_sel:DWORD dst_unused:UNUSED_PAD src0_sel:WORD_0 src1_sel:DWORD
	v_mul_u32_u24_sdwa v27, v27, s24 dst_sel:DWORD dst_unused:UNUSED_PAD src0_sel:WORD_1 src1_sel:DWORD
	;; [unrolled: 2-line block ×4, first 2 shown]
	s_waitcnt lgkmcnt(1)
	v_pk_fma_f16 v69, v22, v79, v69
	v_pk_fma_f16 v70, v22, v26, v70
	;; [unrolled: 1-line block ×16, first 2 shown]
	s_waitcnt lgkmcnt(0)
	v_mul_u32_u24_sdwa v29, v30, s24 dst_sel:DWORD dst_unused:UNUSED_PAD src0_sel:WORD_0 src1_sel:DWORD
	v_mul_u32_u24_sdwa v30, v30, s24 dst_sel:DWORD dst_unused:UNUSED_PAD src0_sel:WORD_1 src1_sel:DWORD
	v_mul_u32_u24_sdwa v37, v31, s24 dst_sel:DWORD dst_unused:UNUSED_PAD src0_sel:WORD_0 src1_sel:DWORD
	v_mul_u32_u24_sdwa v31, v31, s24 dst_sel:DWORD dst_unused:UNUSED_PAD src0_sel:WORD_1 src1_sel:DWORD
	;; [unrolled: 2-line block ×3, first 2 shown]
	v_pk_fma_f16 v69, v24, v29, v69
	v_pk_fma_f16 v38, v25, v29, v38
	;; [unrolled: 1-line block ×5, first 2 shown]
	ds_read_b128 v[26:29], v63 offset:192
	v_mul_u32_u24_sdwa v76, v33, s24 dst_sel:DWORD dst_unused:UNUSED_PAD src0_sel:WORD_0 src1_sel:DWORD
	v_mul_u32_u24_sdwa v33, v33, s24 dst_sel:DWORD dst_unused:UNUSED_PAD src0_sel:WORD_1 src1_sel:DWORD
	v_pk_fma_f16 v70, v24, v30, v70
	v_pk_fma_f16 v71, v24, v37, v71
	;; [unrolled: 1-line block ×11, first 2 shown]
	ds_read2_b64 v[22:25], v21 offset0:128 offset1:160
	ds_read_b128 v[30:33], v63 offset:208
	s_waitcnt lgkmcnt(2)
	v_mul_u32_u24_sdwa v34, v26, s24 dst_sel:DWORD dst_unused:UNUSED_PAD src0_sel:WORD_0 src1_sel:DWORD
	v_mul_u32_u24_sdwa v85, v26, s24 dst_sel:DWORD dst_unused:UNUSED_PAD src0_sel:WORD_1 src1_sel:DWORD
	v_mul_u32_u24_sdwa v92, v27, s24 dst_sel:DWORD dst_unused:UNUSED_PAD src0_sel:WORD_0 src1_sel:DWORD
	v_mul_u32_u24_sdwa v93, v27, s24 dst_sel:DWORD dst_unused:UNUSED_PAD src0_sel:WORD_1 src1_sel:DWORD
	;; [unrolled: 2-line block ×4, first 2 shown]
	s_waitcnt lgkmcnt(1)
	v_pk_fma_f16 v104, v23, v34, v38
	v_lshl_add_u64 v[38:39], s[6:7], 2, v[18:19]
	v_pk_fma_f16 v69, v22, v34, v69
	v_pk_fma_f16 v98, v22, v85, v70
	;; [unrolled: 1-line block ×8, first 2 shown]
	ds_read2_b64 v[26:29], v21 offset0:192 offset1:224
	ds_read_b128 v[34:37], v63 offset:224
	ds_read_b128 v[70:73], v63 offset:240
	s_waitcnt lgkmcnt(0)
	s_barrier
	global_load_dwordx4 v[74:77], v[38:39], off
	v_pk_fma_f16 v38, v23, v85, v78
	v_pk_fma_f16 v39, v23, v92, v79
	v_pk_fma_f16 v78, v23, v93, v80
	v_pk_fma_f16 v79, v23, v94, v81
	v_pk_fma_f16 v80, v23, v95, v82
	v_pk_fma_f16 v81, v23, v96, v83
	v_pk_fma_f16 v23, v23, v97, v84
	v_mul_u32_u24_sdwa v82, v30, s24 dst_sel:DWORD dst_unused:UNUSED_PAD src0_sel:WORD_0 src1_sel:DWORD
	v_mul_u32_u24_sdwa v30, v30, s24 dst_sel:DWORD dst_unused:UNUSED_PAD src0_sel:WORD_1 src1_sel:DWORD
	v_mul_u32_u24_sdwa v83, v31, s24 dst_sel:DWORD dst_unused:UNUSED_PAD src0_sel:WORD_0 src1_sel:DWORD
	v_mul_u32_u24_sdwa v31, v31, s24 dst_sel:DWORD dst_unused:UNUSED_PAD src0_sel:WORD_1 src1_sel:DWORD
	v_mul_u32_u24_sdwa v84, v32, s24 dst_sel:DWORD dst_unused:UNUSED_PAD src0_sel:WORD_0 src1_sel:DWORD
	v_mul_u32_u24_sdwa v32, v32, s24 dst_sel:DWORD dst_unused:UNUSED_PAD src0_sel:WORD_1 src1_sel:DWORD
	v_mul_u32_u24_sdwa v85, v33, s24 dst_sel:DWORD dst_unused:UNUSED_PAD src0_sel:WORD_0 src1_sel:DWORD
	v_mul_u32_u24_sdwa v33, v33, s24 dst_sel:DWORD dst_unused:UNUSED_PAD src0_sel:WORD_1 src1_sel:DWORD
	v_pk_fma_f16 v69, v24, v82, v69
	v_pk_fma_f16 v92, v24, v30, v98
	v_pk_fma_f16 v93, v24, v83, v99
	v_pk_fma_f16 v94, v24, v31, v100
	v_pk_fma_f16 v95, v24, v84, v101
	v_pk_fma_f16 v96, v24, v32, v102
	v_pk_fma_f16 v97, v24, v85, v103
	v_pk_fma_f16 v22, v24, v33, v22
	v_pk_fma_f16 v24, v25, v82, v104
	v_pk_fma_f16 v30, v25, v30, v38
	v_pk_fma_f16 v38, v25, v83, v39
	v_pk_fma_f16 v31, v25, v31, v78
	v_pk_fma_f16 v39, v25, v84, v79
	v_pk_fma_f16 v32, v25, v32, v80
	v_pk_fma_f16 v78, v25, v85, v81
	v_pk_fma_f16 v23, v25, v33, v23
	v_mul_u32_u24_sdwa v25, v34, s24 dst_sel:DWORD dst_unused:UNUSED_PAD src0_sel:WORD_0 src1_sel:DWORD
	v_mul_u32_u24_sdwa v33, v34, s24 dst_sel:DWORD dst_unused:UNUSED_PAD src0_sel:WORD_1 src1_sel:DWORD
	v_mul_u32_u24_sdwa v34, v35, s24 dst_sel:DWORD dst_unused:UNUSED_PAD src0_sel:WORD_0 src1_sel:DWORD
	v_mul_u32_u24_sdwa v35, v35, s24 dst_sel:DWORD dst_unused:UNUSED_PAD src0_sel:WORD_1 src1_sel:DWORD
	v_mul_u32_u24_sdwa v79, v36, s24 dst_sel:DWORD dst_unused:UNUSED_PAD src0_sel:WORD_0 src1_sel:DWORD
	v_mul_u32_u24_sdwa v36, v36, s24 dst_sel:DWORD dst_unused:UNUSED_PAD src0_sel:WORD_1 src1_sel:DWORD
	v_mul_u32_u24_sdwa v80, v37, s24 dst_sel:DWORD dst_unused:UNUSED_PAD src0_sel:WORD_0 src1_sel:DWORD
	v_mul_u32_u24_sdwa v37, v37, s24 dst_sel:DWORD dst_unused:UNUSED_PAD src0_sel:WORD_1 src1_sel:DWORD
	v_pk_fma_f16 v69, v26, v25, v69
	v_pk_fma_f16 v81, v26, v33, v92
	v_pk_fma_f16 v82, v26, v34, v93
	v_pk_fma_f16 v83, v26, v35, v94
	v_pk_fma_f16 v84, v26, v79, v95
	v_pk_fma_f16 v85, v26, v36, v96
	v_pk_fma_f16 v92, v26, v80, v97
	v_pk_fma_f16 v22, v26, v37, v22
	v_pk_fma_f16 v24, v27, v25, v24
	;; [unrolled: 24-line block ×3, first 2 shown]
	v_pk_fma_f16 v92, v29, v34, v25
	v_pk_fma_f16 v93, v29, v35, v26
	;; [unrolled: 1-line block ×7, first 2 shown]
	s_waitcnt vmcnt(0)
	ds_write_b128 v64, v[74:77]
	s_waitcnt lgkmcnt(0)
	s_barrier
	ds_read_b128 v[22:25], v63 offset:256
	ds_read2_b64 v[26:29], v65 offset1:32
	ds_read_b128 v[30:33], v63 offset:272
	ds_read_b128 v[34:37], v63 offset:288
	;; [unrolled: 1-line block ×3, first 2 shown]
	s_waitcnt lgkmcnt(4)
	v_mul_u32_u24_sdwa v74, v22, s24 dst_sel:DWORD dst_unused:UNUSED_PAD src0_sel:WORD_0 src1_sel:DWORD
	v_mul_u32_u24_sdwa v22, v22, s24 dst_sel:DWORD dst_unused:UNUSED_PAD src0_sel:WORD_1 src1_sel:DWORD
	v_mul_u32_u24_sdwa v75, v23, s24 dst_sel:DWORD dst_unused:UNUSED_PAD src0_sel:WORD_0 src1_sel:DWORD
	v_mul_u32_u24_sdwa v23, v23, s24 dst_sel:DWORD dst_unused:UNUSED_PAD src0_sel:WORD_1 src1_sel:DWORD
	;; [unrolled: 2-line block ×4, first 2 shown]
	s_waitcnt lgkmcnt(3)
	v_pk_fma_f16 v69, v26, v74, v69
	v_pk_fma_f16 v78, v26, v22, v78
	;; [unrolled: 1-line block ×16, first 2 shown]
	s_waitcnt lgkmcnt(2)
	v_mul_u32_u24_sdwa v27, v30, s24 dst_sel:DWORD dst_unused:UNUSED_PAD src0_sel:WORD_0 src1_sel:DWORD
	v_mul_u32_u24_sdwa v30, v30, s24 dst_sel:DWORD dst_unused:UNUSED_PAD src0_sel:WORD_1 src1_sel:DWORD
	v_mul_u32_u24_sdwa v39, v31, s24 dst_sel:DWORD dst_unused:UNUSED_PAD src0_sel:WORD_0 src1_sel:DWORD
	v_mul_u32_u24_sdwa v31, v31, s24 dst_sel:DWORD dst_unused:UNUSED_PAD src0_sel:WORD_1 src1_sel:DWORD
	;; [unrolled: 2-line block ×4, first 2 shown]
	v_pk_fma_f16 v69, v28, v27, v69
	v_pk_fma_f16 v78, v28, v30, v78
	v_pk_fma_f16 v79, v28, v39, v79
	v_pk_fma_f16 v80, v28, v31, v80
	v_pk_fma_f16 v81, v28, v77, v81
	v_pk_fma_f16 v82, v28, v32, v82
	v_pk_fma_f16 v83, v28, v84, v83
	v_pk_fma_f16 v26, v28, v33, v26
	v_pk_fma_f16 v27, v29, v27, v74
	v_pk_fma_f16 v28, v29, v30, v22
	v_pk_fma_f16 v30, v29, v39, v75
	v_pk_fma_f16 v31, v29, v31, v23
	v_pk_fma_f16 v39, v29, v77, v76
	v_pk_fma_f16 v32, v29, v32, v24
	v_pk_fma_f16 v38, v29, v84, v38
	v_pk_fma_f16 v29, v29, v33, v25
	ds_read2_b64 v[22:25], v65 offset0:64 offset1:96
	s_waitcnt lgkmcnt(2)
	v_mul_u32_u24_sdwa v33, v34, s24 dst_sel:DWORD dst_unused:UNUSED_PAD src0_sel:WORD_0 src1_sel:DWORD
	v_mul_u32_u24_sdwa v34, v34, s24 dst_sel:DWORD dst_unused:UNUSED_PAD src0_sel:WORD_1 src1_sel:DWORD
	v_mul_u32_u24_sdwa v74, v35, s24 dst_sel:DWORD dst_unused:UNUSED_PAD src0_sel:WORD_0 src1_sel:DWORD
	v_mul_u32_u24_sdwa v35, v35, s24 dst_sel:DWORD dst_unused:UNUSED_PAD src0_sel:WORD_1 src1_sel:DWORD
	;; [unrolled: 2-line block ×4, first 2 shown]
	s_waitcnt lgkmcnt(0)
	v_pk_fma_f16 v69, v22, v33, v69
	v_pk_fma_f16 v77, v22, v34, v78
	;; [unrolled: 1-line block ×16, first 2 shown]
	v_mul_u32_u24_sdwa v29, v70, s24 dst_sel:DWORD dst_unused:UNUSED_PAD src0_sel:WORD_0 src1_sel:DWORD
	v_mul_u32_u24_sdwa v34, v70, s24 dst_sel:DWORD dst_unused:UNUSED_PAD src0_sel:WORD_1 src1_sel:DWORD
	v_mul_u32_u24_sdwa v35, v71, s24 dst_sel:DWORD dst_unused:UNUSED_PAD src0_sel:WORD_0 src1_sel:DWORD
	v_mul_u32_u24_sdwa v36, v71, s24 dst_sel:DWORD dst_unused:UNUSED_PAD src0_sel:WORD_1 src1_sel:DWORD
	;; [unrolled: 2-line block ×4, first 2 shown]
	v_pk_fma_f16 v69, v24, v29, v69
	v_pk_fma_f16 v71, v24, v34, v77
	;; [unrolled: 1-line block ×6, first 2 shown]
	ds_read_b128 v[26:29], v63 offset:320
	v_pk_fma_f16 v73, v24, v36, v79
	v_pk_fma_f16 v74, v24, v37, v80
	v_pk_fma_f16 v75, v24, v38, v81
	v_pk_fma_f16 v76, v24, v39, v82
	v_pk_fma_f16 v77, v24, v70, v22
	v_pk_fma_f16 v36, v25, v36, v30
	v_pk_fma_f16 v37, v25, v37, v31
	v_pk_fma_f16 v38, v25, v38, v32
	v_pk_fma_f16 v39, v25, v39, v33
	v_pk_fma_f16 v70, v25, v70, v23
	ds_read2_b64 v[22:25], v65 offset0:128 offset1:160
	ds_read_b128 v[30:33], v63 offset:336
	s_waitcnt lgkmcnt(2)
	v_mul_u32_u24_sdwa v79, v26, s24 dst_sel:DWORD dst_unused:UNUSED_PAD src0_sel:WORD_0 src1_sel:DWORD
	v_mul_u32_u24_sdwa v26, v26, s24 dst_sel:DWORD dst_unused:UNUSED_PAD src0_sel:WORD_1 src1_sel:DWORD
	v_mul_u32_u24_sdwa v80, v27, s24 dst_sel:DWORD dst_unused:UNUSED_PAD src0_sel:WORD_0 src1_sel:DWORD
	v_mul_u32_u24_sdwa v27, v27, s24 dst_sel:DWORD dst_unused:UNUSED_PAD src0_sel:WORD_1 src1_sel:DWORD
	;; [unrolled: 2-line block ×4, first 2 shown]
	s_waitcnt lgkmcnt(1)
	v_pk_fma_f16 v69, v22, v79, v69
	v_pk_fma_f16 v71, v22, v26, v71
	;; [unrolled: 1-line block ×16, first 2 shown]
	s_waitcnt lgkmcnt(0)
	v_mul_u32_u24_sdwa v29, v30, s24 dst_sel:DWORD dst_unused:UNUSED_PAD src0_sel:WORD_0 src1_sel:DWORD
	v_mul_u32_u24_sdwa v30, v30, s24 dst_sel:DWORD dst_unused:UNUSED_PAD src0_sel:WORD_1 src1_sel:DWORD
	v_mul_u32_u24_sdwa v37, v31, s24 dst_sel:DWORD dst_unused:UNUSED_PAD src0_sel:WORD_0 src1_sel:DWORD
	v_mul_u32_u24_sdwa v31, v31, s24 dst_sel:DWORD dst_unused:UNUSED_PAD src0_sel:WORD_1 src1_sel:DWORD
	v_mul_u32_u24_sdwa v38, v32, s24 dst_sel:DWORD dst_unused:UNUSED_PAD src0_sel:WORD_0 src1_sel:DWORD
	v_mul_u32_u24_sdwa v32, v32, s24 dst_sel:DWORD dst_unused:UNUSED_PAD src0_sel:WORD_1 src1_sel:DWORD
	v_mul_u32_u24_sdwa v39, v33, s24 dst_sel:DWORD dst_unused:UNUSED_PAD src0_sel:WORD_0 src1_sel:DWORD
	v_mul_u32_u24_sdwa v33, v33, s24 dst_sel:DWORD dst_unused:UNUSED_PAD src0_sel:WORD_1 src1_sel:DWORD
	v_pk_fma_f16 v69, v24, v29, v69
	v_pk_fma_f16 v70, v24, v30, v71
	;; [unrolled: 1-line block ×11, first 2 shown]
	ds_read_b128 v[26:29], v63 offset:352
	v_pk_fma_f16 v74, v24, v32, v75
	v_pk_fma_f16 v75, v24, v39, v76
	;; [unrolled: 1-line block ×5, first 2 shown]
	ds_read2_b64 v[22:25], v65 offset0:192 offset1:224
	ds_read_b128 v[30:33], v63 offset:368
	s_waitcnt lgkmcnt(2)
	v_mul_u32_u24_sdwa v79, v26, s24 dst_sel:DWORD dst_unused:UNUSED_PAD src0_sel:WORD_0 src1_sel:DWORD
	v_mul_u32_u24_sdwa v26, v26, s24 dst_sel:DWORD dst_unused:UNUSED_PAD src0_sel:WORD_1 src1_sel:DWORD
	v_mul_u32_u24_sdwa v80, v27, s24 dst_sel:DWORD dst_unused:UNUSED_PAD src0_sel:WORD_0 src1_sel:DWORD
	v_mul_u32_u24_sdwa v27, v27, s24 dst_sel:DWORD dst_unused:UNUSED_PAD src0_sel:WORD_1 src1_sel:DWORD
	v_mul_u32_u24_sdwa v81, v28, s24 dst_sel:DWORD dst_unused:UNUSED_PAD src0_sel:WORD_0 src1_sel:DWORD
	v_mul_u32_u24_sdwa v28, v28, s24 dst_sel:DWORD dst_unused:UNUSED_PAD src0_sel:WORD_1 src1_sel:DWORD
	v_mul_u32_u24_sdwa v82, v29, s24 dst_sel:DWORD dst_unused:UNUSED_PAD src0_sel:WORD_0 src1_sel:DWORD
	v_mul_u32_u24_sdwa v29, v29, s24 dst_sel:DWORD dst_unused:UNUSED_PAD src0_sel:WORD_1 src1_sel:DWORD
	s_waitcnt lgkmcnt(1)
	v_pk_fma_f16 v69, v22, v79, v69
	v_pk_fma_f16 v70, v22, v26, v70
	;; [unrolled: 1-line block ×16, first 2 shown]
	s_waitcnt lgkmcnt(0)
	v_mul_u32_u24_sdwa v29, v30, s24 dst_sel:DWORD dst_unused:UNUSED_PAD src0_sel:WORD_0 src1_sel:DWORD
	v_mul_u32_u24_sdwa v30, v30, s24 dst_sel:DWORD dst_unused:UNUSED_PAD src0_sel:WORD_1 src1_sel:DWORD
	v_mul_u32_u24_sdwa v37, v31, s24 dst_sel:DWORD dst_unused:UNUSED_PAD src0_sel:WORD_0 src1_sel:DWORD
	v_mul_u32_u24_sdwa v31, v31, s24 dst_sel:DWORD dst_unused:UNUSED_PAD src0_sel:WORD_1 src1_sel:DWORD
	;; [unrolled: 2-line block ×4, first 2 shown]
	v_pk_fma_f16 v69, v24, v29, v69
	v_pk_fma_f16 v71, v24, v37, v71
	;; [unrolled: 1-line block ×9, first 2 shown]
	ds_read_b128 v[26:29], v63 offset:384
	v_pk_fma_f16 v70, v24, v30, v70
	v_pk_fma_f16 v72, v24, v31, v72
	;; [unrolled: 1-line block ×7, first 2 shown]
	ds_read2_b64 v[22:25], v21 offset1:32
	ds_read_b128 v[30:33], v63 offset:400
	s_waitcnt lgkmcnt(2)
	v_mul_u32_u24_sdwa v79, v26, s24 dst_sel:DWORD dst_unused:UNUSED_PAD src0_sel:WORD_0 src1_sel:DWORD
	v_mul_u32_u24_sdwa v26, v26, s24 dst_sel:DWORD dst_unused:UNUSED_PAD src0_sel:WORD_1 src1_sel:DWORD
	v_mul_u32_u24_sdwa v80, v27, s24 dst_sel:DWORD dst_unused:UNUSED_PAD src0_sel:WORD_0 src1_sel:DWORD
	v_mul_u32_u24_sdwa v27, v27, s24 dst_sel:DWORD dst_unused:UNUSED_PAD src0_sel:WORD_1 src1_sel:DWORD
	;; [unrolled: 2-line block ×4, first 2 shown]
	s_waitcnt lgkmcnt(1)
	v_pk_fma_f16 v69, v22, v79, v69
	v_pk_fma_f16 v70, v22, v26, v70
	;; [unrolled: 1-line block ×16, first 2 shown]
	s_waitcnt lgkmcnt(0)
	v_mul_u32_u24_sdwa v29, v30, s24 dst_sel:DWORD dst_unused:UNUSED_PAD src0_sel:WORD_0 src1_sel:DWORD
	v_mul_u32_u24_sdwa v30, v30, s24 dst_sel:DWORD dst_unused:UNUSED_PAD src0_sel:WORD_1 src1_sel:DWORD
	v_mul_u32_u24_sdwa v37, v31, s24 dst_sel:DWORD dst_unused:UNUSED_PAD src0_sel:WORD_0 src1_sel:DWORD
	v_mul_u32_u24_sdwa v31, v31, s24 dst_sel:DWORD dst_unused:UNUSED_PAD src0_sel:WORD_1 src1_sel:DWORD
	;; [unrolled: 2-line block ×4, first 2 shown]
	v_pk_fma_f16 v69, v24, v29, v69
	v_pk_fma_f16 v71, v24, v37, v71
	;; [unrolled: 1-line block ×9, first 2 shown]
	ds_read_b128 v[26:29], v63 offset:416
	v_pk_fma_f16 v70, v24, v30, v70
	v_pk_fma_f16 v72, v24, v31, v72
	;; [unrolled: 1-line block ×7, first 2 shown]
	ds_read2_b64 v[22:25], v21 offset0:64 offset1:96
	ds_read_b128 v[30:33], v63 offset:432
	s_waitcnt lgkmcnt(2)
	v_mul_u32_u24_sdwa v79, v26, s24 dst_sel:DWORD dst_unused:UNUSED_PAD src0_sel:WORD_0 src1_sel:DWORD
	v_mul_u32_u24_sdwa v26, v26, s24 dst_sel:DWORD dst_unused:UNUSED_PAD src0_sel:WORD_1 src1_sel:DWORD
	v_mul_u32_u24_sdwa v80, v27, s24 dst_sel:DWORD dst_unused:UNUSED_PAD src0_sel:WORD_0 src1_sel:DWORD
	v_mul_u32_u24_sdwa v27, v27, s24 dst_sel:DWORD dst_unused:UNUSED_PAD src0_sel:WORD_1 src1_sel:DWORD
	;; [unrolled: 2-line block ×4, first 2 shown]
	s_waitcnt lgkmcnt(1)
	v_pk_fma_f16 v69, v22, v79, v69
	v_pk_fma_f16 v70, v22, v26, v70
	;; [unrolled: 1-line block ×16, first 2 shown]
	s_waitcnt lgkmcnt(0)
	v_mul_u32_u24_sdwa v29, v30, s24 dst_sel:DWORD dst_unused:UNUSED_PAD src0_sel:WORD_0 src1_sel:DWORD
	v_mul_u32_u24_sdwa v30, v30, s24 dst_sel:DWORD dst_unused:UNUSED_PAD src0_sel:WORD_1 src1_sel:DWORD
	v_mul_u32_u24_sdwa v37, v31, s24 dst_sel:DWORD dst_unused:UNUSED_PAD src0_sel:WORD_0 src1_sel:DWORD
	v_mul_u32_u24_sdwa v31, v31, s24 dst_sel:DWORD dst_unused:UNUSED_PAD src0_sel:WORD_1 src1_sel:DWORD
	;; [unrolled: 2-line block ×3, first 2 shown]
	v_pk_fma_f16 v69, v24, v29, v69
	v_pk_fma_f16 v76, v25, v29, v76
	;; [unrolled: 1-line block ×5, first 2 shown]
	ds_read_b128 v[26:29], v63 offset:448
	v_mul_u32_u24_sdwa v39, v33, s24 dst_sel:DWORD dst_unused:UNUSED_PAD src0_sel:WORD_0 src1_sel:DWORD
	v_mul_u32_u24_sdwa v33, v33, s24 dst_sel:DWORD dst_unused:UNUSED_PAD src0_sel:WORD_1 src1_sel:DWORD
	v_pk_fma_f16 v70, v24, v30, v70
	v_pk_fma_f16 v71, v24, v37, v71
	;; [unrolled: 1-line block ×11, first 2 shown]
	ds_read2_b64 v[22:25], v21 offset0:128 offset1:160
	ds_read_b128 v[30:33], v63 offset:464
	s_or_b32 s6, s2, 32
	s_mul_hi_i32 s7, s6, s11
	s_mul_i32 s6, s6, s11
	s_waitcnt lgkmcnt(2)
	v_mul_u32_u24_sdwa v34, v26, s24 dst_sel:DWORD dst_unused:UNUSED_PAD src0_sel:WORD_0 src1_sel:DWORD
	v_mul_u32_u24_sdwa v85, v26, s24 dst_sel:DWORD dst_unused:UNUSED_PAD src0_sel:WORD_1 src1_sel:DWORD
	v_mul_u32_u24_sdwa v92, v27, s24 dst_sel:DWORD dst_unused:UNUSED_PAD src0_sel:WORD_0 src1_sel:DWORD
	v_mul_u32_u24_sdwa v93, v27, s24 dst_sel:DWORD dst_unused:UNUSED_PAD src0_sel:WORD_1 src1_sel:DWORD
	;; [unrolled: 2-line block ×4, first 2 shown]
	v_lshl_add_u64 v[38:39], s[6:7], 2, v[18:19]
	s_waitcnt lgkmcnt(1)
	v_pk_fma_f16 v69, v22, v34, v69
	v_pk_fma_f16 v98, v22, v85, v70
	v_pk_fma_f16 v99, v22, v92, v71
	v_pk_fma_f16 v100, v22, v93, v72
	v_pk_fma_f16 v101, v22, v94, v73
	v_pk_fma_f16 v102, v22, v95, v74
	v_pk_fma_f16 v103, v22, v96, v75
	v_pk_fma_f16 v22, v22, v97, v77
	v_pk_fma_f16 v104, v23, v34, v76
	ds_read2_b64 v[26:29], v21 offset0:192 offset1:224
	ds_read_b128 v[34:37], v63 offset:480
	ds_read_b128 v[70:73], v63 offset:496
	s_waitcnt lgkmcnt(0)
	s_barrier
	global_load_dwordx4 v[74:77], v[38:39], off
	v_pk_fma_f16 v38, v23, v85, v78
	v_pk_fma_f16 v39, v23, v92, v79
	v_pk_fma_f16 v78, v23, v93, v80
	v_pk_fma_f16 v79, v23, v94, v81
	v_pk_fma_f16 v80, v23, v95, v82
	v_pk_fma_f16 v81, v23, v96, v83
	v_pk_fma_f16 v23, v23, v97, v84
	v_mul_u32_u24_sdwa v82, v30, s24 dst_sel:DWORD dst_unused:UNUSED_PAD src0_sel:WORD_0 src1_sel:DWORD
	v_mul_u32_u24_sdwa v30, v30, s24 dst_sel:DWORD dst_unused:UNUSED_PAD src0_sel:WORD_1 src1_sel:DWORD
	v_mul_u32_u24_sdwa v83, v31, s24 dst_sel:DWORD dst_unused:UNUSED_PAD src0_sel:WORD_0 src1_sel:DWORD
	v_mul_u32_u24_sdwa v31, v31, s24 dst_sel:DWORD dst_unused:UNUSED_PAD src0_sel:WORD_1 src1_sel:DWORD
	v_mul_u32_u24_sdwa v84, v32, s24 dst_sel:DWORD dst_unused:UNUSED_PAD src0_sel:WORD_0 src1_sel:DWORD
	v_mul_u32_u24_sdwa v32, v32, s24 dst_sel:DWORD dst_unused:UNUSED_PAD src0_sel:WORD_1 src1_sel:DWORD
	v_mul_u32_u24_sdwa v85, v33, s24 dst_sel:DWORD dst_unused:UNUSED_PAD src0_sel:WORD_0 src1_sel:DWORD
	v_mul_u32_u24_sdwa v33, v33, s24 dst_sel:DWORD dst_unused:UNUSED_PAD src0_sel:WORD_1 src1_sel:DWORD
	v_pk_fma_f16 v69, v24, v82, v69
	v_pk_fma_f16 v92, v24, v30, v98
	v_pk_fma_f16 v93, v24, v83, v99
	v_pk_fma_f16 v94, v24, v31, v100
	v_pk_fma_f16 v95, v24, v84, v101
	v_pk_fma_f16 v96, v24, v32, v102
	v_pk_fma_f16 v97, v24, v85, v103
	v_pk_fma_f16 v22, v24, v33, v22
	v_pk_fma_f16 v24, v25, v82, v104
	v_pk_fma_f16 v30, v25, v30, v38
	v_pk_fma_f16 v38, v25, v83, v39
	v_pk_fma_f16 v31, v25, v31, v78
	v_pk_fma_f16 v39, v25, v84, v79
	v_pk_fma_f16 v32, v25, v32, v80
	v_pk_fma_f16 v78, v25, v85, v81
	v_pk_fma_f16 v23, v25, v33, v23
	v_mul_u32_u24_sdwa v25, v34, s24 dst_sel:DWORD dst_unused:UNUSED_PAD src0_sel:WORD_0 src1_sel:DWORD
	v_mul_u32_u24_sdwa v33, v34, s24 dst_sel:DWORD dst_unused:UNUSED_PAD src0_sel:WORD_1 src1_sel:DWORD
	v_mul_u32_u24_sdwa v34, v35, s24 dst_sel:DWORD dst_unused:UNUSED_PAD src0_sel:WORD_0 src1_sel:DWORD
	v_mul_u32_u24_sdwa v35, v35, s24 dst_sel:DWORD dst_unused:UNUSED_PAD src0_sel:WORD_1 src1_sel:DWORD
	v_mul_u32_u24_sdwa v79, v36, s24 dst_sel:DWORD dst_unused:UNUSED_PAD src0_sel:WORD_0 src1_sel:DWORD
	v_mul_u32_u24_sdwa v36, v36, s24 dst_sel:DWORD dst_unused:UNUSED_PAD src0_sel:WORD_1 src1_sel:DWORD
	v_mul_u32_u24_sdwa v80, v37, s24 dst_sel:DWORD dst_unused:UNUSED_PAD src0_sel:WORD_0 src1_sel:DWORD
	v_mul_u32_u24_sdwa v37, v37, s24 dst_sel:DWORD dst_unused:UNUSED_PAD src0_sel:WORD_1 src1_sel:DWORD
	v_pk_fma_f16 v69, v26, v25, v69
	v_pk_fma_f16 v81, v26, v33, v92
	v_pk_fma_f16 v82, v26, v34, v93
	v_pk_fma_f16 v83, v26, v35, v94
	v_pk_fma_f16 v84, v26, v79, v95
	v_pk_fma_f16 v85, v26, v36, v96
	v_pk_fma_f16 v92, v26, v80, v97
	v_pk_fma_f16 v22, v26, v37, v22
	v_pk_fma_f16 v24, v27, v25, v24
	;; [unrolled: 24-line block ×3, first 2 shown]
	v_pk_fma_f16 v92, v29, v34, v25
	v_pk_fma_f16 v93, v29, v35, v26
	;; [unrolled: 1-line block ×7, first 2 shown]
	s_waitcnt vmcnt(0)
	ds_write_b128 v64, v[74:77]
	s_waitcnt lgkmcnt(0)
	s_barrier
	ds_read_b128 v[22:25], v63 offset:512
	ds_read2_b64 v[26:29], v65 offset1:32
	ds_read_b128 v[30:33], v63 offset:528
	ds_read_b128 v[34:37], v63 offset:544
	ds_read_b128 v[70:73], v63 offset:560
	s_waitcnt lgkmcnt(4)
	v_mul_u32_u24_sdwa v74, v22, s24 dst_sel:DWORD dst_unused:UNUSED_PAD src0_sel:WORD_0 src1_sel:DWORD
	v_mul_u32_u24_sdwa v22, v22, s24 dst_sel:DWORD dst_unused:UNUSED_PAD src0_sel:WORD_1 src1_sel:DWORD
	v_mul_u32_u24_sdwa v75, v23, s24 dst_sel:DWORD dst_unused:UNUSED_PAD src0_sel:WORD_0 src1_sel:DWORD
	v_mul_u32_u24_sdwa v23, v23, s24 dst_sel:DWORD dst_unused:UNUSED_PAD src0_sel:WORD_1 src1_sel:DWORD
	;; [unrolled: 2-line block ×4, first 2 shown]
	s_waitcnt lgkmcnt(3)
	v_pk_fma_f16 v69, v26, v74, v69
	v_pk_fma_f16 v78, v26, v22, v78
	;; [unrolled: 1-line block ×16, first 2 shown]
	s_waitcnt lgkmcnt(2)
	v_mul_u32_u24_sdwa v27, v30, s24 dst_sel:DWORD dst_unused:UNUSED_PAD src0_sel:WORD_0 src1_sel:DWORD
	v_mul_u32_u24_sdwa v30, v30, s24 dst_sel:DWORD dst_unused:UNUSED_PAD src0_sel:WORD_1 src1_sel:DWORD
	v_mul_u32_u24_sdwa v39, v31, s24 dst_sel:DWORD dst_unused:UNUSED_PAD src0_sel:WORD_0 src1_sel:DWORD
	v_mul_u32_u24_sdwa v31, v31, s24 dst_sel:DWORD dst_unused:UNUSED_PAD src0_sel:WORD_1 src1_sel:DWORD
	;; [unrolled: 2-line block ×4, first 2 shown]
	v_pk_fma_f16 v69, v28, v27, v69
	v_pk_fma_f16 v78, v28, v30, v78
	;; [unrolled: 1-line block ×16, first 2 shown]
	ds_read2_b64 v[22:25], v65 offset0:64 offset1:96
	s_waitcnt lgkmcnt(2)
	v_mul_u32_u24_sdwa v33, v34, s24 dst_sel:DWORD dst_unused:UNUSED_PAD src0_sel:WORD_0 src1_sel:DWORD
	v_mul_u32_u24_sdwa v34, v34, s24 dst_sel:DWORD dst_unused:UNUSED_PAD src0_sel:WORD_1 src1_sel:DWORD
	v_mul_u32_u24_sdwa v74, v35, s24 dst_sel:DWORD dst_unused:UNUSED_PAD src0_sel:WORD_0 src1_sel:DWORD
	v_mul_u32_u24_sdwa v35, v35, s24 dst_sel:DWORD dst_unused:UNUSED_PAD src0_sel:WORD_1 src1_sel:DWORD
	v_mul_u32_u24_sdwa v75, v36, s24 dst_sel:DWORD dst_unused:UNUSED_PAD src0_sel:WORD_0 src1_sel:DWORD
	v_mul_u32_u24_sdwa v36, v36, s24 dst_sel:DWORD dst_unused:UNUSED_PAD src0_sel:WORD_1 src1_sel:DWORD
	v_mul_u32_u24_sdwa v76, v37, s24 dst_sel:DWORD dst_unused:UNUSED_PAD src0_sel:WORD_0 src1_sel:DWORD
	v_mul_u32_u24_sdwa v37, v37, s24 dst_sel:DWORD dst_unused:UNUSED_PAD src0_sel:WORD_1 src1_sel:DWORD
	s_waitcnt lgkmcnt(0)
	v_pk_fma_f16 v69, v22, v33, v69
	v_pk_fma_f16 v77, v22, v34, v78
	;; [unrolled: 1-line block ×16, first 2 shown]
	v_mul_u32_u24_sdwa v29, v70, s24 dst_sel:DWORD dst_unused:UNUSED_PAD src0_sel:WORD_0 src1_sel:DWORD
	v_mul_u32_u24_sdwa v34, v70, s24 dst_sel:DWORD dst_unused:UNUSED_PAD src0_sel:WORD_1 src1_sel:DWORD
	v_mul_u32_u24_sdwa v35, v71, s24 dst_sel:DWORD dst_unused:UNUSED_PAD src0_sel:WORD_0 src1_sel:DWORD
	v_mul_u32_u24_sdwa v36, v71, s24 dst_sel:DWORD dst_unused:UNUSED_PAD src0_sel:WORD_1 src1_sel:DWORD
	v_mul_u32_u24_sdwa v37, v72, s24 dst_sel:DWORD dst_unused:UNUSED_PAD src0_sel:WORD_0 src1_sel:DWORD
	v_mul_u32_u24_sdwa v38, v72, s24 dst_sel:DWORD dst_unused:UNUSED_PAD src0_sel:WORD_1 src1_sel:DWORD
	v_mul_u32_u24_sdwa v39, v73, s24 dst_sel:DWORD dst_unused:UNUSED_PAD src0_sel:WORD_0 src1_sel:DWORD
	v_mul_u32_u24_sdwa v70, v73, s24 dst_sel:DWORD dst_unused:UNUSED_PAD src0_sel:WORD_1 src1_sel:DWORD
	v_pk_fma_f16 v69, v24, v29, v69
	v_pk_fma_f16 v71, v24, v34, v77
	;; [unrolled: 1-line block ×6, first 2 shown]
	ds_read_b128 v[26:29], v63 offset:576
	v_pk_fma_f16 v73, v24, v36, v79
	v_pk_fma_f16 v74, v24, v37, v80
	;; [unrolled: 1-line block ×10, first 2 shown]
	ds_read2_b64 v[22:25], v65 offset0:128 offset1:160
	ds_read_b128 v[30:33], v63 offset:592
	s_waitcnt lgkmcnt(2)
	v_mul_u32_u24_sdwa v79, v26, s24 dst_sel:DWORD dst_unused:UNUSED_PAD src0_sel:WORD_0 src1_sel:DWORD
	v_mul_u32_u24_sdwa v26, v26, s24 dst_sel:DWORD dst_unused:UNUSED_PAD src0_sel:WORD_1 src1_sel:DWORD
	v_mul_u32_u24_sdwa v80, v27, s24 dst_sel:DWORD dst_unused:UNUSED_PAD src0_sel:WORD_0 src1_sel:DWORD
	v_mul_u32_u24_sdwa v27, v27, s24 dst_sel:DWORD dst_unused:UNUSED_PAD src0_sel:WORD_1 src1_sel:DWORD
	;; [unrolled: 2-line block ×4, first 2 shown]
	s_waitcnt lgkmcnt(1)
	v_pk_fma_f16 v69, v22, v79, v69
	v_pk_fma_f16 v71, v22, v26, v71
	;; [unrolled: 1-line block ×16, first 2 shown]
	s_waitcnt lgkmcnt(0)
	v_mul_u32_u24_sdwa v29, v30, s24 dst_sel:DWORD dst_unused:UNUSED_PAD src0_sel:WORD_0 src1_sel:DWORD
	v_mul_u32_u24_sdwa v30, v30, s24 dst_sel:DWORD dst_unused:UNUSED_PAD src0_sel:WORD_1 src1_sel:DWORD
	v_mul_u32_u24_sdwa v37, v31, s24 dst_sel:DWORD dst_unused:UNUSED_PAD src0_sel:WORD_0 src1_sel:DWORD
	v_mul_u32_u24_sdwa v31, v31, s24 dst_sel:DWORD dst_unused:UNUSED_PAD src0_sel:WORD_1 src1_sel:DWORD
	;; [unrolled: 2-line block ×4, first 2 shown]
	v_pk_fma_f16 v69, v24, v29, v69
	v_pk_fma_f16 v70, v24, v30, v71
	;; [unrolled: 1-line block ×11, first 2 shown]
	ds_read_b128 v[26:29], v63 offset:608
	v_pk_fma_f16 v74, v24, v32, v75
	v_pk_fma_f16 v75, v24, v39, v76
	;; [unrolled: 1-line block ×5, first 2 shown]
	ds_read2_b64 v[22:25], v65 offset0:192 offset1:224
	ds_read_b128 v[30:33], v63 offset:624
	s_waitcnt lgkmcnt(2)
	v_mul_u32_u24_sdwa v79, v26, s24 dst_sel:DWORD dst_unused:UNUSED_PAD src0_sel:WORD_0 src1_sel:DWORD
	v_mul_u32_u24_sdwa v26, v26, s24 dst_sel:DWORD dst_unused:UNUSED_PAD src0_sel:WORD_1 src1_sel:DWORD
	v_mul_u32_u24_sdwa v80, v27, s24 dst_sel:DWORD dst_unused:UNUSED_PAD src0_sel:WORD_0 src1_sel:DWORD
	v_mul_u32_u24_sdwa v27, v27, s24 dst_sel:DWORD dst_unused:UNUSED_PAD src0_sel:WORD_1 src1_sel:DWORD
	;; [unrolled: 2-line block ×4, first 2 shown]
	s_waitcnt lgkmcnt(1)
	v_pk_fma_f16 v69, v22, v79, v69
	v_pk_fma_f16 v70, v22, v26, v70
	;; [unrolled: 1-line block ×16, first 2 shown]
	s_waitcnt lgkmcnt(0)
	v_mul_u32_u24_sdwa v29, v30, s24 dst_sel:DWORD dst_unused:UNUSED_PAD src0_sel:WORD_0 src1_sel:DWORD
	v_mul_u32_u24_sdwa v30, v30, s24 dst_sel:DWORD dst_unused:UNUSED_PAD src0_sel:WORD_1 src1_sel:DWORD
	v_mul_u32_u24_sdwa v37, v31, s24 dst_sel:DWORD dst_unused:UNUSED_PAD src0_sel:WORD_0 src1_sel:DWORD
	v_mul_u32_u24_sdwa v31, v31, s24 dst_sel:DWORD dst_unused:UNUSED_PAD src0_sel:WORD_1 src1_sel:DWORD
	;; [unrolled: 2-line block ×4, first 2 shown]
	v_pk_fma_f16 v69, v24, v29, v69
	v_pk_fma_f16 v71, v24, v37, v71
	;; [unrolled: 1-line block ×9, first 2 shown]
	ds_read_b128 v[26:29], v63 offset:640
	v_pk_fma_f16 v70, v24, v30, v70
	v_pk_fma_f16 v72, v24, v31, v72
	v_pk_fma_f16 v74, v24, v32, v74
	v_pk_fma_f16 v75, v24, v39, v75
	v_pk_fma_f16 v77, v24, v33, v22
	v_pk_fma_f16 v36, v25, v39, v36
	v_pk_fma_f16 v39, v25, v33, v23
	ds_read2_b64 v[22:25], v21 offset1:32
	ds_read_b128 v[30:33], v63 offset:656
	s_waitcnt lgkmcnt(2)
	v_mul_u32_u24_sdwa v79, v26, s24 dst_sel:DWORD dst_unused:UNUSED_PAD src0_sel:WORD_0 src1_sel:DWORD
	v_mul_u32_u24_sdwa v26, v26, s24 dst_sel:DWORD dst_unused:UNUSED_PAD src0_sel:WORD_1 src1_sel:DWORD
	v_mul_u32_u24_sdwa v80, v27, s24 dst_sel:DWORD dst_unused:UNUSED_PAD src0_sel:WORD_0 src1_sel:DWORD
	v_mul_u32_u24_sdwa v27, v27, s24 dst_sel:DWORD dst_unused:UNUSED_PAD src0_sel:WORD_1 src1_sel:DWORD
	;; [unrolled: 2-line block ×4, first 2 shown]
	s_waitcnt lgkmcnt(1)
	v_pk_fma_f16 v69, v22, v79, v69
	v_pk_fma_f16 v70, v22, v26, v70
	;; [unrolled: 1-line block ×16, first 2 shown]
	s_waitcnt lgkmcnt(0)
	v_mul_u32_u24_sdwa v29, v30, s24 dst_sel:DWORD dst_unused:UNUSED_PAD src0_sel:WORD_0 src1_sel:DWORD
	v_mul_u32_u24_sdwa v30, v30, s24 dst_sel:DWORD dst_unused:UNUSED_PAD src0_sel:WORD_1 src1_sel:DWORD
	v_mul_u32_u24_sdwa v37, v31, s24 dst_sel:DWORD dst_unused:UNUSED_PAD src0_sel:WORD_0 src1_sel:DWORD
	v_mul_u32_u24_sdwa v31, v31, s24 dst_sel:DWORD dst_unused:UNUSED_PAD src0_sel:WORD_1 src1_sel:DWORD
	;; [unrolled: 2-line block ×4, first 2 shown]
	v_pk_fma_f16 v69, v24, v29, v69
	v_pk_fma_f16 v71, v24, v37, v71
	;; [unrolled: 1-line block ×9, first 2 shown]
	ds_read_b128 v[26:29], v63 offset:672
	v_pk_fma_f16 v70, v24, v30, v70
	v_pk_fma_f16 v72, v24, v31, v72
	;; [unrolled: 1-line block ×7, first 2 shown]
	ds_read2_b64 v[22:25], v21 offset0:64 offset1:96
	ds_read_b128 v[30:33], v63 offset:688
	s_waitcnt lgkmcnt(2)
	v_mul_u32_u24_sdwa v79, v26, s24 dst_sel:DWORD dst_unused:UNUSED_PAD src0_sel:WORD_0 src1_sel:DWORD
	v_mul_u32_u24_sdwa v26, v26, s24 dst_sel:DWORD dst_unused:UNUSED_PAD src0_sel:WORD_1 src1_sel:DWORD
	v_mul_u32_u24_sdwa v80, v27, s24 dst_sel:DWORD dst_unused:UNUSED_PAD src0_sel:WORD_0 src1_sel:DWORD
	v_mul_u32_u24_sdwa v27, v27, s24 dst_sel:DWORD dst_unused:UNUSED_PAD src0_sel:WORD_1 src1_sel:DWORD
	;; [unrolled: 2-line block ×4, first 2 shown]
	s_waitcnt lgkmcnt(1)
	v_pk_fma_f16 v69, v22, v79, v69
	v_pk_fma_f16 v70, v22, v26, v70
	;; [unrolled: 1-line block ×16, first 2 shown]
	s_waitcnt lgkmcnt(0)
	v_mul_u32_u24_sdwa v29, v30, s24 dst_sel:DWORD dst_unused:UNUSED_PAD src0_sel:WORD_0 src1_sel:DWORD
	v_mul_u32_u24_sdwa v30, v30, s24 dst_sel:DWORD dst_unused:UNUSED_PAD src0_sel:WORD_1 src1_sel:DWORD
	v_mul_u32_u24_sdwa v37, v31, s24 dst_sel:DWORD dst_unused:UNUSED_PAD src0_sel:WORD_0 src1_sel:DWORD
	v_mul_u32_u24_sdwa v31, v31, s24 dst_sel:DWORD dst_unused:UNUSED_PAD src0_sel:WORD_1 src1_sel:DWORD
	;; [unrolled: 2-line block ×3, first 2 shown]
	v_pk_fma_f16 v69, v24, v29, v69
	v_pk_fma_f16 v76, v25, v29, v76
	;; [unrolled: 1-line block ×5, first 2 shown]
	ds_read_b128 v[26:29], v63 offset:704
	v_mul_u32_u24_sdwa v39, v33, s24 dst_sel:DWORD dst_unused:UNUSED_PAD src0_sel:WORD_0 src1_sel:DWORD
	v_mul_u32_u24_sdwa v33, v33, s24 dst_sel:DWORD dst_unused:UNUSED_PAD src0_sel:WORD_1 src1_sel:DWORD
	v_pk_fma_f16 v70, v24, v30, v70
	v_pk_fma_f16 v71, v24, v37, v71
	;; [unrolled: 1-line block ×11, first 2 shown]
	ds_read2_b64 v[22:25], v21 offset0:128 offset1:160
	ds_read_b128 v[30:33], v63 offset:720
	s_or_b32 s6, s2, 48
	s_mul_hi_i32 s7, s6, s11
	s_mul_i32 s6, s6, s11
	s_waitcnt lgkmcnt(2)
	v_mul_u32_u24_sdwa v34, v26, s24 dst_sel:DWORD dst_unused:UNUSED_PAD src0_sel:WORD_0 src1_sel:DWORD
	v_mul_u32_u24_sdwa v85, v26, s24 dst_sel:DWORD dst_unused:UNUSED_PAD src0_sel:WORD_1 src1_sel:DWORD
	v_mul_u32_u24_sdwa v92, v27, s24 dst_sel:DWORD dst_unused:UNUSED_PAD src0_sel:WORD_0 src1_sel:DWORD
	v_mul_u32_u24_sdwa v93, v27, s24 dst_sel:DWORD dst_unused:UNUSED_PAD src0_sel:WORD_1 src1_sel:DWORD
	;; [unrolled: 2-line block ×4, first 2 shown]
	v_lshl_add_u64 v[38:39], s[6:7], 2, v[18:19]
	s_waitcnt lgkmcnt(1)
	v_pk_fma_f16 v69, v22, v34, v69
	v_pk_fma_f16 v98, v22, v85, v70
	;; [unrolled: 1-line block ×9, first 2 shown]
	ds_read2_b64 v[26:29], v21 offset0:192 offset1:224
	ds_read_b128 v[34:37], v63 offset:736
	ds_read_b128 v[70:73], v63 offset:752
	s_waitcnt lgkmcnt(0)
	s_barrier
	global_load_dwordx4 v[74:77], v[38:39], off
	v_pk_fma_f16 v38, v23, v85, v78
	v_pk_fma_f16 v39, v23, v92, v79
	v_pk_fma_f16 v78, v23, v93, v80
	v_pk_fma_f16 v79, v23, v94, v81
	v_pk_fma_f16 v80, v23, v95, v82
	v_pk_fma_f16 v81, v23, v96, v83
	v_pk_fma_f16 v23, v23, v97, v84
	v_mul_u32_u24_sdwa v82, v30, s24 dst_sel:DWORD dst_unused:UNUSED_PAD src0_sel:WORD_0 src1_sel:DWORD
	v_mul_u32_u24_sdwa v30, v30, s24 dst_sel:DWORD dst_unused:UNUSED_PAD src0_sel:WORD_1 src1_sel:DWORD
	v_mul_u32_u24_sdwa v83, v31, s24 dst_sel:DWORD dst_unused:UNUSED_PAD src0_sel:WORD_0 src1_sel:DWORD
	v_mul_u32_u24_sdwa v31, v31, s24 dst_sel:DWORD dst_unused:UNUSED_PAD src0_sel:WORD_1 src1_sel:DWORD
	v_mul_u32_u24_sdwa v84, v32, s24 dst_sel:DWORD dst_unused:UNUSED_PAD src0_sel:WORD_0 src1_sel:DWORD
	v_mul_u32_u24_sdwa v32, v32, s24 dst_sel:DWORD dst_unused:UNUSED_PAD src0_sel:WORD_1 src1_sel:DWORD
	v_mul_u32_u24_sdwa v85, v33, s24 dst_sel:DWORD dst_unused:UNUSED_PAD src0_sel:WORD_0 src1_sel:DWORD
	v_mul_u32_u24_sdwa v33, v33, s24 dst_sel:DWORD dst_unused:UNUSED_PAD src0_sel:WORD_1 src1_sel:DWORD
	v_pk_fma_f16 v69, v24, v82, v69
	v_pk_fma_f16 v92, v24, v30, v98
	v_pk_fma_f16 v93, v24, v83, v99
	v_pk_fma_f16 v94, v24, v31, v100
	v_pk_fma_f16 v95, v24, v84, v101
	v_pk_fma_f16 v96, v24, v32, v102
	v_pk_fma_f16 v97, v24, v85, v103
	v_pk_fma_f16 v22, v24, v33, v22
	v_pk_fma_f16 v24, v25, v82, v104
	v_pk_fma_f16 v30, v25, v30, v38
	v_pk_fma_f16 v38, v25, v83, v39
	v_pk_fma_f16 v31, v25, v31, v78
	v_pk_fma_f16 v39, v25, v84, v79
	v_pk_fma_f16 v32, v25, v32, v80
	v_pk_fma_f16 v78, v25, v85, v81
	v_pk_fma_f16 v23, v25, v33, v23
	v_mul_u32_u24_sdwa v25, v34, s24 dst_sel:DWORD dst_unused:UNUSED_PAD src0_sel:WORD_0 src1_sel:DWORD
	v_mul_u32_u24_sdwa v33, v34, s24 dst_sel:DWORD dst_unused:UNUSED_PAD src0_sel:WORD_1 src1_sel:DWORD
	v_mul_u32_u24_sdwa v34, v35, s24 dst_sel:DWORD dst_unused:UNUSED_PAD src0_sel:WORD_0 src1_sel:DWORD
	v_mul_u32_u24_sdwa v35, v35, s24 dst_sel:DWORD dst_unused:UNUSED_PAD src0_sel:WORD_1 src1_sel:DWORD
	v_mul_u32_u24_sdwa v79, v36, s24 dst_sel:DWORD dst_unused:UNUSED_PAD src0_sel:WORD_0 src1_sel:DWORD
	v_mul_u32_u24_sdwa v36, v36, s24 dst_sel:DWORD dst_unused:UNUSED_PAD src0_sel:WORD_1 src1_sel:DWORD
	v_mul_u32_u24_sdwa v80, v37, s24 dst_sel:DWORD dst_unused:UNUSED_PAD src0_sel:WORD_0 src1_sel:DWORD
	v_mul_u32_u24_sdwa v37, v37, s24 dst_sel:DWORD dst_unused:UNUSED_PAD src0_sel:WORD_1 src1_sel:DWORD
	v_pk_fma_f16 v69, v26, v25, v69
	v_pk_fma_f16 v81, v26, v33, v92
	v_pk_fma_f16 v82, v26, v34, v93
	v_pk_fma_f16 v83, v26, v35, v94
	v_pk_fma_f16 v84, v26, v79, v95
	v_pk_fma_f16 v85, v26, v36, v96
	v_pk_fma_f16 v92, v26, v80, v97
	v_pk_fma_f16 v22, v26, v37, v22
	v_pk_fma_f16 v24, v27, v25, v24
	;; [unrolled: 24-line block ×3, first 2 shown]
	v_pk_fma_f16 v92, v29, v34, v25
	v_pk_fma_f16 v93, v29, v35, v26
	;; [unrolled: 1-line block ×7, first 2 shown]
	s_waitcnt vmcnt(0)
	ds_write_b128 v64, v[74:77]
	s_waitcnt lgkmcnt(0)
	s_barrier
	ds_read_b128 v[22:25], v63 offset:768
	ds_read2_b64 v[26:29], v65 offset1:32
	ds_read_b128 v[30:33], v63 offset:784
	ds_read_b128 v[34:37], v63 offset:800
	;; [unrolled: 1-line block ×3, first 2 shown]
	s_waitcnt lgkmcnt(4)
	v_mul_u32_u24_sdwa v74, v22, s24 dst_sel:DWORD dst_unused:UNUSED_PAD src0_sel:WORD_0 src1_sel:DWORD
	v_mul_u32_u24_sdwa v22, v22, s24 dst_sel:DWORD dst_unused:UNUSED_PAD src0_sel:WORD_1 src1_sel:DWORD
	v_mul_u32_u24_sdwa v75, v23, s24 dst_sel:DWORD dst_unused:UNUSED_PAD src0_sel:WORD_0 src1_sel:DWORD
	v_mul_u32_u24_sdwa v23, v23, s24 dst_sel:DWORD dst_unused:UNUSED_PAD src0_sel:WORD_1 src1_sel:DWORD
	;; [unrolled: 2-line block ×4, first 2 shown]
	s_waitcnt lgkmcnt(3)
	v_pk_fma_f16 v69, v26, v74, v69
	v_pk_fma_f16 v78, v26, v22, v78
	;; [unrolled: 1-line block ×16, first 2 shown]
	s_waitcnt lgkmcnt(2)
	v_mul_u32_u24_sdwa v27, v30, s24 dst_sel:DWORD dst_unused:UNUSED_PAD src0_sel:WORD_0 src1_sel:DWORD
	v_mul_u32_u24_sdwa v30, v30, s24 dst_sel:DWORD dst_unused:UNUSED_PAD src0_sel:WORD_1 src1_sel:DWORD
	v_mul_u32_u24_sdwa v39, v31, s24 dst_sel:DWORD dst_unused:UNUSED_PAD src0_sel:WORD_0 src1_sel:DWORD
	v_mul_u32_u24_sdwa v31, v31, s24 dst_sel:DWORD dst_unused:UNUSED_PAD src0_sel:WORD_1 src1_sel:DWORD
	;; [unrolled: 2-line block ×4, first 2 shown]
	v_pk_fma_f16 v69, v28, v27, v69
	v_pk_fma_f16 v78, v28, v30, v78
	;; [unrolled: 1-line block ×16, first 2 shown]
	ds_read2_b64 v[22:25], v65 offset0:64 offset1:96
	s_waitcnt lgkmcnt(2)
	v_mul_u32_u24_sdwa v33, v34, s24 dst_sel:DWORD dst_unused:UNUSED_PAD src0_sel:WORD_0 src1_sel:DWORD
	v_mul_u32_u24_sdwa v34, v34, s24 dst_sel:DWORD dst_unused:UNUSED_PAD src0_sel:WORD_1 src1_sel:DWORD
	v_mul_u32_u24_sdwa v74, v35, s24 dst_sel:DWORD dst_unused:UNUSED_PAD src0_sel:WORD_0 src1_sel:DWORD
	v_mul_u32_u24_sdwa v35, v35, s24 dst_sel:DWORD dst_unused:UNUSED_PAD src0_sel:WORD_1 src1_sel:DWORD
	;; [unrolled: 2-line block ×4, first 2 shown]
	s_waitcnt lgkmcnt(0)
	v_pk_fma_f16 v69, v22, v33, v69
	v_pk_fma_f16 v77, v22, v34, v78
	;; [unrolled: 1-line block ×16, first 2 shown]
	v_mul_u32_u24_sdwa v29, v70, s24 dst_sel:DWORD dst_unused:UNUSED_PAD src0_sel:WORD_0 src1_sel:DWORD
	v_mul_u32_u24_sdwa v34, v70, s24 dst_sel:DWORD dst_unused:UNUSED_PAD src0_sel:WORD_1 src1_sel:DWORD
	v_mul_u32_u24_sdwa v35, v71, s24 dst_sel:DWORD dst_unused:UNUSED_PAD src0_sel:WORD_0 src1_sel:DWORD
	v_mul_u32_u24_sdwa v36, v71, s24 dst_sel:DWORD dst_unused:UNUSED_PAD src0_sel:WORD_1 src1_sel:DWORD
	;; [unrolled: 2-line block ×4, first 2 shown]
	v_pk_fma_f16 v69, v24, v29, v69
	v_pk_fma_f16 v71, v24, v34, v77
	;; [unrolled: 1-line block ×6, first 2 shown]
	ds_read_b128 v[26:29], v63 offset:832
	v_pk_fma_f16 v73, v24, v36, v79
	v_pk_fma_f16 v74, v24, v37, v80
	;; [unrolled: 1-line block ×10, first 2 shown]
	ds_read2_b64 v[22:25], v65 offset0:128 offset1:160
	ds_read_b128 v[30:33], v63 offset:848
	s_waitcnt lgkmcnt(2)
	v_mul_u32_u24_sdwa v79, v26, s24 dst_sel:DWORD dst_unused:UNUSED_PAD src0_sel:WORD_0 src1_sel:DWORD
	v_mul_u32_u24_sdwa v26, v26, s24 dst_sel:DWORD dst_unused:UNUSED_PAD src0_sel:WORD_1 src1_sel:DWORD
	v_mul_u32_u24_sdwa v80, v27, s24 dst_sel:DWORD dst_unused:UNUSED_PAD src0_sel:WORD_0 src1_sel:DWORD
	v_mul_u32_u24_sdwa v27, v27, s24 dst_sel:DWORD dst_unused:UNUSED_PAD src0_sel:WORD_1 src1_sel:DWORD
	;; [unrolled: 2-line block ×4, first 2 shown]
	s_waitcnt lgkmcnt(1)
	v_pk_fma_f16 v69, v22, v79, v69
	v_pk_fma_f16 v71, v22, v26, v71
	;; [unrolled: 1-line block ×16, first 2 shown]
	s_waitcnt lgkmcnt(0)
	v_mul_u32_u24_sdwa v29, v30, s24 dst_sel:DWORD dst_unused:UNUSED_PAD src0_sel:WORD_0 src1_sel:DWORD
	v_mul_u32_u24_sdwa v30, v30, s24 dst_sel:DWORD dst_unused:UNUSED_PAD src0_sel:WORD_1 src1_sel:DWORD
	v_mul_u32_u24_sdwa v37, v31, s24 dst_sel:DWORD dst_unused:UNUSED_PAD src0_sel:WORD_0 src1_sel:DWORD
	v_mul_u32_u24_sdwa v31, v31, s24 dst_sel:DWORD dst_unused:UNUSED_PAD src0_sel:WORD_1 src1_sel:DWORD
	v_mul_u32_u24_sdwa v38, v32, s24 dst_sel:DWORD dst_unused:UNUSED_PAD src0_sel:WORD_0 src1_sel:DWORD
	v_mul_u32_u24_sdwa v32, v32, s24 dst_sel:DWORD dst_unused:UNUSED_PAD src0_sel:WORD_1 src1_sel:DWORD
	v_mul_u32_u24_sdwa v39, v33, s24 dst_sel:DWORD dst_unused:UNUSED_PAD src0_sel:WORD_0 src1_sel:DWORD
	v_mul_u32_u24_sdwa v33, v33, s24 dst_sel:DWORD dst_unused:UNUSED_PAD src0_sel:WORD_1 src1_sel:DWORD
	v_pk_fma_f16 v69, v24, v29, v69
	v_pk_fma_f16 v70, v24, v30, v71
	;; [unrolled: 1-line block ×11, first 2 shown]
	ds_read_b128 v[26:29], v63 offset:864
	v_pk_fma_f16 v74, v24, v32, v75
	v_pk_fma_f16 v75, v24, v39, v76
	;; [unrolled: 1-line block ×5, first 2 shown]
	ds_read2_b64 v[22:25], v65 offset0:192 offset1:224
	ds_read_b128 v[30:33], v63 offset:880
	s_waitcnt lgkmcnt(2)
	v_mul_u32_u24_sdwa v79, v26, s24 dst_sel:DWORD dst_unused:UNUSED_PAD src0_sel:WORD_0 src1_sel:DWORD
	v_mul_u32_u24_sdwa v26, v26, s24 dst_sel:DWORD dst_unused:UNUSED_PAD src0_sel:WORD_1 src1_sel:DWORD
	v_mul_u32_u24_sdwa v80, v27, s24 dst_sel:DWORD dst_unused:UNUSED_PAD src0_sel:WORD_0 src1_sel:DWORD
	v_mul_u32_u24_sdwa v27, v27, s24 dst_sel:DWORD dst_unused:UNUSED_PAD src0_sel:WORD_1 src1_sel:DWORD
	;; [unrolled: 2-line block ×4, first 2 shown]
	s_waitcnt lgkmcnt(1)
	v_pk_fma_f16 v69, v22, v79, v69
	v_pk_fma_f16 v70, v22, v26, v70
	;; [unrolled: 1-line block ×16, first 2 shown]
	s_waitcnt lgkmcnt(0)
	v_mul_u32_u24_sdwa v29, v30, s24 dst_sel:DWORD dst_unused:UNUSED_PAD src0_sel:WORD_0 src1_sel:DWORD
	v_mul_u32_u24_sdwa v30, v30, s24 dst_sel:DWORD dst_unused:UNUSED_PAD src0_sel:WORD_1 src1_sel:DWORD
	v_mul_u32_u24_sdwa v37, v31, s24 dst_sel:DWORD dst_unused:UNUSED_PAD src0_sel:WORD_0 src1_sel:DWORD
	v_mul_u32_u24_sdwa v31, v31, s24 dst_sel:DWORD dst_unused:UNUSED_PAD src0_sel:WORD_1 src1_sel:DWORD
	;; [unrolled: 2-line block ×4, first 2 shown]
	v_pk_fma_f16 v69, v24, v29, v69
	v_pk_fma_f16 v71, v24, v37, v71
	;; [unrolled: 1-line block ×9, first 2 shown]
	ds_read_b128 v[26:29], v63 offset:896
	v_pk_fma_f16 v70, v24, v30, v70
	v_pk_fma_f16 v72, v24, v31, v72
	;; [unrolled: 1-line block ×7, first 2 shown]
	ds_read2_b64 v[22:25], v21 offset1:32
	ds_read_b128 v[30:33], v63 offset:912
	s_waitcnt lgkmcnt(2)
	v_mul_u32_u24_sdwa v79, v26, s24 dst_sel:DWORD dst_unused:UNUSED_PAD src0_sel:WORD_0 src1_sel:DWORD
	v_mul_u32_u24_sdwa v26, v26, s24 dst_sel:DWORD dst_unused:UNUSED_PAD src0_sel:WORD_1 src1_sel:DWORD
	v_mul_u32_u24_sdwa v80, v27, s24 dst_sel:DWORD dst_unused:UNUSED_PAD src0_sel:WORD_0 src1_sel:DWORD
	v_mul_u32_u24_sdwa v27, v27, s24 dst_sel:DWORD dst_unused:UNUSED_PAD src0_sel:WORD_1 src1_sel:DWORD
	;; [unrolled: 2-line block ×4, first 2 shown]
	s_waitcnt lgkmcnt(1)
	v_pk_fma_f16 v69, v22, v79, v69
	v_pk_fma_f16 v70, v22, v26, v70
	;; [unrolled: 1-line block ×16, first 2 shown]
	s_waitcnt lgkmcnt(0)
	v_mul_u32_u24_sdwa v29, v30, s24 dst_sel:DWORD dst_unused:UNUSED_PAD src0_sel:WORD_0 src1_sel:DWORD
	v_mul_u32_u24_sdwa v30, v30, s24 dst_sel:DWORD dst_unused:UNUSED_PAD src0_sel:WORD_1 src1_sel:DWORD
	v_mul_u32_u24_sdwa v37, v31, s24 dst_sel:DWORD dst_unused:UNUSED_PAD src0_sel:WORD_0 src1_sel:DWORD
	v_mul_u32_u24_sdwa v31, v31, s24 dst_sel:DWORD dst_unused:UNUSED_PAD src0_sel:WORD_1 src1_sel:DWORD
	;; [unrolled: 2-line block ×4, first 2 shown]
	v_pk_fma_f16 v69, v24, v29, v69
	v_pk_fma_f16 v71, v24, v37, v71
	;; [unrolled: 1-line block ×9, first 2 shown]
	ds_read_b128 v[26:29], v63 offset:928
	v_pk_fma_f16 v70, v24, v30, v70
	v_pk_fma_f16 v72, v24, v31, v72
	;; [unrolled: 1-line block ×7, first 2 shown]
	ds_read2_b64 v[22:25], v21 offset0:64 offset1:96
	ds_read_b128 v[30:33], v63 offset:944
	s_waitcnt lgkmcnt(2)
	v_mul_u32_u24_sdwa v79, v26, s24 dst_sel:DWORD dst_unused:UNUSED_PAD src0_sel:WORD_0 src1_sel:DWORD
	v_mul_u32_u24_sdwa v26, v26, s24 dst_sel:DWORD dst_unused:UNUSED_PAD src0_sel:WORD_1 src1_sel:DWORD
	v_mul_u32_u24_sdwa v80, v27, s24 dst_sel:DWORD dst_unused:UNUSED_PAD src0_sel:WORD_0 src1_sel:DWORD
	v_mul_u32_u24_sdwa v27, v27, s24 dst_sel:DWORD dst_unused:UNUSED_PAD src0_sel:WORD_1 src1_sel:DWORD
	;; [unrolled: 2-line block ×4, first 2 shown]
	s_waitcnt lgkmcnt(1)
	v_pk_fma_f16 v69, v22, v79, v69
	v_pk_fma_f16 v70, v22, v26, v70
	;; [unrolled: 1-line block ×16, first 2 shown]
	s_waitcnt lgkmcnt(0)
	v_mul_u32_u24_sdwa v29, v30, s24 dst_sel:DWORD dst_unused:UNUSED_PAD src0_sel:WORD_0 src1_sel:DWORD
	v_mul_u32_u24_sdwa v30, v30, s24 dst_sel:DWORD dst_unused:UNUSED_PAD src0_sel:WORD_1 src1_sel:DWORD
	v_mul_u32_u24_sdwa v37, v31, s24 dst_sel:DWORD dst_unused:UNUSED_PAD src0_sel:WORD_0 src1_sel:DWORD
	v_mul_u32_u24_sdwa v31, v31, s24 dst_sel:DWORD dst_unused:UNUSED_PAD src0_sel:WORD_1 src1_sel:DWORD
	;; [unrolled: 2-line block ×4, first 2 shown]
	v_pk_fma_f16 v69, v24, v29, v69
	v_pk_fma_f16 v71, v24, v37, v71
	;; [unrolled: 1-line block ×9, first 2 shown]
	ds_read_b128 v[26:29], v63 offset:960
	v_pk_fma_f16 v70, v24, v30, v70
	v_pk_fma_f16 v72, v24, v31, v72
	;; [unrolled: 1-line block ×7, first 2 shown]
	ds_read2_b64 v[22:25], v21 offset0:128 offset1:160
	ds_read_b128 v[30:33], v63 offset:976
	s_waitcnt lgkmcnt(2)
	v_mul_u32_u24_sdwa v79, v26, s24 dst_sel:DWORD dst_unused:UNUSED_PAD src0_sel:WORD_0 src1_sel:DWORD
	v_mul_u32_u24_sdwa v26, v26, s24 dst_sel:DWORD dst_unused:UNUSED_PAD src0_sel:WORD_1 src1_sel:DWORD
	v_mul_u32_u24_sdwa v80, v27, s24 dst_sel:DWORD dst_unused:UNUSED_PAD src0_sel:WORD_0 src1_sel:DWORD
	v_mul_u32_u24_sdwa v27, v27, s24 dst_sel:DWORD dst_unused:UNUSED_PAD src0_sel:WORD_1 src1_sel:DWORD
	;; [unrolled: 2-line block ×4, first 2 shown]
	s_waitcnt lgkmcnt(1)
	v_pk_fma_f16 v69, v22, v79, v69
	v_pk_fma_f16 v70, v22, v26, v70
	;; [unrolled: 1-line block ×16, first 2 shown]
	s_waitcnt lgkmcnt(0)
	v_mul_u32_u24_sdwa v29, v30, s24 dst_sel:DWORD dst_unused:UNUSED_PAD src0_sel:WORD_0 src1_sel:DWORD
	v_mul_u32_u24_sdwa v30, v30, s24 dst_sel:DWORD dst_unused:UNUSED_PAD src0_sel:WORD_1 src1_sel:DWORD
	v_mul_u32_u24_sdwa v37, v31, s24 dst_sel:DWORD dst_unused:UNUSED_PAD src0_sel:WORD_0 src1_sel:DWORD
	v_mul_u32_u24_sdwa v31, v31, s24 dst_sel:DWORD dst_unused:UNUSED_PAD src0_sel:WORD_1 src1_sel:DWORD
	;; [unrolled: 2-line block ×4, first 2 shown]
	v_pk_fma_f16 v69, v24, v29, v69
	v_pk_fma_f16 v70, v24, v30, v70
	;; [unrolled: 1-line block ×14, first 2 shown]
	ds_read_b128 v[26:29], v63 offset:992
	v_pk_fma_f16 v36, v25, v39, v36
	v_pk_fma_f16 v39, v25, v33, v23
	ds_read2_b64 v[22:25], v21 offset0:192 offset1:224
	ds_read_b128 v[30:33], v63 offset:1008
	s_waitcnt lgkmcnt(0)
	s_barrier
	s_load_dword s6, s[4:5], 0x4
	v_mul_u32_u24_sdwa v21, v26, s24 dst_sel:DWORD dst_unused:UNUSED_PAD src0_sel:WORD_0 src1_sel:DWORD
	v_mul_u32_u24_sdwa v26, v26, s24 dst_sel:DWORD dst_unused:UNUSED_PAD src0_sel:WORD_1 src1_sel:DWORD
	v_mul_u32_u24_sdwa v79, v27, s24 dst_sel:DWORD dst_unused:UNUSED_PAD src0_sel:WORD_0 src1_sel:DWORD
	v_mul_u32_u24_sdwa v27, v27, s24 dst_sel:DWORD dst_unused:UNUSED_PAD src0_sel:WORD_1 src1_sel:DWORD
	;; [unrolled: 2-line block ×4, first 2 shown]
	s_waitcnt lgkmcnt(0)
	s_lshl_b32 s6, s6, 6
	v_pk_fma_f16 v69, v22, v21, v69
	v_pk_fma_f16 v70, v22, v26, v70
	;; [unrolled: 1-line block ×16, first 2 shown]
	v_mul_u32_u24_sdwa v29, v30, s24 dst_sel:DWORD dst_unused:UNUSED_PAD src0_sel:WORD_0 src1_sel:DWORD
	v_mul_u32_u24_sdwa v36, v30, s24 dst_sel:DWORD dst_unused:UNUSED_PAD src0_sel:WORD_1 src1_sel:DWORD
	v_mul_u32_u24_sdwa v78, v31, s24 dst_sel:DWORD dst_unused:UNUSED_PAD src0_sel:WORD_0 src1_sel:DWORD
	v_mul_u32_u24_sdwa v79, v31, s24 dst_sel:DWORD dst_unused:UNUSED_PAD src0_sel:WORD_1 src1_sel:DWORD
	;; [unrolled: 2-line block ×4, first 2 shown]
	s_add_i32 s2, s6, s2
	v_pk_fma_f16 v38, v24, v29, v69
	v_pk_fma_f16 v30, v24, v36, v70
	;; [unrolled: 1-line block ×15, first 2 shown]
	s_cmp_ge_i32 s2, s30
	v_pk_fma_f16 v21, v25, v83, v23
	s_cbranch_scc1 .LBB80_7
; %bb.116:                              ;   in Loop: Header=BB80_51 Depth=1
	v_mov_b32_e32 v22, v0
	v_mov_b32_e32 v23, v1
	;; [unrolled: 1-line block ×8, first 2 shown]
	s_branch .LBB80_51
	.section	.rodata,"a",@progbits
	.p2align	6, 0x0
	.amdhsa_kernel _ZL15flash_attn_tileILi128ELi128ELi32ELi2ELb1EEvPKcS1_S1_S1_S1_PKiPfP15HIP_vector_typeIfLj2EEffffjfiS5_IjLj3EEiiiiiiiiiiiliiliiiiil
		.amdhsa_group_segment_fixed_size 29696
		.amdhsa_private_segment_fixed_size 0
		.amdhsa_kernarg_size 464
		.amdhsa_user_sgpr_count 2
		.amdhsa_user_sgpr_dispatch_ptr 0
		.amdhsa_user_sgpr_queue_ptr 0
		.amdhsa_user_sgpr_kernarg_segment_ptr 1
		.amdhsa_user_sgpr_dispatch_id 0
		.amdhsa_user_sgpr_kernarg_preload_length 0
		.amdhsa_user_sgpr_kernarg_preload_offset 0
		.amdhsa_user_sgpr_private_segment_size 0
		.amdhsa_uses_dynamic_stack 0
		.amdhsa_enable_private_segment 0
		.amdhsa_system_sgpr_workgroup_id_x 1
		.amdhsa_system_sgpr_workgroup_id_y 1
		.amdhsa_system_sgpr_workgroup_id_z 1
		.amdhsa_system_sgpr_workgroup_info 0
		.amdhsa_system_vgpr_workitem_id 1
		.amdhsa_next_free_vgpr 124
		.amdhsa_next_free_sgpr 96
		.amdhsa_accum_offset 124
		.amdhsa_reserve_vcc 1
		.amdhsa_float_round_mode_32 0
		.amdhsa_float_round_mode_16_64 0
		.amdhsa_float_denorm_mode_32 3
		.amdhsa_float_denorm_mode_16_64 3
		.amdhsa_dx10_clamp 1
		.amdhsa_ieee_mode 1
		.amdhsa_fp16_overflow 0
		.amdhsa_tg_split 0
		.amdhsa_exception_fp_ieee_invalid_op 0
		.amdhsa_exception_fp_denorm_src 0
		.amdhsa_exception_fp_ieee_div_zero 0
		.amdhsa_exception_fp_ieee_overflow 0
		.amdhsa_exception_fp_ieee_underflow 0
		.amdhsa_exception_fp_ieee_inexact 0
		.amdhsa_exception_int_div_zero 0
	.end_amdhsa_kernel
	.section	.text._ZL15flash_attn_tileILi128ELi128ELi32ELi2ELb1EEvPKcS1_S1_S1_S1_PKiPfP15HIP_vector_typeIfLj2EEffffjfiS5_IjLj3EEiiiiiiiiiiiliiliiiiil,"axG",@progbits,_ZL15flash_attn_tileILi128ELi128ELi32ELi2ELb1EEvPKcS1_S1_S1_S1_PKiPfP15HIP_vector_typeIfLj2EEffffjfiS5_IjLj3EEiiiiiiiiiiiliiliiiiil,comdat
.Lfunc_end80:
	.size	_ZL15flash_attn_tileILi128ELi128ELi32ELi2ELb1EEvPKcS1_S1_S1_S1_PKiPfP15HIP_vector_typeIfLj2EEffffjfiS5_IjLj3EEiiiiiiiiiiiliiliiiiil, .Lfunc_end80-_ZL15flash_attn_tileILi128ELi128ELi32ELi2ELb1EEvPKcS1_S1_S1_S1_PKiPfP15HIP_vector_typeIfLj2EEffffjfiS5_IjLj3EEiiiiiiiiiiiliiliiiiil
                                        ; -- End function
	.set _ZL15flash_attn_tileILi128ELi128ELi32ELi2ELb1EEvPKcS1_S1_S1_S1_PKiPfP15HIP_vector_typeIfLj2EEffffjfiS5_IjLj3EEiiiiiiiiiiiliiliiiiil.num_vgpr, 124
	.set _ZL15flash_attn_tileILi128ELi128ELi32ELi2ELb1EEvPKcS1_S1_S1_S1_PKiPfP15HIP_vector_typeIfLj2EEffffjfiS5_IjLj3EEiiiiiiiiiiiliiliiiiil.num_agpr, 0
	.set _ZL15flash_attn_tileILi128ELi128ELi32ELi2ELb1EEvPKcS1_S1_S1_S1_PKiPfP15HIP_vector_typeIfLj2EEffffjfiS5_IjLj3EEiiiiiiiiiiiliiliiiiil.numbered_sgpr, 43
	.set _ZL15flash_attn_tileILi128ELi128ELi32ELi2ELb1EEvPKcS1_S1_S1_S1_PKiPfP15HIP_vector_typeIfLj2EEffffjfiS5_IjLj3EEiiiiiiiiiiiliiliiiiil.num_named_barrier, 0
	.set _ZL15flash_attn_tileILi128ELi128ELi32ELi2ELb1EEvPKcS1_S1_S1_S1_PKiPfP15HIP_vector_typeIfLj2EEffffjfiS5_IjLj3EEiiiiiiiiiiiliiliiiiil.private_seg_size, 0
	.set _ZL15flash_attn_tileILi128ELi128ELi32ELi2ELb1EEvPKcS1_S1_S1_S1_PKiPfP15HIP_vector_typeIfLj2EEffffjfiS5_IjLj3EEiiiiiiiiiiiliiliiiiil.uses_vcc, 1
	.set _ZL15flash_attn_tileILi128ELi128ELi32ELi2ELb1EEvPKcS1_S1_S1_S1_PKiPfP15HIP_vector_typeIfLj2EEffffjfiS5_IjLj3EEiiiiiiiiiiiliiliiiiil.uses_flat_scratch, 0
	.set _ZL15flash_attn_tileILi128ELi128ELi32ELi2ELb1EEvPKcS1_S1_S1_S1_PKiPfP15HIP_vector_typeIfLj2EEffffjfiS5_IjLj3EEiiiiiiiiiiiliiliiiiil.has_dyn_sized_stack, 0
	.set _ZL15flash_attn_tileILi128ELi128ELi32ELi2ELb1EEvPKcS1_S1_S1_S1_PKiPfP15HIP_vector_typeIfLj2EEffffjfiS5_IjLj3EEiiiiiiiiiiiliiliiiiil.has_recursion, 0
	.set _ZL15flash_attn_tileILi128ELi128ELi32ELi2ELb1EEvPKcS1_S1_S1_S1_PKiPfP15HIP_vector_typeIfLj2EEffffjfiS5_IjLj3EEiiiiiiiiiiiliiliiiiil.has_indirect_call, 0
	.section	.AMDGPU.csdata,"",@progbits
; Kernel info:
; codeLenInByte = 48944
; TotalNumSgprs: 49
; NumVgprs: 124
; NumAgprs: 0
; TotalNumVgprs: 124
; ScratchSize: 0
; MemoryBound: 0
; FloatMode: 240
; IeeeMode: 1
; LDSByteSize: 29696 bytes/workgroup (compile time only)
; SGPRBlocks: 12
; VGPRBlocks: 15
; NumSGPRsForWavesPerEU: 102
; NumVGPRsForWavesPerEU: 124
; AccumOffset: 124
; Occupancy: 4
; WaveLimiterHint : 1
; COMPUTE_PGM_RSRC2:SCRATCH_EN: 0
; COMPUTE_PGM_RSRC2:USER_SGPR: 2
; COMPUTE_PGM_RSRC2:TRAP_HANDLER: 0
; COMPUTE_PGM_RSRC2:TGID_X_EN: 1
; COMPUTE_PGM_RSRC2:TGID_Y_EN: 1
; COMPUTE_PGM_RSRC2:TGID_Z_EN: 1
; COMPUTE_PGM_RSRC2:TIDIG_COMP_CNT: 1
; COMPUTE_PGM_RSRC3_GFX90A:ACCUM_OFFSET: 30
; COMPUTE_PGM_RSRC3_GFX90A:TG_SPLIT: 0
	.section	.text._ZL15flash_attn_tileILi128ELi128ELi16ELi2ELb1EEvPKcS1_S1_S1_S1_PKiPfP15HIP_vector_typeIfLj2EEffffjfiS5_IjLj3EEiiiiiiiiiiiliiliiiiil,"axG",@progbits,_ZL15flash_attn_tileILi128ELi128ELi16ELi2ELb1EEvPKcS1_S1_S1_S1_PKiPfP15HIP_vector_typeIfLj2EEffffjfiS5_IjLj3EEiiiiiiiiiiiliiliiiiil,comdat
	.globl	_ZL15flash_attn_tileILi128ELi128ELi16ELi2ELb1EEvPKcS1_S1_S1_S1_PKiPfP15HIP_vector_typeIfLj2EEffffjfiS5_IjLj3EEiiiiiiiiiiiliiliiiiil ; -- Begin function _ZL15flash_attn_tileILi128ELi128ELi16ELi2ELb1EEvPKcS1_S1_S1_S1_PKiPfP15HIP_vector_typeIfLj2EEffffjfiS5_IjLj3EEiiiiiiiiiiiliiliiiiil
	.p2align	8
	.type	_ZL15flash_attn_tileILi128ELi128ELi16ELi2ELb1EEvPKcS1_S1_S1_S1_PKiPfP15HIP_vector_typeIfLj2EEffffjfiS5_IjLj3EEiiiiiiiiiiiliiliiiiil,@function
_ZL15flash_attn_tileILi128ELi128ELi16ELi2ELb1EEvPKcS1_S1_S1_S1_PKiPfP15HIP_vector_typeIfLj2EEffffjfiS5_IjLj3EEiiiiiiiiiiiliiliiiiil: ; @_ZL15flash_attn_tileILi128ELi128ELi16ELi2ELb1EEvPKcS1_S1_S1_S1_PKiPfP15HIP_vector_typeIfLj2EEffffjfiS5_IjLj3EEiiiiiiiiiiiliiliiiiil
; %bb.0:
	s_load_dwordx4 s[20:23], s[0:1], 0x5c
	s_load_dwordx2 s[30:31], s[0:1], 0x80
	s_load_dwordx2 s[36:37], s[0:1], 0xb8
	s_mov_b64 s[34:35], 0
	s_waitcnt lgkmcnt(0)
	s_lshr_b32 s5, s23, 31
	s_add_i32 s5, s23, s5
	s_ashr_i32 s5, s5, 1
	v_cvt_f32_u32_e32 v1, s5
	s_sub_i32 s6, 0, s5
	v_rcp_iflag_f32_e32 v1, v1
	s_nop 0
	v_mul_f32_e32 v1, 0x4f7ffffe, v1
	v_cvt_u32_f32_e32 v1, v1
	s_nop 0
	v_readfirstlane_b32 s7, v1
	s_mul_i32 s6, s6, s7
	s_mul_hi_u32 s6, s7, s6
	s_add_i32 s7, s7, s6
	s_mul_hi_u32 s6, s4, s7
	s_mul_i32 s7, s6, s5
	s_sub_i32 s7, s4, s7
	s_add_i32 s8, s6, 1
	s_sub_i32 s9, s7, s5
	s_cmp_ge_u32 s7, s5
	s_cselect_b32 s6, s8, s6
	s_cselect_b32 s7, s9, s7
	s_add_i32 s8, s6, 1
	s_cmp_ge_u32 s7, s5
	s_cselect_b32 s33, s8, s6
	s_abs_i32 s5, s31
	v_cvt_f32_u32_e32 v1, s5
	s_lshl_b32 s4, s4, 1
	s_mul_i32 s8, s33, s23
	s_sub_i32 s9, 0, s5
	v_rcp_iflag_f32_e32 v1, v1
	s_sub_i32 s28, s4, s8
	s_abs_i32 s7, s23
	s_xor_b32 s6, s23, s31
	v_mul_f32_e32 v1, 0x4f7ffffe, v1
	v_cvt_u32_f32_e32 v1, v1
	s_ashr_i32 s6, s6, 31
	v_readfirstlane_b32 s4, v1
	s_mul_i32 s9, s9, s4
	s_mul_hi_u32 s8, s4, s9
	s_add_i32 s4, s4, s8
	s_mul_hi_u32 s4, s7, s4
	s_mul_i32 s8, s4, s5
	s_sub_i32 s7, s7, s8
	s_add_i32 s9, s4, 1
	s_sub_i32 s8, s7, s5
	s_cmp_ge_u32 s7, s5
	s_cselect_b32 s4, s9, s4
	s_cselect_b32 s7, s8, s7
	s_add_i32 s8, s4, 1
	s_cmp_ge_u32 s7, s5
	s_cselect_b32 s4, s8, s4
	s_xor_b32 s4, s4, s6
	s_sub_i32 s31, s4, s6
	s_abs_i32 s29, s31
	v_cvt_f32_u32_e32 v1, s29
	s_load_dwordx16 s[4:19], s[0:1], 0x0
	v_rcp_iflag_f32_e32 v1, v1
	s_waitcnt lgkmcnt(0)
	s_cmp_eq_u64 s[10:11], 0
	v_mul_f32_e32 v1, 0x4f7ffffe, v1
	v_cvt_u32_f32_e32 v1, v1
	s_nop 0
	v_readfirstlane_b32 s38, v1
	s_cbranch_scc1 .LBB81_2
; %bb.1:
	s_abs_i32 s26, s36
	v_cvt_f32_u32_e32 v1, s26
	s_sub_i32 s35, 0, s26
	s_abs_i32 s34, s33
	s_ashr_i32 s27, s33, 31
	v_rcp_iflag_f32_e32 v1, v1
	s_load_dwordx2 s[24:25], s[0:1], 0xc8
	v_mul_f32_e32 v1, 0x4f7ffffe, v1
	v_cvt_u32_f32_e32 v1, v1
	s_nop 0
	v_readfirstlane_b32 s36, v1
	s_mul_i32 s35, s35, s36
	s_mul_hi_u32 s35, s36, s35
	s_add_i32 s36, s36, s35
	s_mul_hi_u32 s35, s34, s36
	s_mul_i32 s35, s35, s26
	s_sub_i32 s34, s34, s35
	s_sub_i32 s35, s34, s26
	s_cmp_ge_u32 s34, s26
	s_cselect_b32 s34, s35, s34
	s_sub_i32 s35, s34, s26
	s_cmp_ge_u32 s34, s26
	s_cselect_b32 s26, s35, s34
	s_xor_b32 s26, s26, s27
	s_sub_i32 s26, s26, s27
	s_ashr_i32 s27, s26, 31
	s_waitcnt lgkmcnt(0)
	s_mul_hi_u32 s34, s24, s26
	s_mul_i32 s27, s24, s27
	s_mul_i32 s25, s25, s26
	s_add_i32 s27, s34, s27
	s_add_i32 s27, s27, s25
	s_mul_i32 s24, s24, s26
	s_add_u32 s34, s10, s24
	s_addc_u32 s35, s11, s27
.LBB81_2:
	s_load_dwordx4 s[24:27], s[0:1], 0x70
	v_bfe_u32 v1, v0, 10, 10
	s_lshl_b32 s10, s2, 4
	v_lshlrev_b32_e32 v30, 1, v1
	v_lshlrev_b32_e32 v2, 2, v1
	s_waitcnt lgkmcnt(0)
	s_mul_i32 s11, s33, s26
	s_ashr_i32 s27, s11, 31
	v_add_u32_e32 v33, s10, v30
	s_mul_i32 s26, s28, s25
	s_add_u32 s4, s4, s11
	v_and_b32_e32 v31, 0x3ff, v0
	v_mul_hi_u32 v0, v33, s20
	v_or_b32_e32 v22, 2, v2
	s_addc_u32 s5, s5, s27
	s_ashr_i32 s11, s26, 31
	v_add_u32_e32 v0, v33, v0
	v_lshrrev_b32_e32 v28, 1, v22
	s_add_u32 s26, s4, s26
	v_lshrrev_b32_e32 v0, s21, v0
	v_add_u32_e32 v29, s10, v28
	s_addc_u32 s27, s5, s11
	s_ashr_i32 s41, s24, 31
	s_mov_b32 s40, s24
	v_mul_lo_u32 v0, v0, s22
	v_mul_hi_u32 v3, v29, s20
	s_lshr_b64 s[4:5], s[40:41], 2
	v_sub_u32_e32 v0, v33, v0
	v_add_u32_e32 v3, v29, v3
	v_mad_u64_u32 v[4:5], s[42:43], s4, v0, 0
	v_lshrrev_b32_e32 v3, s21, v3
	v_mov_b32_e32 v6, v5
	s_lshr_b32 s36, s41, 2
	v_mul_lo_u32 v3, v3, s22
	s_ashr_i32 s11, s25, 31
	v_mad_u64_u32 v[6:7], s[40:41], s36, v0, v[6:7]
	s_and_b32 s5, s25, -4
	v_sub_u32_e32 v3, v29, v3
	v_or_b32_e32 v23, 3, v2
	v_mov_b32_e32 v5, v6
	s_add_u32 s24, s26, s5
	v_mad_u64_u32 v[12:13], s[40:41], s4, v3, 0
	v_lshrrev_b32_e32 v26, 1, v23
	v_lshlrev_b64 v[8:9], 2, v[4:5]
	s_addc_u32 s25, s27, s11
	v_mov_b32_e32 v14, v13
	v_add_u32_e32 v27, s10, v26
	v_lshl_add_u64 v[4:5], s[26:27], 0, v[8:9]
	v_lshlrev_b32_e32 v16, 4, v31
	v_mov_b32_e32 v17, 0
	v_lshl_add_u64 v[8:9], s[24:25], 0, v[8:9]
	v_mad_u64_u32 v[14:15], s[40:41], s36, v3, v[14:15]
	v_mul_hi_u32 v3, v27, s20
	v_lshl_add_u64 v[4:5], v[4:5], 0, v[16:17]
	v_lshl_add_u64 v[8:9], v[8:9], 0, v[16:17]
	v_add_u32_e32 v3, v27, v3
	global_load_dwordx4 v[4:7], v[4:5], off
	v_lshrrev_b32_e32 v3, s21, v3
	global_load_dwordx4 v[8:11], v[8:9], off
	v_mov_b32_e32 v13, v14
	v_mul_lo_u32 v3, v3, s22
	v_lshl_add_u64 v[12:13], v[12:13], 2, s[26:27]
	v_sub_u32_e32 v3, v27, v3
	v_lshl_add_u64 v[12:13], v[12:13], 0, v[16:17]
	v_mad_u64_u32 v[18:19], s[4:5], s4, v3, 0
	global_load_dwordx4 v[12:15], v[12:13], off
	v_mov_b32_e32 v20, v19
	v_mad_u64_u32 v[20:21], s[4:5], s36, v3, v[20:21]
	v_mov_b32_e32 v19, v20
	v_lshl_add_u64 v[18:19], v[18:19], 2, s[24:25]
	v_lshl_add_u64 v[16:17], v[18:19], 0, v[16:17]
	global_load_dwordx4 v[16:19], v[16:17], off
	s_load_dword s4, s[0:1], 0x40
	v_lshlrev_b32_e32 v34, 3, v31
	v_lshlrev_b32_e32 v3, 10, v1
	v_add_u32_e32 v20, 0x2400, v34
	v_add_u32_e32 v21, v20, v3
	s_cmp_eq_u64 s[14:15], 0
	s_waitcnt vmcnt(3) lgkmcnt(0)
	v_fma_mixlo_f16 v4, s4, v4, 0
	v_fma_mixlo_f16 v5, s4, v5, 0
	;; [unrolled: 1-line block ×4, first 2 shown]
	s_waitcnt vmcnt(2)
	v_fma_mixlo_f16 v8, s4, v8, 0
	v_fma_mixlo_f16 v9, s4, v9, 0
	;; [unrolled: 1-line block ×4, first 2 shown]
	v_lshlrev_b32_e32 v5, 16, v5
	v_and_b32_e32 v4, 0xffff, v4
	v_lshlrev_b32_e32 v7, 16, v7
	v_and_b32_e32 v6, 0xffff, v6
	;; [unrolled: 2-line block ×4, first 2 shown]
	v_or_b32_e32 v4, v5, v4
	v_or3_b32 v5, v7, v6, 0
	v_or_b32_e32 v6, v9, v8
	v_or3_b32 v7, v11, v10, 0
	v_or3_b32 v4, 0, 0, v4
	;; [unrolled: 1-line block ×3, first 2 shown]
	ds_write2_b64 v21, v[4:5], v[6:7] offset1:32
	s_waitcnt vmcnt(1)
	v_fma_mixlo_f16 v4, s4, v12, 0
	v_fma_mixlo_f16 v5, s4, v13, 0
	v_lshlrev_b32_e32 v5, 16, v5
	v_and_b32_e32 v4, 0xffff, v4
	v_or_b32_e32 v4, v5, v4
	v_fma_mixlo_f16 v5, s4, v14, 0
	v_fma_mixlo_f16 v6, s4, v15, 0
	v_lshlrev_b32_e32 v6, 16, v6
	v_and_b32_e32 v5, 0xffff, v5
	v_lshl_add_u32 v7, v22, 8, v20
	v_or3_b32 v5, v6, v5, 0
	v_or3_b32 v4, 0, 0, v4
	ds_write_b64 v7, v[4:5]
	s_waitcnt vmcnt(0)
	v_fma_mixlo_f16 v4, s4, v16, 0
	v_fma_mixlo_f16 v5, s4, v17, 0
	v_lshlrev_b32_e32 v5, 16, v5
	v_and_b32_e32 v4, 0xffff, v4
	v_or_b32_e32 v4, v5, v4
	v_fma_mixlo_f16 v5, s4, v18, 0
	v_fma_mixlo_f16 v6, s4, v19, 0
	v_lshlrev_b32_e32 v6, 16, v6
	v_and_b32_e32 v5, 0xffff, v5
	v_lshl_add_u32 v7, v23, 8, v20
	v_or3_b32 v5, v6, v5, 0
	v_or3_b32 v4, 0, 0, v4
	ds_write_b64 v7, v[4:5]
	s_waitcnt lgkmcnt(0)
	s_barrier
	s_cbranch_scc1 .LBB81_4
; %bb.3:
	s_load_dword s4, s[0:1], 0xd0
	s_mov_b32 s5, 0
	s_waitcnt lgkmcnt(0)
	s_mul_i32 s4, s4, s33
	s_add_i32 s4, s4, s2
	s_lshl_b64 s[4:5], s[4:5], 2
	s_add_u32 s4, s14, s4
	s_addc_u32 s5, s15, s5
	s_load_dword s30, s[4:5], 0x0
.LBB81_4:
	s_lshl_b32 s2, s3, 6
	s_waitcnt lgkmcnt(0)
	s_cmp_lt_i32 s2, s30
	v_mbcnt_lo_u32_b32 v4, -1, 0
	s_cbranch_scc1 .LBB81_29
; %bb.5:
	v_mbcnt_hi_u32_b32 v35, -1, v4
	v_and_b32_e32 v5, 0x60, v35
	v_add_u32_e32 v59, 32, v5
	v_xor_b32_e32 v62, 16, v35
	v_xor_b32_e32 v63, 8, v35
	;; [unrolled: 1-line block ×5, first 2 shown]
	v_lshlrev_b32_e32 v32, 2, v31
	s_cbranch_execz .LBB81_30
; %bb.6:
	v_mov_b32_e32 v5, 0
	v_mov_b32_e32 v52, 0
	;; [unrolled: 1-line block ×16, first 2 shown]
.LBB81_7:
	v_cmp_lt_i32_e32 vcc, v62, v59
	s_cmp_lg_u64 s[12:13], 0
	s_cselect_b64 s[4:5], -1, 0
	v_cndmask_b32_e32 v8, v35, v62, vcc
	v_cmp_lt_i32_e32 vcc, v63, v59
	v_lshlrev_b32_e32 v11, 2, v8
	ds_bpermute_b32 v9, v11, v7
	v_cndmask_b32_e32 v8, v35, v63, vcc
	v_cmp_lt_i32_e32 vcc, v64, v59
	v_lshlrev_b32_e32 v12, 2, v8
	ds_bpermute_b32 v10, v11, v4
	v_cndmask_b32_e32 v8, v35, v64, vcc
	v_lshlrev_b32_e32 v13, 2, v8
	ds_bpermute_b32 v8, v11, v6
	ds_bpermute_b32 v11, v11, v5
	v_cmp_lt_i32_e32 vcc, v61, v59
	s_cmp_eq_u32 s3, 0
	s_cselect_b64 s[6:7], -1, 0
	s_waitcnt lgkmcnt(1)
	v_pk_add_f32 v[6:7], v[6:7], v[8:9]
	s_waitcnt lgkmcnt(0)
	v_pk_add_f32 v[4:5], v[4:5], v[10:11]
	ds_bpermute_b32 v8, v12, v6
	ds_bpermute_b32 v9, v12, v7
	;; [unrolled: 1-line block ×4, first 2 shown]
	v_cndmask_b32_e32 v14, v35, v61, vcc
	v_lshlrev_b32_e32 v12, 2, v14
	s_waitcnt lgkmcnt(2)
	v_pk_add_f32 v[6:7], v[6:7], v[8:9]
	ds_bpermute_b32 v8, v13, v6
	s_waitcnt lgkmcnt(1)
	v_pk_add_f32 v[4:5], v[4:5], v[10:11]
	ds_bpermute_b32 v9, v13, v7
	ds_bpermute_b32 v10, v13, v4
	;; [unrolled: 1-line block ×3, first 2 shown]
	v_cmp_lt_i32_e32 vcc, v60, v59
	s_and_b64 s[4:5], s[6:7], s[4:5]
	s_waitcnt lgkmcnt(2)
	v_pk_add_f32 v[6:7], v[6:7], v[8:9]
	ds_bpermute_b32 v8, v12, v6
	s_waitcnt lgkmcnt(1)
	v_pk_add_f32 v[4:5], v[4:5], v[10:11]
	ds_bpermute_b32 v9, v12, v7
	ds_bpermute_b32 v10, v12, v4
	ds_bpermute_b32 v11, v12, v5
	v_cndmask_b32_e32 v13, v35, v60, vcc
	v_lshlrev_b32_e32 v12, 2, v13
	s_waitcnt lgkmcnt(2)
	v_pk_add_f32 v[6:7], v[6:7], v[8:9]
	ds_bpermute_b32 v8, v12, v6
	s_waitcnt lgkmcnt(1)
	v_pk_add_f32 v[4:5], v[4:5], v[10:11]
	ds_bpermute_b32 v9, v12, v7
	ds_bpermute_b32 v10, v12, v4
	;; [unrolled: 1-line block ×3, first 2 shown]
	s_and_b64 vcc, exec, s[4:5]
	s_waitcnt lgkmcnt(2)
	v_pk_add_f32 v[6:7], v[6:7], v[8:9]
	s_waitcnt lgkmcnt(0)
	v_pk_add_f32 v[4:5], v[4:5], v[10:11]
	s_cbranch_vccz .LBB81_9
; %bb.8:
	s_ashr_i32 s29, s28, 31
	s_lshl_b64 s[4:5], s[28:29], 2
	s_add_u32 s4, s12, s4
	s_addc_u32 s5, s13, s5
	v_mov_b32_e32 v8, 0
	global_load_dwordx2 v[12:13], v8, s[4:5]
	v_max_f32_e32 v8, v0, v0
	v_max_f32_e32 v9, v1, v1
	;; [unrolled: 1-line block ×3, first 2 shown]
	s_mov_b32 s5, 0x3fb8aa3b
	s_mov_b32 s2, 0xc2ce8ed0
	;; [unrolled: 1-line block ×3, first 2 shown]
	v_mov_b32_e32 v16, 0x7f800000
	s_waitcnt vmcnt(0)
	v_max_f32_e32 v11, v12, v12
	v_max_f32_e32 v8, v8, v11
	;; [unrolled: 1-line block ×3, first 2 shown]
	v_sub_f32_e32 v0, v0, v8
	v_max_f32_e32 v9, v9, v17
	v_max_f32_e32 v10, v10, v11
	v_sub_f32_e32 v11, v12, v8
	v_mul_f32_e32 v14, 0x3fb8aa3b, v0
	v_sub_f32_e32 v1, v1, v9
	v_mul_f32_e32 v18, 0x3fb8aa3b, v11
	v_fma_f32 v24, v0, s5, -v14
	v_rndne_f32_e32 v25, v14
	v_sub_f32_e32 v15, v13, v9
	v_mul_f32_e32 v19, 0x3fb8aa3b, v1
	v_fma_f32 v34, v11, s5, -v18
	v_rndne_f32_e32 v35, v18
	v_fmac_f32_e32 v24, 0x32a5705f, v0
	v_sub_f32_e32 v14, v14, v25
	v_sub_f32_e32 v2, v2, v10
	v_mul_f32_e32 v20, 0x3fb8aa3b, v15
	v_fma_f32 v36, v1, s5, -v19
	v_rndne_f32_e32 v37, v19
	v_fmac_f32_e32 v34, 0x32a5705f, v11
	v_sub_f32_e32 v18, v18, v35
	v_add_f32_e32 v14, v14, v24
	v_mul_f32_e32 v22, 0x3fb8aa3b, v2
	v_fma_f32 v38, v15, s5, -v20
	v_rndne_f32_e32 v39, v20
	v_cvt_i32_f32_e32 v25, v25
	v_fmac_f32_e32 v36, 0x32a5705f, v1
	v_sub_f32_e32 v19, v19, v37
	v_add_f32_e32 v18, v18, v34
	v_exp_f32_e32 v14, v14
	v_fma_f32 v40, v2, s5, -v22
	v_rndne_f32_e32 v41, v22
	v_cvt_i32_f32_e32 v35, v35
	v_fmac_f32_e32 v38, 0x32a5705f, v15
	v_sub_f32_e32 v20, v20, v39
	v_add_f32_e32 v19, v19, v36
	v_exp_f32_e32 v18, v18
	v_cvt_i32_f32_e32 v37, v37
	v_fmac_f32_e32 v40, 0x32a5705f, v2
	v_sub_f32_e32 v22, v22, v41
	v_add_f32_e32 v20, v20, v38
	v_exp_f32_e32 v19, v19
	v_cvt_i32_f32_e32 v39, v39
	v_add_f32_e32 v22, v22, v40
	v_exp_f32_e32 v20, v20
	v_cvt_i32_f32_e32 v41, v41
	v_exp_f32_e32 v22, v22
	v_ldexp_f32 v14, v14, v25
	v_cmp_ngt_f32_e32 vcc, s2, v0
	v_ldexp_f32 v18, v18, v35
	v_ldexp_f32 v19, v19, v37
	v_cndmask_b32_e32 v14, 0, v14, vcc
	v_cmp_ngt_f32_e32 vcc, s2, v11
	v_sub_f32_e32 v12, v12, v10
	v_ldexp_f32 v20, v20, v39
	v_cndmask_b32_e32 v18, 0, v18, vcc
	v_cmp_ngt_f32_e32 vcc, s2, v1
	v_mul_f32_e32 v23, 0x3fb8aa3b, v12
	v_ldexp_f32 v22, v22, v41
	v_cndmask_b32_e32 v19, 0, v19, vcc
	v_cmp_ngt_f32_e32 vcc, s2, v15
	v_fma_f32 v42, v12, s5, -v23
	v_rndne_f32_e32 v43, v23
	v_cndmask_b32_e32 v20, 0, v20, vcc
	v_cmp_ngt_f32_e32 vcc, s2, v2
	v_fmac_f32_e32 v42, 0x32a5705f, v12
	v_sub_f32_e32 v23, v23, v43
	v_cndmask_b32_e32 v22, 0, v22, vcc
	v_cmp_nlt_f32_e32 vcc, s4, v0
	v_add_f32_e32 v23, v23, v42
	v_cvt_i32_f32_e32 v43, v43
	v_cndmask_b32_e32 v0, v16, v14, vcc
	v_cmp_nlt_f32_e32 vcc, s4, v11
	v_cvt_f16_f32_e32 v11, v0
	v_exp_f32_e32 v23, v23
	v_cndmask_b32_e32 v14, v16, v18, vcc
	v_cmp_nlt_f32_e32 vcc, s4, v1
	v_mul_u32_u24_e32 v11, 0x10001, v11
	v_pk_mul_f16 v52, v52, v11
	v_cndmask_b32_e32 v1, v16, v19, vcc
	v_cmp_nlt_f32_e32 vcc, s4, v15
	v_pk_mul_f16 v21, v21, v11
	v_ldexp_f32 v11, v23, v43
	v_cndmask_b32_e32 v15, v16, v20, vcc
	v_cmp_nlt_f32_e32 vcc, s4, v2
	v_cvt_f16_f32_e32 v18, v1
	v_pk_fma_f32 v[6:7], v[6:7], v[0:1], v[14:15]
	v_cndmask_b32_e32 v2, v16, v22, vcc
	v_cmp_ngt_f32_e32 vcc, s2, v12
	v_mul_u32_u24_e32 v18, 0x10001, v18
	v_pk_mul_f16 v51, v51, v18
	v_cndmask_b32_e32 v11, 0, v11, vcc
	v_cmp_nlt_f32_e32 vcc, s4, v12
	v_pk_mul_f16 v53, v53, v18
	v_cvt_f16_f32_e32 v18, v2
	v_cndmask_b32_e32 v12, v16, v11, vcc
	v_max_f32_e32 v11, v3, v3
	v_max_f32_e32 v11, v11, v17
	v_sub_f32_e32 v3, v3, v11
	v_mul_f32_e32 v17, 0x3fb8aa3b, v3
	v_fma_f32 v19, v3, s5, -v17
	v_rndne_f32_e32 v20, v17
	v_fmac_f32_e32 v19, 0x32a5705f, v3
	v_sub_f32_e32 v17, v17, v20
	v_add_f32_e32 v17, v17, v19
	v_exp_f32_e32 v17, v17
	v_cvt_i32_f32_e32 v19, v20
	v_mul_u32_u24_e32 v18, 0x10001, v18
	v_sub_f32_e32 v13, v13, v11
	v_pk_mul_f16 v49, v49, v18
	v_pk_mul_f16 v50, v50, v18
	v_mul_f32_e32 v18, 0x3fb8aa3b, v13
	v_ldexp_f32 v17, v17, v19
	v_fma_f32 v19, v13, s5, -v18
	v_rndne_f32_e32 v20, v18
	v_fmac_f32_e32 v19, 0x32a5705f, v13
	v_sub_f32_e32 v18, v18, v20
	v_add_f32_e32 v18, v18, v19
	v_exp_f32_e32 v18, v18
	v_cvt_i32_f32_e32 v19, v20
	v_cmp_ngt_f32_e32 vcc, s2, v3
	s_nop 1
	v_cndmask_b32_e32 v17, 0, v17, vcc
	v_cmp_nlt_f32_e32 vcc, s4, v3
	s_nop 1
	v_cndmask_b32_e32 v3, v16, v17, vcc
	v_ldexp_f32 v17, v18, v19
	v_cvt_f16_f32_e32 v18, v3
	v_cmp_ngt_f32_e32 vcc, s2, v13
	s_nop 1
	v_cndmask_b32_e32 v17, 0, v17, vcc
	v_cmp_nlt_f32_e32 vcc, s4, v13
	s_nop 1
	v_cndmask_b32_e32 v13, v16, v17, vcc
	v_mul_u32_u24_e32 v16, 0x10001, v18
	v_pk_fma_f32 v[4:5], v[4:5], v[2:3], v[12:13]
	v_mov_b64_e32 v[0:1], v[8:9]
	v_pk_mul_f16 v48, v48, v16
	v_pk_mul_f16 v47, v47, v16
	v_mov_b64_e32 v[2:3], v[10:11]
.LBB81_9:
	v_cmp_gt_i32_e32 vcc, s22, v33
	s_and_saveexec_b64 s[4:5], vcc
	s_cbranch_execz .LBB81_28
; %bb.10:
	s_load_dword s2, s[0:1], 0xd4
	v_mov_b32_e32 v8, 1.0
	s_waitcnt lgkmcnt(0)
	s_cmp_lg_u32 s2, 1
	s_cselect_b64 s[0:1], -1, 0
	s_cmp_eq_u32 s2, 1
	s_cselect_b64 s[6:7], -1, 0
	s_and_b64 vcc, exec, s[0:1]
	s_cbranch_vccnz .LBB81_12
; %bb.11:
	v_div_scale_f32 v8, s[4:5], v6, v6, 1.0
	v_rcp_f32_e32 v9, v8
	v_div_scale_f32 v10, vcc, 1.0, v6, 1.0
	v_fma_f32 v11, -v8, v9, 1.0
	v_fmac_f32_e32 v9, v11, v9
	v_mul_f32_e32 v11, v10, v9
	v_fma_f32 v12, -v8, v11, v10
	v_fmac_f32_e32 v11, v12, v9
	v_fma_f32 v8, -v8, v11, v10
	v_div_fmas_f32 v8, v8, v9, v11
	v_div_fixup_f32 v8, v8, v6, 1.0
.LBB81_12:
	s_mul_i32 s8, s33, s22
	s_add_i32 s8, s8, s10
	v_add_u32_e32 v9, s8, v30
	v_mul_lo_u32 v9, v9, s23
	v_add_u32_e32 v10, s28, v9
	v_cvt_f32_f16_sdwa v15, v52 dst_sel:DWORD dst_unused:UNUSED_PAD src0_sel:WORD_1
	v_cvt_f32_f16_e32 v14, v52
	v_cvt_f32_f16_sdwa v17, v21 dst_sel:DWORD dst_unused:UNUSED_PAD src0_sel:WORD_1
	v_cvt_f32_f16_e32 v16, v21
	v_mul_lo_u32 v10, s2, v10
	v_add_u32_e32 v10, s3, v10
	v_cmp_eq_u32_e32 vcc, 0, v31
	v_lshl_add_u32 v12, v10, 7, v32
	v_mov_b32_e32 v13, 0
	v_lshl_add_u64 v[18:19], v[12:13], 2, s[16:17]
	v_pk_mul_f32 v[12:13], v[8:9], v[14:15] op_sel_hi:[0,1]
	v_pk_mul_f32 v[14:15], v[8:9], v[16:17] op_sel_hi:[0,1]
	s_and_b64 s[4:5], vcc, s[0:1]
	global_store_dwordx4 v[18:19], v[12:15], off
	s_and_saveexec_b64 s[0:1], s[4:5]
	s_cbranch_execz .LBB81_14
; %bb.13:
	v_ashrrev_i32_e32 v11, 31, v10
	v_lshl_add_u64 v[10:11], v[10:11], 3, s[18:19]
	v_mov_b32_e32 v12, v0
	v_mov_b32_e32 v13, v6
	global_store_dwordx2 v[10:11], v[12:13], off
.LBB81_14:
	s_or_b64 exec, exec, s[0:1]
	v_cndmask_b32_e64 v0, 0, 1, s[6:7]
	v_cmp_ne_u32_e64 s[0:1], 1, v0
	s_andn2_b64 vcc, exec, s[6:7]
	v_mov_b32_e32 v0, 1.0
	s_cbranch_vccnz .LBB81_16
; %bb.15:
	v_div_scale_f32 v0, s[6:7], v7, v7, 1.0
	v_rcp_f32_e32 v6, v0
	v_div_scale_f32 v8, vcc, 1.0, v7, 1.0
	v_fma_f32 v10, -v0, v6, 1.0
	v_fmac_f32_e32 v6, v10, v6
	v_mul_f32_e32 v10, v8, v6
	v_fma_f32 v11, -v0, v10, v8
	v_fmac_f32_e32 v10, v11, v6
	v_fma_f32 v0, -v0, v10, v8
	v_div_fmas_f32 v0, v0, v6, v10
	v_div_fixup_f32 v0, v0, v7, 1.0
.LBB81_16:
	s_add_i32 s9, s28, 1
	v_add_u32_e32 v6, s9, v9
	v_cvt_f32_f16_sdwa v13, v51 dst_sel:DWORD dst_unused:UNUSED_PAD src0_sel:WORD_1
	v_cvt_f32_f16_e32 v12, v51
	v_cvt_f32_f16_sdwa v15, v53 dst_sel:DWORD dst_unused:UNUSED_PAD src0_sel:WORD_1
	v_cvt_f32_f16_e32 v14, v53
	v_mul_lo_u32 v6, s2, v6
	v_add_u32_e32 v8, s3, v6
	v_lshl_add_u32 v10, v8, 7, v32
	v_mov_b32_e32 v11, 0
	v_lshl_add_u64 v[16:17], v[10:11], 2, s[16:17]
	v_pk_mul_f32 v[10:11], v[0:1], v[12:13] op_sel_hi:[0,1]
	v_pk_mul_f32 v[12:13], v[0:1], v[14:15] op_sel_hi:[0,1]
	global_store_dwordx4 v[16:17], v[10:13], off
	s_and_saveexec_b64 s[6:7], s[4:5]
	s_cbranch_execz .LBB81_18
; %bb.17:
	v_ashrrev_i32_e32 v9, 31, v8
	v_lshl_add_u64 v[8:9], v[8:9], 3, s[18:19]
	v_mov_b32_e32 v6, v1
	global_store_dwordx2 v[8:9], v[6:7], off
.LBB81_18:
	s_or_b64 exec, exec, s[6:7]
	v_cmp_gt_i32_e32 vcc, s22, v29
	s_and_b64 exec, exec, vcc
	s_cbranch_execz .LBB81_28
; %bb.19:
	s_and_b64 vcc, exec, s[0:1]
	v_mov_b32_e32 v6, 1.0
	s_cbranch_vccnz .LBB81_21
; %bb.20:
	v_div_scale_f32 v0, s[6:7], v4, v4, 1.0
	v_rcp_f32_e32 v1, v0
	v_div_scale_f32 v6, vcc, 1.0, v4, 1.0
	v_fma_f32 v7, -v0, v1, 1.0
	v_fmac_f32_e32 v1, v7, v1
	v_mul_f32_e32 v7, v6, v1
	v_fma_f32 v8, -v0, v7, v6
	v_fmac_f32_e32 v7, v8, v1
	v_fma_f32 v0, -v0, v7, v6
	v_div_fmas_f32 v0, v0, v1, v7
	v_div_fixup_f32 v6, v0, v4, 1.0
.LBB81_21:
	v_add_u32_e32 v0, s8, v28
	v_mul_lo_u32 v0, v0, s23
	v_add_u32_e32 v0, s28, v0
	v_cvt_f32_f16_sdwa v11, v49 dst_sel:DWORD dst_unused:UNUSED_PAD src0_sel:WORD_1
	v_cvt_f32_f16_e32 v10, v49
	v_cvt_f32_f16_sdwa v13, v50 dst_sel:DWORD dst_unused:UNUSED_PAD src0_sel:WORD_1
	v_cvt_f32_f16_e32 v12, v50
	v_mul_lo_u32 v0, s2, v0
	v_add_u32_e32 v0, s3, v0
	v_lshl_add_u32 v8, v0, 7, v32
	v_mov_b32_e32 v9, 0
	v_lshl_add_u64 v[14:15], v[8:9], 2, s[16:17]
	v_pk_mul_f32 v[8:9], v[6:7], v[10:11] op_sel_hi:[0,1]
	v_pk_mul_f32 v[10:11], v[6:7], v[12:13] op_sel_hi:[0,1]
	global_store_dwordx4 v[14:15], v[8:11], off
	s_and_saveexec_b64 s[6:7], s[4:5]
	s_cbranch_execz .LBB81_23
; %bb.22:
	v_ashrrev_i32_e32 v1, 31, v0
	v_lshl_add_u64 v[0:1], v[0:1], 3, s[18:19]
	v_mov_b32_e32 v6, v2
	v_mov_b32_e32 v7, v4
	global_store_dwordx2 v[0:1], v[6:7], off
.LBB81_23:
	s_or_b64 exec, exec, s[6:7]
	v_cmp_gt_i32_e32 vcc, s22, v27
	s_and_b64 exec, exec, vcc
	s_cbranch_execz .LBB81_28
; %bb.24:
	s_and_b64 vcc, exec, s[0:1]
	v_mov_b32_e32 v2, 1.0
	s_cbranch_vccnz .LBB81_26
; %bb.25:
	v_div_scale_f32 v0, s[0:1], v5, v5, 1.0
	v_rcp_f32_e32 v1, v0
	v_div_scale_f32 v2, vcc, 1.0, v5, 1.0
	v_fma_f32 v4, -v0, v1, 1.0
	v_fmac_f32_e32 v1, v4, v1
	v_mul_f32_e32 v4, v2, v1
	v_fma_f32 v6, -v0, v4, v2
	v_fmac_f32_e32 v4, v6, v1
	v_fma_f32 v0, -v0, v4, v2
	v_div_fmas_f32 v0, v0, v1, v4
	v_div_fixup_f32 v2, v0, v5, 1.0
.LBB81_26:
	v_add_u32_e32 v0, s8, v26
	v_mul_lo_u32 v0, v0, s23
	v_add_u32_e32 v0, s9, v0
	v_cvt_f32_f16_sdwa v9, v48 dst_sel:DWORD dst_unused:UNUSED_PAD src0_sel:WORD_1
	v_cvt_f32_f16_e32 v8, v48
	v_cvt_f32_f16_sdwa v11, v47 dst_sel:DWORD dst_unused:UNUSED_PAD src0_sel:WORD_1
	v_cvt_f32_f16_e32 v10, v47
	v_mul_lo_u32 v0, s2, v0
	v_add_u32_e32 v0, s3, v0
	v_lshl_add_u32 v6, v0, 7, v32
	v_mov_b32_e32 v7, 0
	v_lshl_add_u64 v[12:13], v[6:7], 2, s[16:17]
	v_pk_mul_f32 v[6:7], v[2:3], v[8:9] op_sel_hi:[0,1]
	v_pk_mul_f32 v[8:9], v[2:3], v[10:11] op_sel_hi:[0,1]
	global_store_dwordx4 v[12:13], v[6:9], off
	s_and_b64 exec, exec, s[4:5]
	s_cbranch_execz .LBB81_28
; %bb.27:
	v_ashrrev_i32_e32 v1, 31, v0
	v_lshl_add_u64 v[0:1], v[0:1], 3, s[18:19]
	v_mov_b32_e32 v4, v3
	global_store_dwordx2 v[0:1], v[4:5], off
.LBB81_28:
	s_endpgm
.LBB81_29:
                                        ; implicit-def: $vgpr35
                                        ; implicit-def: $vgpr59
                                        ; implicit-def: $vgpr62
                                        ; implicit-def: $vgpr63
                                        ; implicit-def: $vgpr64
                                        ; implicit-def: $vgpr61
                                        ; implicit-def: $vgpr60
	v_lshlrev_b32_e32 v32, 2, v31
.LBB81_30:
	s_sub_i32 s4, 0, s29
	s_mul_i32 s4, s4, s38
	s_mul_hi_u32 s4, s38, s4
	s_add_i32 s38, s38, s4
	s_load_dwordx4 s[24:27], s[0:1], 0x98
	s_load_dword s11, s[0:1], 0x54
	s_load_dwordx2 s[4:5], s[0:1], 0x8c
	s_abs_i32 s36, s28
	s_mul_hi_u32 s40, s36, s38
	s_waitcnt lgkmcnt(0)
	s_ashr_i32 s14, s26, 2
	s_ashr_i32 s26, s37, 1
	s_ashr_i32 s15, s4, 2
	s_ashr_i32 s4, s33, 31
	s_mul_hi_u32 s37, s24, s33
	s_mul_i32 s42, s24, s4
	s_add_i32 s37, s37, s42
	s_mul_i32 s25, s25, s33
	s_ashr_i32 s41, s28, 31
	s_ashr_i32 s31, s31, 31
	s_add_i32 s37, s37, s25
	s_mul_i32 s24, s24, s33
	s_add_u32 s6, s6, s24
	s_mul_i32 s25, s40, s29
	s_addc_u32 s7, s7, s37
	s_sub_i32 s25, s36, s25
	s_xor_b32 s24, s41, s31
	s_add_i32 s31, s40, 1
	s_sub_i32 s36, s25, s29
	s_cmp_ge_u32 s25, s29
	s_cselect_b32 s31, s31, s40
	s_cselect_b32 s25, s36, s25
	s_add_i32 s36, s31, 1
	s_cmp_ge_u32 s25, s29
	s_load_dwordx2 s[38:39], s[0:1], 0xa8
	s_cselect_b32 s25, s36, s31
	s_xor_b32 s25, s25, s24
	s_sub_i32 s29, s25, s24
	s_mul_i32 s5, s29, s5
	v_mul_lo_u32 v40, v0, s26
	v_add3_u32 v0, s10, v30, 1
	s_ashr_i32 s25, s5, 31
	v_add_u32_e32 v38, 0x2400, v3
	v_mul_hi_u32 v3, s20, v0
	s_add_u32 s24, s6, s5
	s_waitcnt lgkmcnt(0)
	s_mul_hi_u32 s5, s38, s33
	s_mul_i32 s4, s38, s4
	v_add_u32_e32 v3, v0, v3
	s_addc_u32 s25, s7, s25
	s_add_i32 s4, s5, s4
	s_mul_i32 s5, s39, s33
	v_lshrrev_b32_e32 v3, s21, v3
	s_add_i32 s4, s4, s5
	s_mul_i32 s5, s38, s33
	v_mul_lo_u32 v3, v3, s22
	s_add_u32 s5, s8, s5
	s_mul_i32 s29, s29, s27
	v_sub_u32_e32 v0, v0, v3
	s_addc_u32 s4, s9, s4
	s_ashr_i32 s6, s29, 31
	v_lshrrev_b32_e32 v5, 3, v31
	v_mul_lo_u32 v41, v0, s26
	v_mov_b32_e32 v0, 0x4400
	s_add_u32 s8, s5, s29
	v_add_u32_e32 v5, v5, v2
	v_and_b32_e32 v2, 28, v32
	v_lshl_add_u32 v42, v1, 9, v0
	v_lshrrev_b32_e32 v0, 4, v31
	s_addc_u32 s9, s4, s6
	v_lshlrev_b32_e32 v6, 2, v2
	s_movk_i32 s4, 0x90
	v_add_u32_e32 v1, v0, v30
	v_mad_u32_u24 v36, v5, s4, v6
	v_and_b32_e32 v0, 60, v32
	v_mul_lo_u32 v6, s14, v1
	v_mul_lo_u32 v10, s15, v5
	v_lshlrev_b32_e32 v3, 2, v0
	v_lshl_add_u32 v18, s14, 4, v6
	v_mov_b32_e32 v9, 0
	v_lshl_add_u32 v12, s15, 5, v10
	v_lshl_or_b32 v43, v1, 8, v3
	v_ashrrev_i32_e32 v7, 31, v6
	v_ashrrev_i32_e32 v19, 31, v18
	s_add_u32 s4, s0, 0xd0
	v_ashrrev_i32_e32 v11, 31, v10
	v_add_u32_e32 v37, 0x1200, v36
	v_ashrrev_i32_e32 v13, 31, v12
	v_mul_u32_u24_e32 v39, 0x90, v31
	v_add_u32_e32 v44, 0x1000, v43
	s_addc_u32 s5, s1, 0
	v_mov_b32_e32 v20, 0xfeffffff
	v_lshlrev_b32_e32 v14, 2, v2
	v_mov_b32_e32 v15, v9
	s_mov_b32 s20, 0x3f200000
	s_mov_b32 s21, 0x3fb8aa3b
	;; [unrolled: 1-line block ×4, first 2 shown]
	v_mov_b32_e32 v45, 0x3ca908c9
	s_brev_b32 s29, -2
	s_mov_b32 s31, 0x10001
	v_lshlrev_b64 v[16:17], 2, v[6:7]
	v_lshlrev_b32_e32 v8, 2, v0
	v_lshlrev_b64 v[18:19], 2, v[18:19]
	v_mov_b32_e32 v46, 0x7f800000
	v_mbcnt_hi_u32_b32 v35, -1, v4
	v_mov_b32_e32 v47, v9
	v_mov_b32_e32 v48, v9
	;; [unrolled: 1-line block ×15, first 2 shown]
                                        ; implicit-def: $vgpr1
                                        ; implicit-def: $vgpr1
	;; [unrolled: 1-line block ×3, first 2 shown]
.LBB81_31:                              ; =>This Inner Loop Header: Depth=1
	s_mul_hi_i32 s7, s2, s15
	s_mul_i32 s6, s2, s15
	s_lshl_b64 s[6:7], s[6:7], 2
	s_add_u32 s6, s24, s6
	s_addc_u32 s7, s25, s7
	v_lshl_add_u64 v[0:1], v[10:11], 2, s[6:7]
	v_lshl_add_u64 v[0:1], v[0:1], 0, v[14:15]
	;; [unrolled: 1-line block ×4, first 2 shown]
	global_load_dwordx4 v[62:65], v[0:1], off
	global_load_dwordx4 v[66:69], v[2:3], off
	v_mov_b32_e32 v59, 0
	v_mov_b32_e32 v57, 0
	;; [unrolled: 1-line block ×8, first 2 shown]
	s_waitcnt vmcnt(1)
	ds_write_b128 v36, v[62:65]
	s_waitcnt vmcnt(0)
	ds_write_b128 v37, v[66:69]
	s_waitcnt lgkmcnt(0)
	s_barrier
	ds_read_b128 v[62:65], v38
	ds_read_b128 v[66:69], v39
	ds_read_b128 v[70:73], v39 offset:4608
	ds_read_b128 v[74:77], v38 offset:256
	;; [unrolled: 1-line block ×4, first 2 shown]
	s_waitcnt lgkmcnt(4)
	;;#ASMSTART
	v_dot2_f32_f16 v59, v66, v62, v59
	;;#ASMEND
	s_nop 0
	;;#ASMSTART
	v_dot2_f32_f16 v59, v67, v63, v59
	;;#ASMEND
	s_nop 0
	;;#ASMSTART
	v_dot2_f32_f16 v59, v68, v64, v59
	;;#ASMEND
	s_nop 0
	;;#ASMSTART
	v_dot2_f32_f16 v59, v69, v65, v59
	;;#ASMEND
	s_waitcnt lgkmcnt(2)
	;;#ASMSTART
	v_dot2_f32_f16 v57, v66, v74, v57
	;;#ASMEND
	s_nop 0
	;;#ASMSTART
	v_dot2_f32_f16 v57, v67, v75, v57
	;;#ASMEND
	s_nop 0
	;;#ASMSTART
	v_dot2_f32_f16 v57, v68, v76, v57
	;;#ASMEND
	s_nop 0
	;;#ASMSTART
	v_dot2_f32_f16 v57, v69, v77, v57
	;;#ASMEND
	;; [unrolled: 16-line block ×4, first 2 shown]
	;;#ASMSTART
	v_dot2_f32_f16 v60, v70, v62, v60
	;;#ASMEND
	s_nop 0
	;;#ASMSTART
	v_dot2_f32_f16 v60, v71, v63, v60
	;;#ASMEND
	s_nop 0
	;;#ASMSTART
	v_dot2_f32_f16 v60, v72, v64, v60
	;;#ASMEND
	s_nop 0
	;;#ASMSTART
	v_dot2_f32_f16 v60, v73, v65, v60
	;;#ASMEND
	;;#ASMSTART
	v_dot2_f32_f16 v58, v70, v74, v58
	;;#ASMEND
	s_nop 0
	;;#ASMSTART
	v_dot2_f32_f16 v58, v71, v75, v58
	;;#ASMEND
	s_nop 0
	;;#ASMSTART
	v_dot2_f32_f16 v58, v72, v76, v58
	;;#ASMEND
	s_nop 0
	;;#ASMSTART
	v_dot2_f32_f16 v58, v73, v77, v58
	;;#ASMEND
	;; [unrolled: 15-line block ×4, first 2 shown]
	ds_read_b128 v[62:65], v38 offset:16
	ds_read_b128 v[66:69], v39 offset:16
	ds_read_b128 v[70:73], v39 offset:4624
	ds_read_b128 v[74:77], v38 offset:272
	ds_read_b128 v[78:81], v38 offset:528
	ds_read_b128 v[82:85], v38 offset:784
	s_waitcnt lgkmcnt(4)
	;;#ASMSTART
	v_dot2_f32_f16 v59, v66, v62, v59
	;;#ASMEND
	s_nop 0
	;;#ASMSTART
	v_dot2_f32_f16 v59, v67, v63, v59
	;;#ASMEND
	s_nop 0
	;;#ASMSTART
	v_dot2_f32_f16 v59, v68, v64, v59
	;;#ASMEND
	s_nop 0
	;;#ASMSTART
	v_dot2_f32_f16 v59, v69, v65, v59
	;;#ASMEND
	s_waitcnt lgkmcnt(2)
	;;#ASMSTART
	v_dot2_f32_f16 v57, v66, v74, v57
	;;#ASMEND
	s_nop 0
	;;#ASMSTART
	v_dot2_f32_f16 v57, v67, v75, v57
	;;#ASMEND
	s_nop 0
	;;#ASMSTART
	v_dot2_f32_f16 v57, v68, v76, v57
	;;#ASMEND
	s_nop 0
	;;#ASMSTART
	v_dot2_f32_f16 v57, v69, v77, v57
	;;#ASMEND
	;; [unrolled: 16-line block ×4, first 2 shown]
	;;#ASMSTART
	v_dot2_f32_f16 v60, v70, v62, v60
	;;#ASMEND
	s_nop 0
	;;#ASMSTART
	v_dot2_f32_f16 v60, v71, v63, v60
	;;#ASMEND
	s_nop 0
	;;#ASMSTART
	v_dot2_f32_f16 v60, v72, v64, v60
	;;#ASMEND
	s_nop 0
	;;#ASMSTART
	v_dot2_f32_f16 v60, v73, v65, v60
	;;#ASMEND
	;;#ASMSTART
	v_dot2_f32_f16 v58, v70, v74, v58
	;;#ASMEND
	s_nop 0
	;;#ASMSTART
	v_dot2_f32_f16 v58, v71, v75, v58
	;;#ASMEND
	s_nop 0
	;;#ASMSTART
	v_dot2_f32_f16 v58, v72, v76, v58
	;;#ASMEND
	s_nop 0
	;;#ASMSTART
	v_dot2_f32_f16 v58, v73, v77, v58
	;;#ASMEND
	;; [unrolled: 15-line block ×4, first 2 shown]
	ds_read_b128 v[62:65], v38 offset:32
	ds_read_b128 v[66:69], v39 offset:32
	;; [unrolled: 1-line block ×6, first 2 shown]
	s_waitcnt lgkmcnt(4)
	;;#ASMSTART
	v_dot2_f32_f16 v59, v66, v62, v59
	;;#ASMEND
	s_nop 0
	;;#ASMSTART
	v_dot2_f32_f16 v59, v67, v63, v59
	;;#ASMEND
	s_nop 0
	;;#ASMSTART
	v_dot2_f32_f16 v59, v68, v64, v59
	;;#ASMEND
	s_nop 0
	;;#ASMSTART
	v_dot2_f32_f16 v59, v69, v65, v59
	;;#ASMEND
	s_waitcnt lgkmcnt(2)
	;;#ASMSTART
	v_dot2_f32_f16 v57, v66, v74, v57
	;;#ASMEND
	s_nop 0
	;;#ASMSTART
	v_dot2_f32_f16 v57, v67, v75, v57
	;;#ASMEND
	s_nop 0
	;;#ASMSTART
	v_dot2_f32_f16 v57, v68, v76, v57
	;;#ASMEND
	s_nop 0
	;;#ASMSTART
	v_dot2_f32_f16 v57, v69, v77, v57
	;;#ASMEND
	;; [unrolled: 16-line block ×4, first 2 shown]
	;;#ASMSTART
	v_dot2_f32_f16 v60, v70, v62, v60
	;;#ASMEND
	s_nop 0
	;;#ASMSTART
	v_dot2_f32_f16 v60, v71, v63, v60
	;;#ASMEND
	s_nop 0
	;;#ASMSTART
	v_dot2_f32_f16 v60, v72, v64, v60
	;;#ASMEND
	s_nop 0
	;;#ASMSTART
	v_dot2_f32_f16 v60, v73, v65, v60
	;;#ASMEND
	;;#ASMSTART
	v_dot2_f32_f16 v58, v70, v74, v58
	;;#ASMEND
	s_nop 0
	;;#ASMSTART
	v_dot2_f32_f16 v58, v71, v75, v58
	;;#ASMEND
	s_nop 0
	;;#ASMSTART
	v_dot2_f32_f16 v58, v72, v76, v58
	;;#ASMEND
	s_nop 0
	;;#ASMSTART
	v_dot2_f32_f16 v58, v73, v77, v58
	;;#ASMEND
	;; [unrolled: 15-line block ×4, first 2 shown]
	ds_read_b128 v[62:65], v38 offset:48
	ds_read_b128 v[66:69], v39 offset:48
	;; [unrolled: 1-line block ×6, first 2 shown]
	s_waitcnt lgkmcnt(4)
	;;#ASMSTART
	v_dot2_f32_f16 v59, v66, v62, v59
	;;#ASMEND
	s_nop 0
	;;#ASMSTART
	v_dot2_f32_f16 v59, v67, v63, v59
	;;#ASMEND
	s_nop 0
	;;#ASMSTART
	v_dot2_f32_f16 v59, v68, v64, v59
	;;#ASMEND
	s_nop 0
	;;#ASMSTART
	v_dot2_f32_f16 v59, v69, v65, v59
	;;#ASMEND
	s_waitcnt lgkmcnt(2)
	;;#ASMSTART
	v_dot2_f32_f16 v57, v66, v74, v57
	;;#ASMEND
	s_nop 0
	;;#ASMSTART
	v_dot2_f32_f16 v57, v67, v75, v57
	;;#ASMEND
	s_nop 0
	;;#ASMSTART
	v_dot2_f32_f16 v57, v68, v76, v57
	;;#ASMEND
	s_nop 0
	;;#ASMSTART
	v_dot2_f32_f16 v57, v69, v77, v57
	;;#ASMEND
	;; [unrolled: 16-line block ×4, first 2 shown]
	;;#ASMSTART
	v_dot2_f32_f16 v60, v70, v62, v60
	;;#ASMEND
	s_nop 0
	;;#ASMSTART
	v_dot2_f32_f16 v60, v71, v63, v60
	;;#ASMEND
	s_nop 0
	;;#ASMSTART
	v_dot2_f32_f16 v60, v72, v64, v60
	;;#ASMEND
	s_nop 0
	;;#ASMSTART
	v_dot2_f32_f16 v60, v73, v65, v60
	;;#ASMEND
	;;#ASMSTART
	v_dot2_f32_f16 v58, v70, v74, v58
	;;#ASMEND
	s_nop 0
	;;#ASMSTART
	v_dot2_f32_f16 v58, v71, v75, v58
	;;#ASMEND
	s_nop 0
	;;#ASMSTART
	v_dot2_f32_f16 v58, v72, v76, v58
	;;#ASMEND
	s_nop 0
	;;#ASMSTART
	v_dot2_f32_f16 v58, v73, v77, v58
	;;#ASMEND
	;; [unrolled: 15-line block ×4, first 2 shown]
	ds_read_b128 v[62:65], v38 offset:64
	ds_read_b128 v[66:69], v39 offset:64
	;; [unrolled: 1-line block ×6, first 2 shown]
	s_waitcnt lgkmcnt(4)
	;;#ASMSTART
	v_dot2_f32_f16 v59, v66, v62, v59
	;;#ASMEND
	s_nop 0
	;;#ASMSTART
	v_dot2_f32_f16 v59, v67, v63, v59
	;;#ASMEND
	s_nop 0
	;;#ASMSTART
	v_dot2_f32_f16 v59, v68, v64, v59
	;;#ASMEND
	s_nop 0
	;;#ASMSTART
	v_dot2_f32_f16 v59, v69, v65, v59
	;;#ASMEND
	s_waitcnt lgkmcnt(2)
	;;#ASMSTART
	v_dot2_f32_f16 v57, v66, v74, v57
	;;#ASMEND
	s_nop 0
	;;#ASMSTART
	v_dot2_f32_f16 v57, v67, v75, v57
	;;#ASMEND
	s_nop 0
	;;#ASMSTART
	v_dot2_f32_f16 v57, v68, v76, v57
	;;#ASMEND
	s_nop 0
	;;#ASMSTART
	v_dot2_f32_f16 v57, v69, v77, v57
	;;#ASMEND
	;; [unrolled: 16-line block ×4, first 2 shown]
	;;#ASMSTART
	v_dot2_f32_f16 v60, v70, v62, v60
	;;#ASMEND
	s_nop 0
	;;#ASMSTART
	v_dot2_f32_f16 v60, v71, v63, v60
	;;#ASMEND
	s_nop 0
	;;#ASMSTART
	v_dot2_f32_f16 v60, v72, v64, v60
	;;#ASMEND
	s_nop 0
	;;#ASMSTART
	v_dot2_f32_f16 v60, v73, v65, v60
	;;#ASMEND
	;;#ASMSTART
	v_dot2_f32_f16 v58, v70, v74, v58
	;;#ASMEND
	s_nop 0
	;;#ASMSTART
	v_dot2_f32_f16 v58, v71, v75, v58
	;;#ASMEND
	s_nop 0
	;;#ASMSTART
	v_dot2_f32_f16 v58, v72, v76, v58
	;;#ASMEND
	s_nop 0
	;;#ASMSTART
	v_dot2_f32_f16 v58, v73, v77, v58
	;;#ASMEND
	;; [unrolled: 15-line block ×4, first 2 shown]
	ds_read_b128 v[62:65], v38 offset:80
	ds_read_b128 v[66:69], v39 offset:80
	;; [unrolled: 1-line block ×6, first 2 shown]
	s_waitcnt lgkmcnt(4)
	;;#ASMSTART
	v_dot2_f32_f16 v59, v66, v62, v59
	;;#ASMEND
	s_nop 0
	;;#ASMSTART
	v_dot2_f32_f16 v59, v67, v63, v59
	;;#ASMEND
	s_nop 0
	;;#ASMSTART
	v_dot2_f32_f16 v59, v68, v64, v59
	;;#ASMEND
	s_nop 0
	;;#ASMSTART
	v_dot2_f32_f16 v59, v69, v65, v59
	;;#ASMEND
	s_waitcnt lgkmcnt(2)
	;;#ASMSTART
	v_dot2_f32_f16 v57, v66, v74, v57
	;;#ASMEND
	s_nop 0
	;;#ASMSTART
	v_dot2_f32_f16 v57, v67, v75, v57
	;;#ASMEND
	s_nop 0
	;;#ASMSTART
	v_dot2_f32_f16 v57, v68, v76, v57
	;;#ASMEND
	s_nop 0
	;;#ASMSTART
	v_dot2_f32_f16 v57, v69, v77, v57
	;;#ASMEND
	;; [unrolled: 16-line block ×4, first 2 shown]
	;;#ASMSTART
	v_dot2_f32_f16 v60, v70, v62, v60
	;;#ASMEND
	s_nop 0
	;;#ASMSTART
	v_dot2_f32_f16 v60, v71, v63, v60
	;;#ASMEND
	s_nop 0
	;;#ASMSTART
	v_dot2_f32_f16 v60, v72, v64, v60
	;;#ASMEND
	s_nop 0
	;;#ASMSTART
	v_dot2_f32_f16 v60, v73, v65, v60
	;;#ASMEND
	;;#ASMSTART
	v_dot2_f32_f16 v58, v70, v74, v58
	;;#ASMEND
	s_nop 0
	;;#ASMSTART
	v_dot2_f32_f16 v58, v71, v75, v58
	;;#ASMEND
	s_nop 0
	;;#ASMSTART
	v_dot2_f32_f16 v58, v72, v76, v58
	;;#ASMEND
	s_nop 0
	;;#ASMSTART
	v_dot2_f32_f16 v58, v73, v77, v58
	;;#ASMEND
	;; [unrolled: 15-line block ×4, first 2 shown]
	ds_read_b128 v[62:65], v38 offset:96
	ds_read_b128 v[66:69], v39 offset:96
	;; [unrolled: 1-line block ×6, first 2 shown]
	s_waitcnt lgkmcnt(4)
	;;#ASMSTART
	v_dot2_f32_f16 v59, v66, v62, v59
	;;#ASMEND
	s_nop 0
	;;#ASMSTART
	v_dot2_f32_f16 v59, v67, v63, v59
	;;#ASMEND
	s_nop 0
	;;#ASMSTART
	v_dot2_f32_f16 v59, v68, v64, v59
	;;#ASMEND
	s_nop 0
	;;#ASMSTART
	v_dot2_f32_f16 v59, v69, v65, v59
	;;#ASMEND
	s_waitcnt lgkmcnt(2)
	;;#ASMSTART
	v_dot2_f32_f16 v57, v66, v74, v57
	;;#ASMEND
	s_nop 0
	;;#ASMSTART
	v_dot2_f32_f16 v57, v67, v75, v57
	;;#ASMEND
	s_nop 0
	;;#ASMSTART
	v_dot2_f32_f16 v57, v68, v76, v57
	;;#ASMEND
	s_nop 0
	;;#ASMSTART
	v_dot2_f32_f16 v57, v69, v77, v57
	;;#ASMEND
	;; [unrolled: 16-line block ×4, first 2 shown]
	;;#ASMSTART
	v_dot2_f32_f16 v60, v70, v62, v60
	;;#ASMEND
	s_nop 0
	;;#ASMSTART
	v_dot2_f32_f16 v60, v71, v63, v60
	;;#ASMEND
	s_nop 0
	;;#ASMSTART
	v_dot2_f32_f16 v60, v72, v64, v60
	;;#ASMEND
	s_nop 0
	;;#ASMSTART
	v_dot2_f32_f16 v60, v73, v65, v60
	;;#ASMEND
	;;#ASMSTART
	v_dot2_f32_f16 v58, v70, v74, v58
	;;#ASMEND
	s_nop 0
	;;#ASMSTART
	v_dot2_f32_f16 v58, v71, v75, v58
	;;#ASMEND
	s_nop 0
	;;#ASMSTART
	v_dot2_f32_f16 v58, v72, v76, v58
	;;#ASMEND
	s_nop 0
	;;#ASMSTART
	v_dot2_f32_f16 v58, v73, v77, v58
	;;#ASMEND
	;; [unrolled: 15-line block ×4, first 2 shown]
	ds_read_b128 v[62:65], v38 offset:112
	ds_read_b128 v[66:69], v39 offset:112
	ds_read_b128 v[70:73], v39 offset:4720
	ds_read_b128 v[74:77], v38 offset:368
	ds_read_b128 v[78:81], v38 offset:624
	ds_read_b128 v[82:85], v38 offset:880
	s_waitcnt lgkmcnt(4)
	;;#ASMSTART
	v_dot2_f32_f16 v59, v66, v62, v59
	;;#ASMEND
	s_nop 0
	;;#ASMSTART
	v_dot2_f32_f16 v59, v67, v63, v59
	;;#ASMEND
	s_nop 0
	;;#ASMSTART
	v_dot2_f32_f16 v59, v68, v64, v59
	;;#ASMEND
	s_nop 0
	;;#ASMSTART
	v_dot2_f32_f16 v59, v69, v65, v59
	;;#ASMEND
	s_waitcnt lgkmcnt(2)
	;;#ASMSTART
	v_dot2_f32_f16 v57, v66, v74, v57
	;;#ASMEND
	s_nop 0
	;;#ASMSTART
	v_dot2_f32_f16 v57, v67, v75, v57
	;;#ASMEND
	s_nop 0
	;;#ASMSTART
	v_dot2_f32_f16 v57, v68, v76, v57
	;;#ASMEND
	s_nop 0
	;;#ASMSTART
	v_dot2_f32_f16 v57, v69, v77, v57
	;;#ASMEND
	;; [unrolled: 16-line block ×4, first 2 shown]
	;;#ASMSTART
	v_dot2_f32_f16 v60, v70, v62, v60
	;;#ASMEND
	s_nop 0
	;;#ASMSTART
	v_dot2_f32_f16 v60, v71, v63, v60
	;;#ASMEND
	s_nop 0
	;;#ASMSTART
	v_dot2_f32_f16 v60, v72, v64, v60
	;;#ASMEND
	s_nop 0
	;;#ASMSTART
	v_dot2_f32_f16 v60, v73, v65, v60
	;;#ASMEND
	;;#ASMSTART
	v_dot2_f32_f16 v58, v70, v74, v58
	;;#ASMEND
	s_nop 0
	;;#ASMSTART
	v_dot2_f32_f16 v58, v71, v75, v58
	;;#ASMEND
	s_nop 0
	;;#ASMSTART
	v_dot2_f32_f16 v58, v72, v76, v58
	;;#ASMEND
	s_nop 0
	;;#ASMSTART
	v_dot2_f32_f16 v58, v73, v77, v58
	;;#ASMEND
	;; [unrolled: 15-line block ×4, first 2 shown]
	s_barrier
	global_load_dwordx4 v[62:65], v[0:1], off offset:128
	global_load_dwordx4 v[66:69], v[2:3], off offset:128
	s_waitcnt vmcnt(1)
	ds_write_b128 v36, v[62:65]
	s_waitcnt vmcnt(0)
	ds_write_b128 v37, v[66:69]
	s_waitcnt lgkmcnt(0)
	s_barrier
	ds_read_b128 v[0:3], v38 offset:128
	ds_read_b128 v[62:65], v39
	ds_read_b128 v[66:69], v39 offset:4608
	ds_read_b128 v[70:73], v38 offset:384
	;; [unrolled: 1-line block ×4, first 2 shown]
	s_waitcnt lgkmcnt(4)
	;;#ASMSTART
	v_dot2_f32_f16 v59, v62, v0, v59
	;;#ASMEND
	s_nop 0
	;;#ASMSTART
	v_dot2_f32_f16 v59, v63, v1, v59
	;;#ASMEND
	s_nop 0
	;;#ASMSTART
	v_dot2_f32_f16 v59, v64, v2, v59
	;;#ASMEND
	s_nop 0
	;;#ASMSTART
	v_dot2_f32_f16 v59, v65, v3, v59
	;;#ASMEND
	s_waitcnt lgkmcnt(2)
	;;#ASMSTART
	v_dot2_f32_f16 v57, v62, v70, v57
	;;#ASMEND
	s_nop 0
	;;#ASMSTART
	v_dot2_f32_f16 v57, v63, v71, v57
	;;#ASMEND
	s_nop 0
	;;#ASMSTART
	v_dot2_f32_f16 v57, v64, v72, v57
	;;#ASMEND
	s_nop 0
	;;#ASMSTART
	v_dot2_f32_f16 v57, v65, v73, v57
	;;#ASMEND
	;; [unrolled: 16-line block ×4, first 2 shown]
	;;#ASMSTART
	v_dot2_f32_f16 v60, v66, v0, v60
	;;#ASMEND
	s_nop 0
	;;#ASMSTART
	v_dot2_f32_f16 v60, v67, v1, v60
	;;#ASMEND
	s_nop 0
	;;#ASMSTART
	v_dot2_f32_f16 v60, v68, v2, v60
	;;#ASMEND
	s_nop 0
	;;#ASMSTART
	v_dot2_f32_f16 v60, v69, v3, v60
	;;#ASMEND
	;;#ASMSTART
	v_dot2_f32_f16 v58, v66, v70, v58
	;;#ASMEND
	s_nop 0
	;;#ASMSTART
	v_dot2_f32_f16 v58, v67, v71, v58
	;;#ASMEND
	s_nop 0
	;;#ASMSTART
	v_dot2_f32_f16 v58, v68, v72, v58
	;;#ASMEND
	s_nop 0
	;;#ASMSTART
	v_dot2_f32_f16 v58, v69, v73, v58
	;;#ASMEND
	;;#ASMSTART
	v_dot2_f32_f16 v56, v66, v74, v56
	;;#ASMEND
	s_nop 0
	;;#ASMSTART
	v_dot2_f32_f16 v56, v67, v75, v56
	;;#ASMEND
	s_nop 0
	;;#ASMSTART
	v_dot2_f32_f16 v56, v68, v76, v56
	;;#ASMEND
	s_nop 0
	;;#ASMSTART
	v_dot2_f32_f16 v56, v69, v77, v56
	;;#ASMEND
	;;#ASMSTART
	v_dot2_f32_f16 v24, v66, v78, v24
	;;#ASMEND
	s_nop 0
	;;#ASMSTART
	v_dot2_f32_f16 v24, v67, v79, v24
	;;#ASMEND
	s_nop 0
	;;#ASMSTART
	v_dot2_f32_f16 v24, v68, v80, v24
	;;#ASMEND
	s_nop 0
	;;#ASMSTART
	v_dot2_f32_f16 v24, v69, v81, v24
	;;#ASMEND
	ds_read_b128 v[0:3], v38 offset:144
	ds_read_b128 v[62:65], v39 offset:16
	;; [unrolled: 1-line block ×6, first 2 shown]
	s_waitcnt lgkmcnt(4)
	;;#ASMSTART
	v_dot2_f32_f16 v59, v62, v0, v59
	;;#ASMEND
	s_nop 0
	;;#ASMSTART
	v_dot2_f32_f16 v59, v63, v1, v59
	;;#ASMEND
	s_nop 0
	;;#ASMSTART
	v_dot2_f32_f16 v59, v64, v2, v59
	;;#ASMEND
	s_nop 0
	;;#ASMSTART
	v_dot2_f32_f16 v59, v65, v3, v59
	;;#ASMEND
	s_waitcnt lgkmcnt(2)
	;;#ASMSTART
	v_dot2_f32_f16 v57, v62, v70, v57
	;;#ASMEND
	s_nop 0
	;;#ASMSTART
	v_dot2_f32_f16 v57, v63, v71, v57
	;;#ASMEND
	s_nop 0
	;;#ASMSTART
	v_dot2_f32_f16 v57, v64, v72, v57
	;;#ASMEND
	s_nop 0
	;;#ASMSTART
	v_dot2_f32_f16 v57, v65, v73, v57
	;;#ASMEND
	;; [unrolled: 16-line block ×4, first 2 shown]
	;;#ASMSTART
	v_dot2_f32_f16 v60, v66, v0, v60
	;;#ASMEND
	s_nop 0
	;;#ASMSTART
	v_dot2_f32_f16 v60, v67, v1, v60
	;;#ASMEND
	s_nop 0
	;;#ASMSTART
	v_dot2_f32_f16 v60, v68, v2, v60
	;;#ASMEND
	s_nop 0
	;;#ASMSTART
	v_dot2_f32_f16 v60, v69, v3, v60
	;;#ASMEND
	;;#ASMSTART
	v_dot2_f32_f16 v58, v66, v70, v58
	;;#ASMEND
	s_nop 0
	;;#ASMSTART
	v_dot2_f32_f16 v58, v67, v71, v58
	;;#ASMEND
	s_nop 0
	;;#ASMSTART
	v_dot2_f32_f16 v58, v68, v72, v58
	;;#ASMEND
	s_nop 0
	;;#ASMSTART
	v_dot2_f32_f16 v58, v69, v73, v58
	;;#ASMEND
	;; [unrolled: 15-line block ×4, first 2 shown]
	ds_read_b128 v[0:3], v38 offset:160
	ds_read_b128 v[62:65], v39 offset:32
	;; [unrolled: 1-line block ×6, first 2 shown]
	s_waitcnt lgkmcnt(4)
	;;#ASMSTART
	v_dot2_f32_f16 v59, v62, v0, v59
	;;#ASMEND
	s_nop 0
	;;#ASMSTART
	v_dot2_f32_f16 v59, v63, v1, v59
	;;#ASMEND
	s_nop 0
	;;#ASMSTART
	v_dot2_f32_f16 v59, v64, v2, v59
	;;#ASMEND
	s_nop 0
	;;#ASMSTART
	v_dot2_f32_f16 v59, v65, v3, v59
	;;#ASMEND
	s_waitcnt lgkmcnt(2)
	;;#ASMSTART
	v_dot2_f32_f16 v57, v62, v70, v57
	;;#ASMEND
	s_nop 0
	;;#ASMSTART
	v_dot2_f32_f16 v57, v63, v71, v57
	;;#ASMEND
	s_nop 0
	;;#ASMSTART
	v_dot2_f32_f16 v57, v64, v72, v57
	;;#ASMEND
	s_nop 0
	;;#ASMSTART
	v_dot2_f32_f16 v57, v65, v73, v57
	;;#ASMEND
	;; [unrolled: 16-line block ×4, first 2 shown]
	;;#ASMSTART
	v_dot2_f32_f16 v60, v66, v0, v60
	;;#ASMEND
	s_nop 0
	;;#ASMSTART
	v_dot2_f32_f16 v60, v67, v1, v60
	;;#ASMEND
	s_nop 0
	;;#ASMSTART
	v_dot2_f32_f16 v60, v68, v2, v60
	;;#ASMEND
	s_nop 0
	;;#ASMSTART
	v_dot2_f32_f16 v60, v69, v3, v60
	;;#ASMEND
	;;#ASMSTART
	v_dot2_f32_f16 v58, v66, v70, v58
	;;#ASMEND
	s_nop 0
	;;#ASMSTART
	v_dot2_f32_f16 v58, v67, v71, v58
	;;#ASMEND
	s_nop 0
	;;#ASMSTART
	v_dot2_f32_f16 v58, v68, v72, v58
	;;#ASMEND
	s_nop 0
	;;#ASMSTART
	v_dot2_f32_f16 v58, v69, v73, v58
	;;#ASMEND
	;; [unrolled: 15-line block ×4, first 2 shown]
	ds_read_b128 v[0:3], v38 offset:176
	ds_read_b128 v[62:65], v39 offset:48
	;; [unrolled: 1-line block ×6, first 2 shown]
	s_waitcnt lgkmcnt(4)
	;;#ASMSTART
	v_dot2_f32_f16 v59, v62, v0, v59
	;;#ASMEND
	s_nop 0
	;;#ASMSTART
	v_dot2_f32_f16 v59, v63, v1, v59
	;;#ASMEND
	s_nop 0
	;;#ASMSTART
	v_dot2_f32_f16 v59, v64, v2, v59
	;;#ASMEND
	s_nop 0
	;;#ASMSTART
	v_dot2_f32_f16 v59, v65, v3, v59
	;;#ASMEND
	s_waitcnt lgkmcnt(2)
	;;#ASMSTART
	v_dot2_f32_f16 v57, v62, v70, v57
	;;#ASMEND
	s_nop 0
	;;#ASMSTART
	v_dot2_f32_f16 v57, v63, v71, v57
	;;#ASMEND
	s_nop 0
	;;#ASMSTART
	v_dot2_f32_f16 v57, v64, v72, v57
	;;#ASMEND
	s_nop 0
	;;#ASMSTART
	v_dot2_f32_f16 v57, v65, v73, v57
	;;#ASMEND
	;; [unrolled: 16-line block ×4, first 2 shown]
	;;#ASMSTART
	v_dot2_f32_f16 v60, v66, v0, v60
	;;#ASMEND
	s_nop 0
	;;#ASMSTART
	v_dot2_f32_f16 v60, v67, v1, v60
	;;#ASMEND
	s_nop 0
	;;#ASMSTART
	v_dot2_f32_f16 v60, v68, v2, v60
	;;#ASMEND
	s_nop 0
	;;#ASMSTART
	v_dot2_f32_f16 v60, v69, v3, v60
	;;#ASMEND
	;;#ASMSTART
	v_dot2_f32_f16 v58, v66, v70, v58
	;;#ASMEND
	s_nop 0
	;;#ASMSTART
	v_dot2_f32_f16 v58, v67, v71, v58
	;;#ASMEND
	s_nop 0
	;;#ASMSTART
	v_dot2_f32_f16 v58, v68, v72, v58
	;;#ASMEND
	s_nop 0
	;;#ASMSTART
	v_dot2_f32_f16 v58, v69, v73, v58
	;;#ASMEND
	;; [unrolled: 15-line block ×4, first 2 shown]
	ds_read_b128 v[0:3], v38 offset:192
	ds_read_b128 v[62:65], v39 offset:64
	;; [unrolled: 1-line block ×6, first 2 shown]
	s_waitcnt lgkmcnt(4)
	;;#ASMSTART
	v_dot2_f32_f16 v59, v62, v0, v59
	;;#ASMEND
	s_nop 0
	;;#ASMSTART
	v_dot2_f32_f16 v59, v63, v1, v59
	;;#ASMEND
	s_nop 0
	;;#ASMSTART
	v_dot2_f32_f16 v59, v64, v2, v59
	;;#ASMEND
	s_nop 0
	;;#ASMSTART
	v_dot2_f32_f16 v59, v65, v3, v59
	;;#ASMEND
	s_waitcnt lgkmcnt(2)
	;;#ASMSTART
	v_dot2_f32_f16 v57, v62, v70, v57
	;;#ASMEND
	s_nop 0
	;;#ASMSTART
	v_dot2_f32_f16 v57, v63, v71, v57
	;;#ASMEND
	s_nop 0
	;;#ASMSTART
	v_dot2_f32_f16 v57, v64, v72, v57
	;;#ASMEND
	s_nop 0
	;;#ASMSTART
	v_dot2_f32_f16 v57, v65, v73, v57
	;;#ASMEND
	;; [unrolled: 16-line block ×4, first 2 shown]
	;;#ASMSTART
	v_dot2_f32_f16 v60, v66, v0, v60
	;;#ASMEND
	s_nop 0
	;;#ASMSTART
	v_dot2_f32_f16 v60, v67, v1, v60
	;;#ASMEND
	s_nop 0
	;;#ASMSTART
	v_dot2_f32_f16 v60, v68, v2, v60
	;;#ASMEND
	s_nop 0
	;;#ASMSTART
	v_dot2_f32_f16 v60, v69, v3, v60
	;;#ASMEND
	;;#ASMSTART
	v_dot2_f32_f16 v58, v66, v70, v58
	;;#ASMEND
	s_nop 0
	;;#ASMSTART
	v_dot2_f32_f16 v58, v67, v71, v58
	;;#ASMEND
	s_nop 0
	;;#ASMSTART
	v_dot2_f32_f16 v58, v68, v72, v58
	;;#ASMEND
	s_nop 0
	;;#ASMSTART
	v_dot2_f32_f16 v58, v69, v73, v58
	;;#ASMEND
	;; [unrolled: 15-line block ×4, first 2 shown]
	ds_read_b128 v[0:3], v38 offset:208
	ds_read_b128 v[62:65], v39 offset:80
	;; [unrolled: 1-line block ×6, first 2 shown]
	s_waitcnt lgkmcnt(4)
	;;#ASMSTART
	v_dot2_f32_f16 v59, v62, v0, v59
	;;#ASMEND
	s_nop 0
	;;#ASMSTART
	v_dot2_f32_f16 v59, v63, v1, v59
	;;#ASMEND
	s_nop 0
	;;#ASMSTART
	v_dot2_f32_f16 v59, v64, v2, v59
	;;#ASMEND
	s_nop 0
	;;#ASMSTART
	v_dot2_f32_f16 v59, v65, v3, v59
	;;#ASMEND
	s_waitcnt lgkmcnt(2)
	;;#ASMSTART
	v_dot2_f32_f16 v57, v62, v70, v57
	;;#ASMEND
	s_nop 0
	;;#ASMSTART
	v_dot2_f32_f16 v57, v63, v71, v57
	;;#ASMEND
	s_nop 0
	;;#ASMSTART
	v_dot2_f32_f16 v57, v64, v72, v57
	;;#ASMEND
	s_nop 0
	;;#ASMSTART
	v_dot2_f32_f16 v57, v65, v73, v57
	;;#ASMEND
	;; [unrolled: 16-line block ×4, first 2 shown]
	;;#ASMSTART
	v_dot2_f32_f16 v60, v66, v0, v60
	;;#ASMEND
	s_nop 0
	;;#ASMSTART
	v_dot2_f32_f16 v60, v67, v1, v60
	;;#ASMEND
	s_nop 0
	;;#ASMSTART
	v_dot2_f32_f16 v60, v68, v2, v60
	;;#ASMEND
	s_nop 0
	;;#ASMSTART
	v_dot2_f32_f16 v60, v69, v3, v60
	;;#ASMEND
	;;#ASMSTART
	v_dot2_f32_f16 v58, v66, v70, v58
	;;#ASMEND
	s_nop 0
	;;#ASMSTART
	v_dot2_f32_f16 v58, v67, v71, v58
	;;#ASMEND
	s_nop 0
	;;#ASMSTART
	v_dot2_f32_f16 v58, v68, v72, v58
	;;#ASMEND
	s_nop 0
	;;#ASMSTART
	v_dot2_f32_f16 v58, v69, v73, v58
	;;#ASMEND
	;; [unrolled: 15-line block ×4, first 2 shown]
	ds_read_b128 v[0:3], v38 offset:224
	ds_read_b128 v[62:65], v39 offset:96
	;; [unrolled: 1-line block ×6, first 2 shown]
	s_waitcnt lgkmcnt(4)
	;;#ASMSTART
	v_dot2_f32_f16 v59, v62, v0, v59
	;;#ASMEND
	s_nop 0
	;;#ASMSTART
	v_dot2_f32_f16 v59, v63, v1, v59
	;;#ASMEND
	s_nop 0
	;;#ASMSTART
	v_dot2_f32_f16 v59, v64, v2, v59
	;;#ASMEND
	s_nop 0
	;;#ASMSTART
	v_dot2_f32_f16 v59, v65, v3, v59
	;;#ASMEND
	s_waitcnt lgkmcnt(2)
	;;#ASMSTART
	v_dot2_f32_f16 v57, v62, v70, v57
	;;#ASMEND
	s_nop 0
	;;#ASMSTART
	v_dot2_f32_f16 v57, v63, v71, v57
	;;#ASMEND
	s_nop 0
	;;#ASMSTART
	v_dot2_f32_f16 v57, v64, v72, v57
	;;#ASMEND
	s_nop 0
	;;#ASMSTART
	v_dot2_f32_f16 v57, v65, v73, v57
	;;#ASMEND
	;; [unrolled: 16-line block ×4, first 2 shown]
	;;#ASMSTART
	v_dot2_f32_f16 v60, v66, v0, v60
	;;#ASMEND
	s_nop 0
	;;#ASMSTART
	v_dot2_f32_f16 v60, v67, v1, v60
	;;#ASMEND
	s_nop 0
	;;#ASMSTART
	v_dot2_f32_f16 v60, v68, v2, v60
	;;#ASMEND
	s_nop 0
	;;#ASMSTART
	v_dot2_f32_f16 v60, v69, v3, v60
	;;#ASMEND
	;;#ASMSTART
	v_dot2_f32_f16 v58, v66, v70, v58
	;;#ASMEND
	s_nop 0
	;;#ASMSTART
	v_dot2_f32_f16 v58, v67, v71, v58
	;;#ASMEND
	s_nop 0
	;;#ASMSTART
	v_dot2_f32_f16 v58, v68, v72, v58
	;;#ASMEND
	s_nop 0
	;;#ASMSTART
	v_dot2_f32_f16 v58, v69, v73, v58
	;;#ASMEND
	;; [unrolled: 15-line block ×4, first 2 shown]
	ds_read_b128 v[0:3], v38 offset:240
	ds_read_b128 v[62:65], v39 offset:112
	ds_read_b128 v[66:69], v39 offset:4720
	ds_read_b128 v[70:73], v38 offset:496
	ds_read_b128 v[74:77], v38 offset:752
	ds_read_b128 v[78:81], v38 offset:1008
	s_waitcnt lgkmcnt(4)
	;;#ASMSTART
	v_dot2_f32_f16 v59, v62, v0, v59
	;;#ASMEND
	s_nop 0
	;;#ASMSTART
	v_dot2_f32_f16 v59, v63, v1, v59
	;;#ASMEND
	s_nop 0
	;; [unrolled: 4-line block ×3, first 2 shown]
	;;#ASMSTART
	v_dot2_f32_f16 v59, v65, v3, v59
	;;#ASMEND
	s_waitcnt lgkmcnt(2)
	;;#ASMSTART
	v_dot2_f32_f16 v57, v62, v70, v57
	;;#ASMEND
	s_nop 0
	;;#ASMSTART
	v_dot2_f32_f16 v57, v63, v71, v57
	;;#ASMEND
	v_cmp_nlt_f32_e64 s[6:7], |v59|, s20
	;;#ASMSTART
	v_dot2_f32_f16 v57, v64, v72, v57
	;;#ASMEND
	s_nop 0
	;;#ASMSTART
	v_dot2_f32_f16 v57, v65, v73, v57
	;;#ASMEND
	s_waitcnt lgkmcnt(1)
	;;#ASMSTART
	v_dot2_f32_f16 v25, v62, v74, v25
	;;#ASMEND
	s_nop 0
	;;#ASMSTART
	v_dot2_f32_f16 v25, v63, v75, v25
	;;#ASMEND
	s_nop 0
	;; [unrolled: 4-line block ×3, first 2 shown]
	;;#ASMSTART
	v_dot2_f32_f16 v25, v65, v77, v25
	;;#ASMEND
	s_waitcnt lgkmcnt(0)
	;;#ASMSTART
	v_dot2_f32_f16 v22, v62, v78, v22
	;;#ASMEND
	s_nop 0
	;;#ASMSTART
	v_dot2_f32_f16 v22, v63, v79, v22
	;;#ASMEND
	s_nop 0
	;; [unrolled: 4-line block ×3, first 2 shown]
	;;#ASMSTART
	v_dot2_f32_f16 v22, v65, v81, v22
	;;#ASMEND
	;;#ASMSTART
	v_dot2_f32_f16 v60, v66, v0, v60
	;;#ASMEND
	s_nop 0
	;;#ASMSTART
	v_dot2_f32_f16 v60, v67, v1, v60
	;;#ASMEND
	s_nop 0
	;;#ASMSTART
	v_dot2_f32_f16 v60, v68, v2, v60
	;;#ASMEND
                                        ; implicit-def: $vgpr2
	s_nop 0
	;;#ASMSTART
	v_dot2_f32_f16 v60, v69, v3, v60
	;;#ASMEND
	;;#ASMSTART
	v_dot2_f32_f16 v58, v66, v70, v58
	;;#ASMEND
	s_nop 0
	;;#ASMSTART
	v_dot2_f32_f16 v58, v67, v71, v58
	;;#ASMEND
	s_nop 0
	;;#ASMSTART
	v_dot2_f32_f16 v58, v68, v72, v58
	;;#ASMEND
	s_nop 0
	;;#ASMSTART
	v_dot2_f32_f16 v58, v69, v73, v58
	;;#ASMEND
	;;#ASMSTART
	v_dot2_f32_f16 v56, v66, v74, v56
	;;#ASMEND
	s_nop 0
	;;#ASMSTART
	v_dot2_f32_f16 v56, v67, v75, v56
	;;#ASMEND
	s_nop 0
	;;#ASMSTART
	v_dot2_f32_f16 v56, v68, v76, v56
	;;#ASMEND
	;; [unrolled: 15-line block ×3, first 2 shown]
	s_nop 0
	;;#ASMSTART
	v_dot2_f32_f16 v24, v69, v81, v24
	;;#ASMEND
	s_and_saveexec_b64 s[36:37], s[6:7]
	s_xor_b64 s[6:7], exec, s[36:37]
	s_cbranch_execz .LBB81_33
; %bb.32:                               ;   in Loop: Header=BB81_31 Depth=1
	v_add_f32_e64 v0, |v59|, |v59|
	v_mul_f32_e32 v1, 0x3fb8aa3b, v0
	v_rndne_f32_e32 v2, v1
	v_sub_f32_e32 v3, v1, v2
	v_fma_f32 v1, v0, s21, -v1
	v_fmac_f32_e32 v1, 0x32a5705f, v0
	v_add_f32_e32 v1, v3, v1
	v_cvt_i32_f32_e32 v2, v2
	v_exp_f32_e32 v1, v1
	v_cmp_ngt_f32_e32 vcc, s26, v0
	v_ldexp_f32 v1, v1, v2
	s_nop 0
	v_cndmask_b32_e32 v1, 0, v1, vcc
	v_cmp_nlt_f32_e32 vcc, s27, v0
	s_nop 1
	v_cndmask_b32_e32 v0, v46, v1, vcc
	v_add_f32_e32 v0, 1.0, v0
	v_rcp_f32_e32 v0, v0
	s_nop 0
	v_fma_f32 v2, v0, -2.0, 1.0
.LBB81_33:                              ;   in Loop: Header=BB81_31 Depth=1
	s_andn2_saveexec_b64 s[6:7], s[6:7]
; %bb.34:                               ;   in Loop: Header=BB81_31 Depth=1
	v_mul_f32_e32 v0, v59, v59
	v_fmamk_f32 v1, v0, 0xbbbac73d, v45
	v_fmaak_f32 v1, v0, v1, 0xbd5c1c4e
	v_fmaak_f32 v1, v0, v1, 0x3e088382
	;; [unrolled: 1-line block ×3, first 2 shown]
	v_mul_f32_e64 v1, |v59|, v1
	v_fma_f32 v2, v0, v1, |v59|
; %bb.35:                               ;   in Loop: Header=BB81_31 Depth=1
	s_or_b64 exec, exec, s[6:7]
	v_add_u32_e32 v74, s2, v31
	v_add_u32_e32 v0, v74, v40
	v_ashrrev_i32_e32 v1, 31, v0
	v_lshl_add_u64 v[0:1], v[0:1], 1, s[34:35]
	global_load_ushort v70, v[0:1], off
	v_cmp_nlt_f32_e64 s[6:7], |v60|, s20
                                        ; implicit-def: $vgpr61
	s_and_saveexec_b64 s[36:37], s[6:7]
	s_xor_b64 s[6:7], exec, s[36:37]
	s_cbranch_execz .LBB81_37
; %bb.36:                               ;   in Loop: Header=BB81_31 Depth=1
	v_add_f32_e64 v3, |v60|, |v60|
	v_mul_f32_e32 v61, 0x3fb8aa3b, v3
	v_rndne_f32_e32 v62, v61
	v_sub_f32_e32 v63, v61, v62
	v_fma_f32 v61, v3, s21, -v61
	v_fmac_f32_e32 v61, 0x32a5705f, v3
	v_add_f32_e32 v61, v63, v61
	v_cvt_i32_f32_e32 v62, v62
	v_exp_f32_e32 v61, v61
	v_cmp_ngt_f32_e32 vcc, s26, v3
	v_ldexp_f32 v61, v61, v62
	s_nop 0
	v_cndmask_b32_e32 v61, 0, v61, vcc
	v_cmp_nlt_f32_e32 vcc, s27, v3
	s_nop 1
	v_cndmask_b32_e32 v3, v46, v61, vcc
	v_add_f32_e32 v3, 1.0, v3
	v_rcp_f32_e32 v3, v3
	s_nop 0
	v_fma_f32 v61, v3, -2.0, 1.0
.LBB81_37:                              ;   in Loop: Header=BB81_31 Depth=1
	s_andn2_saveexec_b64 s[6:7], s[6:7]
; %bb.38:                               ;   in Loop: Header=BB81_31 Depth=1
	v_mul_f32_e32 v3, v60, v60
	v_fmamk_f32 v61, v3, 0xbbbac73d, v45
	v_fmaak_f32 v61, v3, v61, 0xbd5c1c4e
	v_fmaak_f32 v61, v3, v61, 0x3e088382
	;; [unrolled: 1-line block ×3, first 2 shown]
	v_mul_f32_e64 v61, |v60|, v61
	v_fma_f32 v61, v3, v61, |v60|
; %bb.39:                               ;   in Loop: Header=BB81_31 Depth=1
	s_or_b64 exec, exec, s[6:7]
	global_load_ushort v0, v[0:1], off offset:64
	v_bfi_b32 v1, s29, v2, v59
	v_and_b32_e32 v2, 0x60, v35
	v_add_u32_e32 v59, 32, v2
	v_xor_b32_e32 v62, 16, v35
	v_bfi_b32 v60, s29, v61, v60
	s_waitcnt vmcnt(1)
	v_fma_mix_f32 v3, s11, v1, v70 op_sel_hi:[0,0,1]
	v_cmp_lt_i32_e32 vcc, v62, v59
	v_add_f32_e32 v1, 0x40051340, v3
	v_xor_b32_e32 v63, 8, v35
	v_cndmask_b32_e32 v2, v35, v62, vcc
	v_lshlrev_b32_e32 v2, 2, v2
	v_cmp_lt_i32_e32 vcc, v63, v59
	v_xor_b32_e32 v64, 4, v35
	v_cmp_nlt_f32_e64 s[6:7], |v57|, s20
	v_cndmask_b32_e32 v61, v35, v63, vcc
	v_lshlrev_b32_e32 v68, 2, v61
	v_cmp_lt_i32_e32 vcc, v64, v59
	s_waitcnt vmcnt(0)
	v_fma_mix_f32 v65, s11, v60, v0 op_sel_hi:[0,0,1]
	v_add_f32_e32 v60, 0x40051340, v65
	v_max3_f32 v1, v20, v1, v60
	ds_bpermute_b32 v60, v2, v1
	v_cndmask_b32_e32 v61, v35, v64, vcc
	v_lshlrev_b32_e32 v69, 2, v61
	v_xor_b32_e32 v61, 2, v35
	v_cmp_lt_i32_e32 vcc, v61, v59
	s_waitcnt lgkmcnt(0)
	v_max_f32_e32 v60, v60, v60
	v_max_f32_e32 v1, v1, v60
	ds_bpermute_b32 v60, v68, v1
	v_cndmask_b32_e32 v66, v35, v61, vcc
	v_lshlrev_b32_e32 v67, 2, v66
	s_waitcnt lgkmcnt(0)
	v_max_f32_e32 v60, v60, v60
	v_max_f32_e32 v1, v1, v60
	ds_bpermute_b32 v60, v69, v1
	s_waitcnt lgkmcnt(0)
	v_max_f32_e32 v60, v60, v60
	v_max_f32_e32 v1, v1, v60
	ds_bpermute_b32 v71, v67, v1
	v_xor_b32_e32 v60, 1, v35
	v_cmp_lt_i32_e32 vcc, v60, v59
	s_waitcnt lgkmcnt(0)
	v_max_f32_e32 v71, v71, v71
	v_cndmask_b32_e32 v66, v35, v60, vcc
	v_lshlrev_b32_e32 v66, 2, v66
	v_max_f32_e32 v71, v1, v71
	ds_bpermute_b32 v72, v66, v71
                                        ; implicit-def: $vgpr1
	s_and_saveexec_b64 s[36:37], s[6:7]
	s_xor_b64 s[6:7], exec, s[36:37]
	s_cbranch_execz .LBB81_41
; %bb.40:                               ;   in Loop: Header=BB81_31 Depth=1
	v_add_f32_e64 v1, |v57|, |v57|
	v_mul_f32_e32 v73, 0x3fb8aa3b, v1
	v_rndne_f32_e32 v75, v73
	v_sub_f32_e32 v76, v73, v75
	v_fma_f32 v73, v1, s21, -v73
	v_fmac_f32_e32 v73, 0x32a5705f, v1
	v_add_f32_e32 v73, v76, v73
	v_cvt_i32_f32_e32 v75, v75
	v_exp_f32_e32 v73, v73
	v_cmp_ngt_f32_e32 vcc, s26, v1
	v_ldexp_f32 v73, v73, v75
	s_nop 0
	v_cndmask_b32_e32 v73, 0, v73, vcc
	v_cmp_nlt_f32_e32 vcc, s27, v1
	s_nop 1
	v_cndmask_b32_e32 v1, v46, v73, vcc
	v_add_f32_e32 v1, 1.0, v1
	v_rcp_f32_e32 v1, v1
	s_nop 0
	v_fma_f32 v1, v1, -2.0, 1.0
.LBB81_41:                              ;   in Loop: Header=BB81_31 Depth=1
	s_andn2_saveexec_b64 s[6:7], s[6:7]
; %bb.42:                               ;   in Loop: Header=BB81_31 Depth=1
	v_mul_f32_e32 v1, v57, v57
	v_fmamk_f32 v73, v1, 0xbbbac73d, v45
	v_fmaak_f32 v73, v1, v73, 0xbd5c1c4e
	v_fmaak_f32 v73, v1, v73, 0x3e088382
	;; [unrolled: 1-line block ×3, first 2 shown]
	v_mul_f32_e64 v73, |v57|, v73
	v_fma_f32 v1, v1, v73, |v57|
; %bb.43:                               ;   in Loop: Header=BB81_31 Depth=1
	s_or_b64 exec, exec, s[6:7]
	v_cmp_nlt_f32_e64 s[6:7], |v58|, s20
                                        ; implicit-def: $vgpr75
	s_and_saveexec_b64 s[36:37], s[6:7]
	s_xor_b64 s[6:7], exec, s[36:37]
	s_cbranch_execz .LBB81_45
; %bb.44:                               ;   in Loop: Header=BB81_31 Depth=1
	v_add_f32_e64 v73, |v58|, |v58|
	v_mul_f32_e32 v75, 0x3fb8aa3b, v73
	v_rndne_f32_e32 v76, v75
	v_sub_f32_e32 v77, v75, v76
	v_fma_f32 v75, v73, s21, -v75
	v_fmac_f32_e32 v75, 0x32a5705f, v73
	v_add_f32_e32 v75, v77, v75
	v_cvt_i32_f32_e32 v76, v76
	v_exp_f32_e32 v75, v75
	v_cmp_ngt_f32_e32 vcc, s26, v73
	v_ldexp_f32 v75, v75, v76
	s_nop 0
	v_cndmask_b32_e32 v75, 0, v75, vcc
	v_cmp_nlt_f32_e32 vcc, s27, v73
	s_nop 1
	v_cndmask_b32_e32 v73, v46, v75, vcc
	v_add_f32_e32 v73, 1.0, v73
	v_rcp_f32_e32 v73, v73
	s_nop 0
	v_fma_f32 v75, v73, -2.0, 1.0
.LBB81_45:                              ;   in Loop: Header=BB81_31 Depth=1
	s_andn2_saveexec_b64 s[6:7], s[6:7]
; %bb.46:                               ;   in Loop: Header=BB81_31 Depth=1
	v_mul_f32_e32 v73, v58, v58
	v_fmamk_f32 v75, v73, 0xbbbac73d, v45
	v_fmaak_f32 v75, v73, v75, 0xbd5c1c4e
	v_fmaak_f32 v75, v73, v75, 0x3e088382
	;; [unrolled: 1-line block ×3, first 2 shown]
	v_mul_f32_e64 v75, |v58|, v75
	v_fma_f32 v75, v73, v75, |v58|
; %bb.47:                               ;   in Loop: Header=BB81_31 Depth=1
	s_or_b64 exec, exec, s[6:7]
	v_cvt_f32_f16_e32 v73, v70
	v_cvt_f32_f16_e32 v70, v0
	v_bfi_b32 v0, s29, v1, v57
	v_bfi_b32 v1, s29, v75, v58
	v_fmac_f32_e32 v73, s11, v0
	v_fmac_f32_e32 v70, s11, v1
	v_add_f32_e32 v0, 0x40051340, v73
	v_add_f32_e32 v1, 0x40051340, v70
	v_max3_f32 v0, v23, v0, v1
	ds_bpermute_b32 v1, v2, v0
	v_cmp_nlt_f32_e64 s[6:7], |v25|, s20
                                        ; implicit-def: $vgpr57
	s_waitcnt lgkmcnt(0)
	v_max_f32_e32 v1, v1, v1
	v_max_f32_e32 v0, v0, v1
	ds_bpermute_b32 v1, v68, v0
	s_waitcnt lgkmcnt(0)
	v_max_f32_e32 v1, v1, v1
	v_max_f32_e32 v0, v0, v1
	ds_bpermute_b32 v1, v69, v0
	;; [unrolled: 4-line block ×4, first 2 shown]
	s_and_saveexec_b64 s[36:37], s[6:7]
	s_xor_b64 s[6:7], exec, s[36:37]
	s_cbranch_execz .LBB81_49
; %bb.48:                               ;   in Loop: Header=BB81_31 Depth=1
	v_add_f32_e64 v0, |v25|, |v25|
	v_mul_f32_e32 v1, 0x3fb8aa3b, v0
	v_rndne_f32_e32 v57, v1
	v_sub_f32_e32 v76, v1, v57
	v_fma_f32 v1, v0, s21, -v1
	v_fmac_f32_e32 v1, 0x32a5705f, v0
	v_add_f32_e32 v1, v76, v1
	v_cvt_i32_f32_e32 v57, v57
	v_exp_f32_e32 v1, v1
	v_cmp_ngt_f32_e32 vcc, s26, v0
	v_ldexp_f32 v1, v1, v57
	s_nop 0
	v_cndmask_b32_e32 v1, 0, v1, vcc
	v_cmp_nlt_f32_e32 vcc, s27, v0
	s_nop 1
	v_cndmask_b32_e32 v0, v46, v1, vcc
	v_add_f32_e32 v0, 1.0, v0
	v_rcp_f32_e32 v0, v0
	s_nop 0
	v_fma_f32 v57, v0, -2.0, 1.0
.LBB81_49:                              ;   in Loop: Header=BB81_31 Depth=1
	s_andn2_saveexec_b64 s[6:7], s[6:7]
; %bb.50:                               ;   in Loop: Header=BB81_31 Depth=1
	v_mul_f32_e32 v0, v25, v25
	v_fmamk_f32 v1, v0, 0xbbbac73d, v45
	v_fmaak_f32 v1, v0, v1, 0xbd5c1c4e
	v_fmaak_f32 v1, v0, v1, 0x3e088382
	v_fmaak_f32 v1, v0, v1, 0xbeaaaa99
	v_mul_f32_e64 v1, |v25|, v1
	v_fma_f32 v57, v0, v1, |v25|
; %bb.51:                               ;   in Loop: Header=BB81_31 Depth=1
	s_or_b64 exec, exec, s[6:7]
	v_add_u32_e32 v0, v74, v41
	v_ashrrev_i32_e32 v1, 31, v0
	v_lshl_add_u64 v[0:1], v[0:1], 1, s[34:35]
	global_load_ushort v74, v[0:1], off
	v_cmp_nlt_f32_e64 s[6:7], |v56|, s20
                                        ; implicit-def: $vgpr77
	s_and_saveexec_b64 s[36:37], s[6:7]
	s_xor_b64 s[6:7], exec, s[36:37]
	s_cbranch_execz .LBB81_53
; %bb.52:                               ;   in Loop: Header=BB81_31 Depth=1
	v_add_f32_e64 v76, |v56|, |v56|
	v_mul_f32_e32 v77, 0x3fb8aa3b, v76
	v_rndne_f32_e32 v78, v77
	v_sub_f32_e32 v79, v77, v78
	v_fma_f32 v77, v76, s21, -v77
	v_fmac_f32_e32 v77, 0x32a5705f, v76
	v_add_f32_e32 v77, v79, v77
	v_cvt_i32_f32_e32 v78, v78
	v_exp_f32_e32 v77, v77
	v_cmp_ngt_f32_e32 vcc, s26, v76
	v_ldexp_f32 v77, v77, v78
	s_nop 0
	v_cndmask_b32_e32 v77, 0, v77, vcc
	v_cmp_nlt_f32_e32 vcc, s27, v76
	s_nop 1
	v_cndmask_b32_e32 v76, v46, v77, vcc
	v_add_f32_e32 v76, 1.0, v76
	v_rcp_f32_e32 v76, v76
	s_nop 0
	v_fma_f32 v77, v76, -2.0, 1.0
.LBB81_53:                              ;   in Loop: Header=BB81_31 Depth=1
	s_andn2_saveexec_b64 s[6:7], s[6:7]
; %bb.54:                               ;   in Loop: Header=BB81_31 Depth=1
	v_mul_f32_e32 v76, v56, v56
	v_fmamk_f32 v77, v76, 0xbbbac73d, v45
	v_fmaak_f32 v77, v76, v77, 0xbd5c1c4e
	v_fmaak_f32 v77, v76, v77, 0x3e088382
	;; [unrolled: 1-line block ×3, first 2 shown]
	v_mul_f32_e64 v77, |v56|, v77
	v_fma_f32 v77, v76, v77, |v56|
; %bb.55:                               ;   in Loop: Header=BB81_31 Depth=1
	s_or_b64 exec, exec, s[6:7]
	global_load_ushort v76, v[0:1], off offset:64
	v_bfi_b32 v0, s29, v57, v25
	v_bfi_b32 v1, s29, v77, v56
	s_waitcnt vmcnt(1)
	v_fma_mix_f32 v57, s11, v0, v74 op_sel_hi:[0,0,1]
	v_add_f32_e32 v0, 0x40051340, v57
	v_cmp_nlt_f32_e64 s[6:7], |v22|, s20
                                        ; implicit-def: $vgpr25
	s_waitcnt vmcnt(0)
	v_fma_mix_f32 v56, s11, v1, v76 op_sel_hi:[0,0,1]
	v_add_f32_e32 v1, 0x40051340, v56
	v_max3_f32 v0, v55, v0, v1
	ds_bpermute_b32 v1, v2, v0
	s_waitcnt lgkmcnt(0)
	v_max_f32_e32 v1, v1, v1
	v_max_f32_e32 v0, v0, v1
	ds_bpermute_b32 v1, v68, v0
	s_waitcnt lgkmcnt(0)
	v_max_f32_e32 v1, v1, v1
	v_max_f32_e32 v0, v0, v1
	;; [unrolled: 4-line block ×4, first 2 shown]
	ds_bpermute_b32 v1, v66, v0
	s_and_saveexec_b64 s[36:37], s[6:7]
	s_xor_b64 s[6:7], exec, s[36:37]
	s_cbranch_execz .LBB81_57
; %bb.56:                               ;   in Loop: Header=BB81_31 Depth=1
	v_add_f32_e64 v25, |v22|, |v22|
	v_mul_f32_e32 v77, 0x3fb8aa3b, v25
	v_rndne_f32_e32 v78, v77
	v_sub_f32_e32 v79, v77, v78
	v_fma_f32 v77, v25, s21, -v77
	v_fmac_f32_e32 v77, 0x32a5705f, v25
	v_add_f32_e32 v77, v79, v77
	v_cvt_i32_f32_e32 v78, v78
	v_exp_f32_e32 v77, v77
	v_cmp_ngt_f32_e32 vcc, s26, v25
	v_ldexp_f32 v77, v77, v78
	s_nop 0
	v_cndmask_b32_e32 v77, 0, v77, vcc
	v_cmp_nlt_f32_e32 vcc, s27, v25
	s_nop 1
	v_cndmask_b32_e32 v25, v46, v77, vcc
	v_add_f32_e32 v25, 1.0, v25
	v_rcp_f32_e32 v25, v25
	s_nop 0
	v_fma_f32 v25, v25, -2.0, 1.0
.LBB81_57:                              ;   in Loop: Header=BB81_31 Depth=1
	s_andn2_saveexec_b64 s[6:7], s[6:7]
; %bb.58:                               ;   in Loop: Header=BB81_31 Depth=1
	v_mul_f32_e32 v25, v22, v22
	v_fmamk_f32 v77, v25, 0xbbbac73d, v45
	v_fmaak_f32 v77, v25, v77, 0xbd5c1c4e
	v_fmaak_f32 v77, v25, v77, 0x3e088382
	;; [unrolled: 1-line block ×3, first 2 shown]
	v_mul_f32_e64 v77, |v22|, v77
	v_fma_f32 v25, v25, v77, |v22|
; %bb.59:                               ;   in Loop: Header=BB81_31 Depth=1
	s_or_b64 exec, exec, s[6:7]
	v_cmp_nlt_f32_e64 s[6:7], |v24|, s20
                                        ; implicit-def: $vgpr77
	s_and_saveexec_b64 s[36:37], s[6:7]
	s_xor_b64 s[6:7], exec, s[36:37]
	s_cbranch_execz .LBB81_61
; %bb.60:                               ;   in Loop: Header=BB81_31 Depth=1
	v_add_f32_e64 v77, |v24|, |v24|
	v_mul_f32_e32 v78, 0x3fb8aa3b, v77
	v_rndne_f32_e32 v79, v78
	v_sub_f32_e32 v80, v78, v79
	v_fma_f32 v78, v77, s21, -v78
	v_fmac_f32_e32 v78, 0x32a5705f, v77
	v_add_f32_e32 v78, v80, v78
	v_cvt_i32_f32_e32 v79, v79
	v_exp_f32_e32 v78, v78
	v_cmp_ngt_f32_e32 vcc, s26, v77
	v_ldexp_f32 v78, v78, v79
	s_nop 0
	v_cndmask_b32_e32 v78, 0, v78, vcc
	v_cmp_nlt_f32_e32 vcc, s27, v77
	s_nop 1
	v_cndmask_b32_e32 v77, v46, v78, vcc
	v_add_f32_e32 v77, 1.0, v77
	v_rcp_f32_e32 v77, v77
	s_nop 0
	v_fma_f32 v77, v77, -2.0, 1.0
.LBB81_61:                              ;   in Loop: Header=BB81_31 Depth=1
	s_andn2_saveexec_b64 s[6:7], s[6:7]
; %bb.62:                               ;   in Loop: Header=BB81_31 Depth=1
	v_mul_f32_e32 v77, v24, v24
	v_fmamk_f32 v78, v77, 0xbbbac73d, v45
	v_fmaak_f32 v78, v77, v78, 0xbd5c1c4e
	v_fmaak_f32 v78, v77, v78, 0x3e088382
	;; [unrolled: 1-line block ×3, first 2 shown]
	v_mul_f32_e64 v78, |v24|, v78
	v_fma_f32 v77, v77, v78, |v24|
; %bb.63:                               ;   in Loop: Header=BB81_31 Depth=1
	s_or_b64 exec, exec, s[6:7]
	v_cvt_f32_f16_e32 v78, v74
	v_cvt_f32_f16_e32 v79, v76
	v_bfi_b32 v22, s29, v25, v22
	v_bfi_b32 v24, s29, v77, v24
	v_fmac_f32_e32 v78, s11, v22
	v_fmac_f32_e32 v79, s11, v24
	v_add_f32_e32 v22, 0x40051340, v78
	v_add_f32_e32 v24, 0x40051340, v79
	v_max3_f32 v22, v54, v22, v24
	ds_bpermute_b32 v2, v2, v22
	s_waitcnt lgkmcnt(1)
	v_max_f32_e32 v1, v1, v1
	v_max_f32_e32 v0, v0, v0
	;; [unrolled: 1-line block ×4, first 2 shown]
	s_waitcnt lgkmcnt(0)
	v_max_f32_e32 v2, v2, v2
	v_max_f32_e32 v2, v22, v2
	ds_bpermute_b32 v22, v68, v2
	v_max_f32_e32 v58, v72, v72
	v_max_f32_e32 v68, v71, v71
	s_mul_hi_i32 s7, s2, s14
	s_mul_i32 s6, s2, s14
	s_waitcnt lgkmcnt(0)
	v_max_f32_e32 v22, v22, v22
	v_max_f32_e32 v22, v2, v22
	ds_bpermute_b32 v69, v69, v22
	v_max_f32_e32 v2, v0, v1
	v_max_f32_e32 v1, v25, v24
	;; [unrolled: 1-line block ×3, first 2 shown]
	v_sub_f32_e32 v25, v3, v0
	s_waitcnt lgkmcnt(0)
	v_max_f32_e32 v24, v69, v69
	v_max_f32_e32 v22, v22, v24
	ds_bpermute_b32 v24, v67, v22
	v_mul_f32_e32 v3, 0x3fb8aa3b, v25
	v_fma_f32 v58, v25, s21, -v3
	v_rndne_f32_e32 v67, v3
	v_fmac_f32_e32 v58, 0x32a5705f, v25
	s_waitcnt lgkmcnt(0)
	v_max_f32_e32 v24, v24, v24
	v_max_f32_e32 v22, v22, v24
	ds_bpermute_b32 v24, v66, v22
	v_sub_f32_e32 v3, v3, v67
	v_add_f32_e32 v3, v3, v58
	v_exp_f32_e32 v58, v3
	v_cmp_ngt_f32_e32 vcc, s26, v25
	s_waitcnt lgkmcnt(0)
	v_max_f32_e32 v3, v24, v24
	v_max_f32_e32 v3, v22, v3
	v_cvt_i32_f32_e32 v22, v67
	v_sub_f32_e32 v24, v20, v0
	v_sub_f32_e32 v77, v56, v2
	v_mul_f32_e32 v56, 0x3fb8aa3b, v77
	v_ldexp_f32 v20, v58, v22
	v_sub_f32_e32 v22, v65, v0
	v_mul_f32_e32 v58, 0x3fb8aa3b, v22
	v_fma_f32 v65, v22, s21, -v58
	v_rndne_f32_e32 v66, v58
	v_fmac_f32_e32 v65, 0x32a5705f, v22
	v_sub_f32_e32 v58, v58, v66
	v_add_f32_e32 v58, v58, v65
	v_exp_f32_e32 v58, v58
	v_cvt_i32_f32_e32 v65, v66
	v_cndmask_b32_e32 v20, 0, v20, vcc
	v_cmp_nlt_f32_e32 vcc, s27, v25
	s_lshl_b64 s[6:7], s[6:7], 2
	v_ldexp_f32 v25, v58, v65
	v_mul_f32_e32 v58, 0x3fb8aa3b, v24
	v_fma_f32 v65, v24, s21, -v58
	v_rndne_f32_e32 v66, v58
	v_fmac_f32_e32 v65, 0x32a5705f, v24
	v_sub_f32_e32 v58, v58, v66
	v_add_f32_e32 v58, v58, v65
	v_exp_f32_e32 v58, v58
	v_cvt_i32_f32_e32 v65, v66
	v_cndmask_b32_e32 v20, v46, v20, vcc
	v_cmp_ngt_f32_e32 vcc, s26, v22
	s_add_u32 s6, s8, s6
	s_addc_u32 s7, s9, s7
	v_cndmask_b32_e32 v25, 0, v25, vcc
	v_cmp_nlt_f32_e32 vcc, s27, v22
	s_barrier
	s_nop 0
	v_cndmask_b32_e32 v22, v46, v25, vcc
	v_ldexp_f32 v25, v58, v65
	v_sub_f32_e32 v58, v73, v1
	v_cmp_ngt_f32_e32 vcc, s26, v24
	v_mul_f32_e32 v65, 0x3fb8aa3b, v58
	v_fma_f32 v66, v58, s21, -v65
	v_cndmask_b32_e32 v25, 0, v25, vcc
	v_cmp_nlt_f32_e32 vcc, s27, v24
	v_rndne_f32_e32 v67, v65
	v_fmac_f32_e32 v66, 0x32a5705f, v58
	v_cndmask_b32_e32 v24, v46, v25, vcc
	v_sub_f32_e32 v65, v65, v67
	v_cvt_f16_f32_e32 v25, v24
	v_add_f32_e32 v65, v65, v66
	v_exp_f32_e32 v65, v65
	v_cvt_i32_f32_e32 v66, v67
	v_mul_u32_u24_e32 v80, 0x10001, v25
	v_sub_f32_e32 v25, v23, v1
	v_sub_f32_e32 v23, v70, v1
	v_pk_mul_f16 v81, v21, v80
	v_ldexp_f32 v21, v65, v66
	v_mul_f32_e32 v65, 0x3fb8aa3b, v23
	v_fma_f32 v66, v23, s21, -v65
	v_rndne_f32_e32 v67, v65
	v_fmac_f32_e32 v66, 0x32a5705f, v23
	v_sub_f32_e32 v65, v65, v67
	v_add_f32_e32 v65, v65, v66
	v_exp_f32_e32 v65, v65
	v_cvt_i32_f32_e32 v66, v67
	v_cmp_ngt_f32_e32 vcc, s26, v58
	v_sub_f32_e32 v55, v55, v2
	s_nop 0
	v_cndmask_b32_e32 v21, 0, v21, vcc
	v_cmp_nlt_f32_e32 vcc, s27, v58
	v_ldexp_f32 v58, v65, v66
	v_mul_f32_e32 v65, 0x3fb8aa3b, v25
	v_fma_f32 v66, v25, s21, -v65
	v_rndne_f32_e32 v67, v65
	v_fmac_f32_e32 v66, 0x32a5705f, v25
	v_sub_f32_e32 v65, v65, v67
	v_add_f32_e32 v65, v65, v66
	v_exp_f32_e32 v65, v65
	v_cvt_i32_f32_e32 v66, v67
	v_cndmask_b32_e32 v21, v46, v21, vcc
	v_cmp_ngt_f32_e32 vcc, s26, v23
	v_sub_f32_e32 v54, v54, v3
	s_nop 0
	v_cndmask_b32_e32 v58, 0, v58, vcc
	v_cmp_nlt_f32_e32 vcc, s27, v23
	s_nop 1
	v_cndmask_b32_e32 v23, v46, v58, vcc
	v_ldexp_f32 v58, v65, v66
	v_sub_f32_e32 v65, v57, v2
	v_mul_f32_e32 v57, 0x3fb8aa3b, v65
	v_fma_f32 v66, v65, s21, -v57
	v_rndne_f32_e32 v67, v57
	v_fmac_f32_e32 v66, 0x32a5705f, v65
	v_sub_f32_e32 v57, v57, v67
	v_add_f32_e32 v57, v57, v66
	v_exp_f32_e32 v57, v57
	v_cvt_i32_f32_e32 v66, v67
	v_cmp_ngt_f32_e32 vcc, s26, v25
	v_ldexp_f32 v57, v57, v66
	s_nop 0
	v_cndmask_b32_e32 v58, 0, v58, vcc
	v_cmp_nlt_f32_e32 vcc, s27, v25
	v_rndne_f32_e32 v66, v56
	v_cvt_i32_f32_e32 v83, v66
	v_cndmask_b32_e32 v25, v46, v58, vcc
	v_cmp_ngt_f32_e32 vcc, s26, v65
	v_cvt_f16_f32_e32 v58, v25
	v_mul_u32_u24_e32 v58, 0x10001, v58
	v_cndmask_b32_e32 v76, 0, v57, vcc
	v_fma_f32 v57, v77, s21, -v56
	v_fmac_f32_e32 v57, 0x32a5705f, v77
	v_sub_f32_e32 v56, v56, v66
	v_add_f32_e32 v56, v56, v57
	v_exp_f32_e32 v82, v56
	v_lshl_add_u64 v[56:57], s[6:7], 0, v[16:17]
	v_lshl_add_u64 v[56:57], v[56:57], 0, v[8:9]
	;; [unrolled: 1-line block ×4, first 2 shown]
	global_load_dwordx4 v[66:69], v[56:57], off
	global_load_dwordx4 v[70:73], v[74:75], off
	v_cmp_nlt_f32_e32 vcc, s27, v65
	v_mul_f32_e32 v65, 0x3fb8aa3b, v55
	v_fma_f32 v74, v55, s21, -v65
	v_rndne_f32_e32 v75, v65
	v_fmac_f32_e32 v74, 0x32a5705f, v55
	v_sub_f32_e32 v65, v65, v75
	v_add_f32_e32 v65, v65, v74
	v_exp_f32_e32 v65, v65
	v_cvt_i32_f32_e32 v75, v75
	v_cndmask_b32_e32 v56, v46, v76, vcc
	v_ldexp_f32 v57, v82, v83
	v_cmp_ngt_f32_e32 vcc, s26, v77
	v_pk_mul_f16 v53, v53, v58
	s_or_b32 s6, s2, 32
	v_cndmask_b32_e32 v57, 0, v57, vcc
	v_cmp_nlt_f32_e32 vcc, s27, v77
	s_mul_hi_i32 s7, s6, s14
	s_mul_i32 s6, s6, s14
	v_cndmask_b32_e32 v74, v46, v57, vcc
	v_ldexp_f32 v57, v65, v75
	v_cmp_ngt_f32_e32 vcc, s26, v55
	s_lshl_b64 s[6:7], s[6:7], 2
	s_add_u32 s6, s8, s6
	v_cndmask_b32_e32 v57, 0, v57, vcc
	v_cmp_nlt_f32_e32 vcc, s27, v55
	s_addc_u32 s7, s9, s7
	s_nop 0
	v_cndmask_b32_e32 v76, v46, v57, vcc
	v_sub_f32_e32 v57, v78, v3
	v_mul_f32_e32 v65, 0x3fb8aa3b, v57
	v_fma_f32 v75, v57, s21, -v65
	v_rndne_f32_e32 v77, v65
	v_fmac_f32_e32 v75, 0x32a5705f, v57
	v_sub_f32_e32 v65, v65, v77
	v_add_f32_e32 v65, v65, v75
	v_cvt_f16_f32_e32 v55, v76
	v_exp_f32_e32 v65, v65
	v_cvt_i32_f32_e32 v75, v77
	v_cmp_ngt_f32_e32 vcc, s26, v57
	v_mul_u32_u24_e32 v82, 0x10001, v55
	v_pk_mul_f16 v50, v50, v82
	v_ldexp_f32 v55, v65, v75
	v_sub_f32_e32 v65, v79, v3
	v_mul_f32_e32 v75, 0x3fb8aa3b, v65
	v_fma_f32 v77, v65, s21, -v75
	v_rndne_f32_e32 v78, v75
	v_fmac_f32_e32 v77, 0x32a5705f, v65
	v_sub_f32_e32 v75, v75, v78
	v_add_f32_e32 v75, v75, v77
	v_exp_f32_e32 v75, v75
	v_cvt_i32_f32_e32 v77, v78
	v_cndmask_b32_e32 v55, 0, v55, vcc
	v_cmp_nlt_f32_e32 vcc, s27, v57
	s_nop 1
	v_cndmask_b32_e32 v57, v46, v55, vcc
	v_ldexp_f32 v55, v75, v77
	v_mul_f32_e32 v75, 0x3fb8aa3b, v54
	v_fma_f32 v77, v54, s21, -v75
	v_rndne_f32_e32 v78, v75
	v_fmac_f32_e32 v77, 0x32a5705f, v54
	v_sub_f32_e32 v75, v75, v78
	v_add_f32_e32 v75, v75, v77
	v_exp_f32_e32 v77, v75
	v_cvt_i32_f32_e32 v78, v78
	v_cmp_ngt_f32_e32 vcc, s26, v65
	s_nop 1
	v_cndmask_b32_e32 v55, 0, v55, vcc
	v_cmp_nlt_f32_e32 vcc, s27, v65
	s_nop 1
	v_cndmask_b32_e32 v75, v46, v55, vcc
	v_ldexp_f32 v55, v77, v78
	v_cmp_ngt_f32_e32 vcc, s26, v54
	v_pk_add_f32 v[78:79], v[56:57], v[74:75]
	s_nop 0
	v_cndmask_b32_e32 v55, 0, v55, vcc
	v_cmp_nlt_f32_e32 vcc, s27, v54
	s_nop 1
	v_cndmask_b32_e32 v77, v46, v55, vcc
	v_cvt_f16_f32_e32 v65, v77
	v_pk_add_f32 v[54:55], v[20:21], v[22:23]
	v_pk_fma_f32 v[4:5], v[4:5], v[76:77], v[78:79]
	v_pk_fma_f32 v[6:7], v[6:7], v[24:25], v[54:55]
	v_mul_u32_u24_e32 v24, 0x10001, v65
	v_pk_mul_f16 v48, v48, v24
	v_pk_mul_f16 v47, v47, v24
	v_add_u32_e32 v54, v42, v34
	v_cvt_pk_f16_f32 v25, v56, v57
	v_cvt_pk_f16_f32 v24, v20, v21
	;; [unrolled: 1-line block ×4, first 2 shown]
	ds_write2_b64 v54, v[24:25], v[20:21] offset1:32
	s_waitcnt vmcnt(1)
	ds_write_b128 v43, v[66:69]
	s_waitcnt vmcnt(0)
	ds_write_b128 v44, v[70:73]
	s_waitcnt lgkmcnt(0)
	s_barrier
	ds_read_b128 v[20:23], v42
	ds_read2_b64 v[54:57], v34 offset1:32
	ds_read_b128 v[66:69], v42 offset:16
	ds_read_b128 v[70:73], v42 offset:32
	;; [unrolled: 1-line block ×3, first 2 shown]
	s_waitcnt lgkmcnt(4)
	v_mul_u32_u24_sdwa v24, v20, s31 dst_sel:DWORD dst_unused:UNUSED_PAD src0_sel:WORD_0 src1_sel:DWORD
	v_mul_u32_u24_sdwa v20, v20, s31 dst_sel:DWORD dst_unused:UNUSED_PAD src0_sel:WORD_1 src1_sel:DWORD
	s_waitcnt lgkmcnt(3)
	v_pk_mul_f16 v65, v54, v24
	v_mul_u32_u24_sdwa v25, v21, s31 dst_sel:DWORD dst_unused:UNUSED_PAD src0_sel:WORD_0 src1_sel:DWORD
	v_pk_fma_f16 v52, v52, v80, v65
	v_pk_mul_f16 v65, v54, v20
	v_mul_u32_u24_sdwa v21, v21, s31 dst_sel:DWORD dst_unused:UNUSED_PAD src0_sel:WORD_1 src1_sel:DWORD
	v_pk_fma_f16 v51, v51, v58, v65
	v_pk_mul_f16 v58, v54, v25
	v_pk_fma_f16 v48, v54, v21, v48
	v_pk_fma_f16 v49, v49, v82, v58
	;; [unrolled: 1-line block ×6, first 2 shown]
	v_mul_u32_u24_sdwa v47, v22, s31 dst_sel:DWORD dst_unused:UNUSED_PAD src0_sel:WORD_0 src1_sel:DWORD
	v_mul_u32_u24_sdwa v22, v22, s31 dst_sel:DWORD dst_unused:UNUSED_PAD src0_sel:WORD_1 src1_sel:DWORD
	v_mul_u32_u24_sdwa v50, v23, s31 dst_sel:DWORD dst_unused:UNUSED_PAD src0_sel:WORD_0 src1_sel:DWORD
	v_mul_u32_u24_sdwa v23, v23, s31 dst_sel:DWORD dst_unused:UNUSED_PAD src0_sel:WORD_1 src1_sel:DWORD
	v_pk_fma_f16 v52, v56, v47, v52
	v_pk_fma_f16 v51, v56, v22, v51
	;; [unrolled: 1-line block ×8, first 2 shown]
	ds_read2_b64 v[20:23], v34 offset0:64 offset1:96
	s_waitcnt lgkmcnt(3)
	v_mul_u32_u24_sdwa v53, v66, s31 dst_sel:DWORD dst_unused:UNUSED_PAD src0_sel:WORD_0 src1_sel:DWORD
	v_mul_u32_u24_sdwa v54, v66, s31 dst_sel:DWORD dst_unused:UNUSED_PAD src0_sel:WORD_1 src1_sel:DWORD
	v_mul_u32_u24_sdwa v55, v67, s31 dst_sel:DWORD dst_unused:UNUSED_PAD src0_sel:WORD_0 src1_sel:DWORD
	v_mul_u32_u24_sdwa v56, v67, s31 dst_sel:DWORD dst_unused:UNUSED_PAD src0_sel:WORD_1 src1_sel:DWORD
	s_waitcnt lgkmcnt(0)
	v_pk_fma_f16 v52, v20, v53, v52
	v_pk_fma_f16 v51, v20, v54, v51
	;; [unrolled: 1-line block ×8, first 2 shown]
	v_mul_u32_u24_sdwa v48, v68, s31 dst_sel:DWORD dst_unused:UNUSED_PAD src0_sel:WORD_0 src1_sel:DWORD
	v_mul_u32_u24_sdwa v50, v68, s31 dst_sel:DWORD dst_unused:UNUSED_PAD src0_sel:WORD_1 src1_sel:DWORD
	v_mul_u32_u24_sdwa v53, v69, s31 dst_sel:DWORD dst_unused:UNUSED_PAD src0_sel:WORD_0 src1_sel:DWORD
	v_mul_u32_u24_sdwa v54, v69, s31 dst_sel:DWORD dst_unused:UNUSED_PAD src0_sel:WORD_1 src1_sel:DWORD
	v_pk_fma_f16 v52, v22, v48, v52
	v_pk_fma_f16 v51, v22, v50, v51
	;; [unrolled: 1-line block ×8, first 2 shown]
	ds_read2_b64 v[20:23], v34 offset0:128 offset1:160
	v_mul_u32_u24_sdwa v50, v70, s31 dst_sel:DWORD dst_unused:UNUSED_PAD src0_sel:WORD_0 src1_sel:DWORD
	v_mul_u32_u24_sdwa v53, v70, s31 dst_sel:DWORD dst_unused:UNUSED_PAD src0_sel:WORD_1 src1_sel:DWORD
	v_mul_u32_u24_sdwa v54, v71, s31 dst_sel:DWORD dst_unused:UNUSED_PAD src0_sel:WORD_0 src1_sel:DWORD
	v_mul_u32_u24_sdwa v56, v71, s31 dst_sel:DWORD dst_unused:UNUSED_PAD src0_sel:WORD_1 src1_sel:DWORD
	s_waitcnt lgkmcnt(0)
	v_pk_fma_f16 v52, v20, v50, v52
	v_pk_fma_f16 v51, v20, v53, v51
	;; [unrolled: 1-line block ×8, first 2 shown]
	v_mul_u32_u24_sdwa v48, v72, s31 dst_sel:DWORD dst_unused:UNUSED_PAD src0_sel:WORD_0 src1_sel:DWORD
	v_mul_u32_u24_sdwa v50, v72, s31 dst_sel:DWORD dst_unused:UNUSED_PAD src0_sel:WORD_1 src1_sel:DWORD
	v_mul_u32_u24_sdwa v53, v73, s31 dst_sel:DWORD dst_unused:UNUSED_PAD src0_sel:WORD_0 src1_sel:DWORD
	v_mul_u32_u24_sdwa v54, v73, s31 dst_sel:DWORD dst_unused:UNUSED_PAD src0_sel:WORD_1 src1_sel:DWORD
	v_pk_fma_f16 v52, v22, v48, v52
	v_pk_fma_f16 v51, v22, v50, v51
	;; [unrolled: 1-line block ×8, first 2 shown]
	ds_read2_b64 v[20:23], v34 offset0:192 offset1:224
	v_mul_u32_u24_sdwa v50, v74, s31 dst_sel:DWORD dst_unused:UNUSED_PAD src0_sel:WORD_0 src1_sel:DWORD
	v_mul_u32_u24_sdwa v53, v74, s31 dst_sel:DWORD dst_unused:UNUSED_PAD src0_sel:WORD_1 src1_sel:DWORD
	v_mul_u32_u24_sdwa v54, v75, s31 dst_sel:DWORD dst_unused:UNUSED_PAD src0_sel:WORD_0 src1_sel:DWORD
	v_mul_u32_u24_sdwa v56, v75, s31 dst_sel:DWORD dst_unused:UNUSED_PAD src0_sel:WORD_1 src1_sel:DWORD
	s_waitcnt lgkmcnt(0)
	v_pk_fma_f16 v52, v20, v50, v52
	v_pk_fma_f16 v51, v20, v53, v51
	;; [unrolled: 1-line block ×7, first 2 shown]
	v_mul_u32_u24_sdwa v48, v76, s31 dst_sel:DWORD dst_unused:UNUSED_PAD src0_sel:WORD_0 src1_sel:DWORD
	v_mul_u32_u24_sdwa v50, v76, s31 dst_sel:DWORD dst_unused:UNUSED_PAD src0_sel:WORD_1 src1_sel:DWORD
	v_mul_u32_u24_sdwa v53, v77, s31 dst_sel:DWORD dst_unused:UNUSED_PAD src0_sel:WORD_0 src1_sel:DWORD
	v_pk_fma_f16 v20, v20, v56, v55
	v_mul_u32_u24_sdwa v54, v77, s31 dst_sel:DWORD dst_unused:UNUSED_PAD src0_sel:WORD_1 src1_sel:DWORD
	v_pk_fma_f16 v56, v22, v48, v52
	v_pk_fma_f16 v57, v22, v50, v51
	;; [unrolled: 1-line block ×5, first 2 shown]
	ds_read_b128 v[48:51], v42 offset:64
	v_pk_fma_f16 v65, v22, v54, v20
	v_add_u32_e32 v20, 0x800, v34
	v_pk_fma_f16 v67, v23, v53, v25
	v_pk_fma_f16 v21, v23, v54, v21
	ds_read2_b64 v[22:25], v20 offset1:32
	ds_read_b128 v[52:55], v42 offset:80
	s_waitcnt lgkmcnt(2)
	v_mul_u32_u24_sdwa v68, v48, s31 dst_sel:DWORD dst_unused:UNUSED_PAD src0_sel:WORD_0 src1_sel:DWORD
	v_mul_u32_u24_sdwa v48, v48, s31 dst_sel:DWORD dst_unused:UNUSED_PAD src0_sel:WORD_1 src1_sel:DWORD
	v_mul_u32_u24_sdwa v69, v49, s31 dst_sel:DWORD dst_unused:UNUSED_PAD src0_sel:WORD_0 src1_sel:DWORD
	v_mul_u32_u24_sdwa v49, v49, s31 dst_sel:DWORD dst_unused:UNUSED_PAD src0_sel:WORD_1 src1_sel:DWORD
	s_waitcnt lgkmcnt(1)
	v_pk_fma_f16 v56, v22, v68, v56
	v_pk_fma_f16 v57, v22, v48, v57
	;; [unrolled: 1-line block ×8, first 2 shown]
	v_mul_u32_u24_sdwa v23, v50, s31 dst_sel:DWORD dst_unused:UNUSED_PAD src0_sel:WORD_0 src1_sel:DWORD
	v_mul_u32_u24_sdwa v49, v50, s31 dst_sel:DWORD dst_unused:UNUSED_PAD src0_sel:WORD_1 src1_sel:DWORD
	v_mul_u32_u24_sdwa v50, v51, s31 dst_sel:DWORD dst_unused:UNUSED_PAD src0_sel:WORD_0 src1_sel:DWORD
	v_mul_u32_u24_sdwa v51, v51, s31 dst_sel:DWORD dst_unused:UNUSED_PAD src0_sel:WORD_1 src1_sel:DWORD
	v_pk_fma_f16 v56, v24, v23, v56
	v_pk_fma_f16 v57, v24, v49, v57
	v_pk_fma_f16 v58, v24, v50, v58
	v_pk_fma_f16 v66, v24, v51, v22
	v_pk_fma_f16 v65, v25, v23, v65
	v_pk_fma_f16 v47, v25, v49, v47
	v_pk_fma_f16 v48, v25, v50, v48
	v_pk_fma_f16 v21, v25, v51, v21
	ds_read2_b64 v[22:25], v20 offset0:64 offset1:96
	s_waitcnt lgkmcnt(1)
	v_mul_u32_u24_sdwa v49, v52, s31 dst_sel:DWORD dst_unused:UNUSED_PAD src0_sel:WORD_0 src1_sel:DWORD
	v_mul_u32_u24_sdwa v50, v52, s31 dst_sel:DWORD dst_unused:UNUSED_PAD src0_sel:WORD_1 src1_sel:DWORD
	v_mul_u32_u24_sdwa v51, v53, s31 dst_sel:DWORD dst_unused:UNUSED_PAD src0_sel:WORD_0 src1_sel:DWORD
	v_mul_u32_u24_sdwa v52, v53, s31 dst_sel:DWORD dst_unused:UNUSED_PAD src0_sel:WORD_1 src1_sel:DWORD
	s_waitcnt lgkmcnt(0)
	v_pk_fma_f16 v53, v22, v49, v56
	v_pk_fma_f16 v56, v22, v50, v57
	;; [unrolled: 1-line block ×7, first 2 shown]
	v_mul_u32_u24_sdwa v23, v54, s31 dst_sel:DWORD dst_unused:UNUSED_PAD src0_sel:WORD_0 src1_sel:DWORD
	v_mul_u32_u24_sdwa v48, v54, s31 dst_sel:DWORD dst_unused:UNUSED_PAD src0_sel:WORD_1 src1_sel:DWORD
	v_pk_fma_f16 v56, v24, v48, v56
	v_pk_fma_f16 v67, v25, v23, v49
	;; [unrolled: 1-line block ×3, first 2 shown]
	ds_read_b128 v[48:51], v42 offset:96
	v_pk_fma_f16 v22, v22, v52, v66
	v_mul_u32_u24_sdwa v52, v55, s31 dst_sel:DWORD dst_unused:UNUSED_PAD src0_sel:WORD_0 src1_sel:DWORD
	v_mul_u32_u24_sdwa v54, v55, s31 dst_sel:DWORD dst_unused:UNUSED_PAD src0_sel:WORD_1 src1_sel:DWORD
	v_pk_fma_f16 v65, v24, v23, v53
	v_pk_fma_f16 v57, v24, v52, v57
	;; [unrolled: 1-line block ×5, first 2 shown]
	ds_read2_b64 v[22:25], v20 offset0:128 offset1:160
	ds_read_b128 v[52:55], v42 offset:112
	s_waitcnt lgkmcnt(2)
	v_mul_u32_u24_sdwa v68, v48, s31 dst_sel:DWORD dst_unused:UNUSED_PAD src0_sel:WORD_0 src1_sel:DWORD
	v_mul_u32_u24_sdwa v48, v48, s31 dst_sel:DWORD dst_unused:UNUSED_PAD src0_sel:WORD_1 src1_sel:DWORD
	v_mul_u32_u24_sdwa v69, v49, s31 dst_sel:DWORD dst_unused:UNUSED_PAD src0_sel:WORD_0 src1_sel:DWORD
	v_mul_u32_u24_sdwa v49, v49, s31 dst_sel:DWORD dst_unused:UNUSED_PAD src0_sel:WORD_1 src1_sel:DWORD
	s_waitcnt lgkmcnt(1)
	v_pk_fma_f16 v65, v22, v68, v65
	v_pk_fma_f16 v56, v22, v48, v56
	;; [unrolled: 1-line block ×8, first 2 shown]
	v_mul_u32_u24_sdwa v23, v50, s31 dst_sel:DWORD dst_unused:UNUSED_PAD src0_sel:WORD_0 src1_sel:DWORD
	v_mul_u32_u24_sdwa v49, v50, s31 dst_sel:DWORD dst_unused:UNUSED_PAD src0_sel:WORD_1 src1_sel:DWORD
	v_mul_u32_u24_sdwa v50, v51, s31 dst_sel:DWORD dst_unused:UNUSED_PAD src0_sel:WORD_0 src1_sel:DWORD
	v_mul_u32_u24_sdwa v51, v51, s31 dst_sel:DWORD dst_unused:UNUSED_PAD src0_sel:WORD_1 src1_sel:DWORD
	v_pk_fma_f16 v58, v24, v23, v65
	v_pk_fma_f16 v56, v24, v49, v56
	;; [unrolled: 1-line block ×8, first 2 shown]
	ds_read2_b64 v[22:25], v20 offset0:192 offset1:224
	s_waitcnt lgkmcnt(1)
	v_mul_u32_u24_sdwa v49, v52, s31 dst_sel:DWORD dst_unused:UNUSED_PAD src0_sel:WORD_0 src1_sel:DWORD
	v_mul_u32_u24_sdwa v50, v52, s31 dst_sel:DWORD dst_unused:UNUSED_PAD src0_sel:WORD_1 src1_sel:DWORD
	v_mul_u32_u24_sdwa v51, v53, s31 dst_sel:DWORD dst_unused:UNUSED_PAD src0_sel:WORD_0 src1_sel:DWORD
	v_mul_u32_u24_sdwa v52, v53, s31 dst_sel:DWORD dst_unused:UNUSED_PAD src0_sel:WORD_1 src1_sel:DWORD
	s_waitcnt lgkmcnt(0)
	v_pk_fma_f16 v53, v22, v49, v58
	v_pk_fma_f16 v56, v22, v50, v56
	;; [unrolled: 1-line block ×7, first 2 shown]
	v_mul_u32_u24_sdwa v23, v54, s31 dst_sel:DWORD dst_unused:UNUSED_PAD src0_sel:WORD_0 src1_sel:DWORD
	v_mul_u32_u24_sdwa v50, v54, s31 dst_sel:DWORD dst_unused:UNUSED_PAD src0_sel:WORD_1 src1_sel:DWORD
	v_mul_u32_u24_sdwa v51, v55, s31 dst_sel:DWORD dst_unused:UNUSED_PAD src0_sel:WORD_0 src1_sel:DWORD
	v_pk_fma_f16 v22, v22, v52, v65
	v_mul_u32_u24_sdwa v52, v55, s31 dst_sel:DWORD dst_unused:UNUSED_PAD src0_sel:WORD_1 src1_sel:DWORD
	v_pk_fma_f16 v56, v24, v50, v56
	v_pk_fma_f16 v57, v24, v51, v57
	;; [unrolled: 1-line block ×5, first 2 shown]
	ds_read_b128 v[48:51], v42 offset:128
	v_pk_fma_f16 v68, v25, v52, v21
	v_add_u32_e32 v21, 0x1000, v34
	v_pk_fma_f16 v58, v24, v23, v53
	v_pk_fma_f16 v65, v24, v52, v22
	ds_read2_b64 v[22:25], v21 offset1:32
	ds_read_b128 v[52:55], v42 offset:144
	s_waitcnt lgkmcnt(2)
	v_mul_u32_u24_sdwa v69, v48, s31 dst_sel:DWORD dst_unused:UNUSED_PAD src0_sel:WORD_0 src1_sel:DWORD
	v_mul_u32_u24_sdwa v48, v48, s31 dst_sel:DWORD dst_unused:UNUSED_PAD src0_sel:WORD_1 src1_sel:DWORD
	v_mul_u32_u24_sdwa v70, v49, s31 dst_sel:DWORD dst_unused:UNUSED_PAD src0_sel:WORD_0 src1_sel:DWORD
	v_mul_u32_u24_sdwa v49, v49, s31 dst_sel:DWORD dst_unused:UNUSED_PAD src0_sel:WORD_1 src1_sel:DWORD
	s_waitcnt lgkmcnt(1)
	v_pk_fma_f16 v58, v22, v69, v58
	v_pk_fma_f16 v56, v22, v48, v56
	;; [unrolled: 1-line block ×8, first 2 shown]
	v_mul_u32_u24_sdwa v49, v50, s31 dst_sel:DWORD dst_unused:UNUSED_PAD src0_sel:WORD_0 src1_sel:DWORD
	v_mul_u32_u24_sdwa v50, v50, s31 dst_sel:DWORD dst_unused:UNUSED_PAD src0_sel:WORD_1 src1_sel:DWORD
	v_mul_u32_u24_sdwa v66, v51, s31 dst_sel:DWORD dst_unused:UNUSED_PAD src0_sel:WORD_0 src1_sel:DWORD
	v_mul_u32_u24_sdwa v51, v51, s31 dst_sel:DWORD dst_unused:UNUSED_PAD src0_sel:WORD_1 src1_sel:DWORD
	v_pk_fma_f16 v58, v24, v49, v58
	v_pk_fma_f16 v56, v24, v50, v56
	;; [unrolled: 1-line block ×8, first 2 shown]
	ds_read2_b64 v[22:25], v21 offset0:64 offset1:96
	s_waitcnt lgkmcnt(1)
	v_mul_u32_u24_sdwa v51, v52, s31 dst_sel:DWORD dst_unused:UNUSED_PAD src0_sel:WORD_0 src1_sel:DWORD
	v_mul_u32_u24_sdwa v52, v52, s31 dst_sel:DWORD dst_unused:UNUSED_PAD src0_sel:WORD_1 src1_sel:DWORD
	v_mul_u32_u24_sdwa v65, v53, s31 dst_sel:DWORD dst_unused:UNUSED_PAD src0_sel:WORD_0 src1_sel:DWORD
	v_mul_u32_u24_sdwa v53, v53, s31 dst_sel:DWORD dst_unused:UNUSED_PAD src0_sel:WORD_1 src1_sel:DWORD
	s_waitcnt lgkmcnt(0)
	v_pk_fma_f16 v58, v22, v51, v58
	v_pk_fma_f16 v56, v22, v52, v56
	;; [unrolled: 1-line block ×6, first 2 shown]
	v_mul_u32_u24_sdwa v48, v54, s31 dst_sel:DWORD dst_unused:UNUSED_PAD src0_sel:WORD_0 src1_sel:DWORD
	v_mul_u32_u24_sdwa v50, v54, s31 dst_sel:DWORD dst_unused:UNUSED_PAD src0_sel:WORD_1 src1_sel:DWORD
	v_pk_fma_f16 v58, v24, v48, v58
	v_pk_fma_f16 v56, v24, v50, v56
	;; [unrolled: 1-line block ×4, first 2 shown]
	ds_read_b128 v[48:51], v42 offset:160
	v_pk_fma_f16 v57, v22, v65, v57
	v_pk_fma_f16 v22, v22, v53, v67
	v_mul_u32_u24_sdwa v53, v55, s31 dst_sel:DWORD dst_unused:UNUSED_PAD src0_sel:WORD_0 src1_sel:DWORD
	v_mul_u32_u24_sdwa v54, v55, s31 dst_sel:DWORD dst_unused:UNUSED_PAD src0_sel:WORD_1 src1_sel:DWORD
	v_pk_fma_f16 v57, v24, v53, v57
	v_pk_fma_f16 v65, v24, v54, v22
	;; [unrolled: 1-line block ×4, first 2 shown]
	ds_read2_b64 v[22:25], v21 offset0:128 offset1:160
	ds_read_b128 v[52:55], v42 offset:176
	s_waitcnt lgkmcnt(2)
	v_mul_u32_u24_sdwa v69, v48, s31 dst_sel:DWORD dst_unused:UNUSED_PAD src0_sel:WORD_0 src1_sel:DWORD
	v_mul_u32_u24_sdwa v48, v48, s31 dst_sel:DWORD dst_unused:UNUSED_PAD src0_sel:WORD_1 src1_sel:DWORD
	v_mul_u32_u24_sdwa v70, v49, s31 dst_sel:DWORD dst_unused:UNUSED_PAD src0_sel:WORD_0 src1_sel:DWORD
	v_mul_u32_u24_sdwa v49, v49, s31 dst_sel:DWORD dst_unused:UNUSED_PAD src0_sel:WORD_1 src1_sel:DWORD
	s_waitcnt lgkmcnt(1)
	v_pk_fma_f16 v58, v22, v69, v58
	v_pk_fma_f16 v56, v22, v48, v56
	;; [unrolled: 1-line block ×8, first 2 shown]
	v_mul_u32_u24_sdwa v49, v50, s31 dst_sel:DWORD dst_unused:UNUSED_PAD src0_sel:WORD_0 src1_sel:DWORD
	v_mul_u32_u24_sdwa v50, v50, s31 dst_sel:DWORD dst_unused:UNUSED_PAD src0_sel:WORD_1 src1_sel:DWORD
	v_mul_u32_u24_sdwa v66, v51, s31 dst_sel:DWORD dst_unused:UNUSED_PAD src0_sel:WORD_0 src1_sel:DWORD
	v_mul_u32_u24_sdwa v51, v51, s31 dst_sel:DWORD dst_unused:UNUSED_PAD src0_sel:WORD_1 src1_sel:DWORD
	v_pk_fma_f16 v58, v24, v49, v58
	v_pk_fma_f16 v56, v24, v50, v56
	;; [unrolled: 1-line block ×8, first 2 shown]
	ds_read2_b64 v[22:25], v21 offset0:192 offset1:224
	s_waitcnt lgkmcnt(1)
	v_mul_u32_u24_sdwa v51, v52, s31 dst_sel:DWORD dst_unused:UNUSED_PAD src0_sel:WORD_0 src1_sel:DWORD
	v_mul_u32_u24_sdwa v52, v52, s31 dst_sel:DWORD dst_unused:UNUSED_PAD src0_sel:WORD_1 src1_sel:DWORD
	v_mul_u32_u24_sdwa v65, v53, s31 dst_sel:DWORD dst_unused:UNUSED_PAD src0_sel:WORD_0 src1_sel:DWORD
	v_mul_u32_u24_sdwa v53, v53, s31 dst_sel:DWORD dst_unused:UNUSED_PAD src0_sel:WORD_1 src1_sel:DWORD
	s_waitcnt lgkmcnt(0)
	v_pk_fma_f16 v58, v22, v51, v58
	v_pk_fma_f16 v56, v22, v52, v56
	;; [unrolled: 1-line block ×6, first 2 shown]
	v_mul_u32_u24_sdwa v50, v54, s31 dst_sel:DWORD dst_unused:UNUSED_PAD src0_sel:WORD_0 src1_sel:DWORD
	v_mul_u32_u24_sdwa v51, v54, s31 dst_sel:DWORD dst_unused:UNUSED_PAD src0_sel:WORD_1 src1_sel:DWORD
	v_mul_u32_u24_sdwa v52, v55, s31 dst_sel:DWORD dst_unused:UNUSED_PAD src0_sel:WORD_0 src1_sel:DWORD
	v_pk_fma_f16 v57, v22, v65, v57
	v_pk_fma_f16 v22, v22, v53, v67
	v_mul_u32_u24_sdwa v53, v55, s31 dst_sel:DWORD dst_unused:UNUSED_PAD src0_sel:WORD_1 src1_sel:DWORD
	v_pk_fma_f16 v58, v24, v50, v58
	v_pk_fma_f16 v56, v24, v51, v56
	;; [unrolled: 1-line block ×5, first 2 shown]
	ds_read_b128 v[48:51], v42 offset:192
	v_pk_fma_f16 v57, v24, v52, v57
	v_pk_fma_f16 v24, v24, v53, v22
	v_add_u32_e32 v22, 0x1800, v34
	v_pk_fma_f16 v23, v25, v53, v23
	ds_read2_b64 v[52:55], v22 offset1:32
	ds_read_b128 v[66:69], v42 offset:208
	s_waitcnt lgkmcnt(2)
	v_mul_u32_u24_sdwa v25, v48, s31 dst_sel:DWORD dst_unused:UNUSED_PAD src0_sel:WORD_0 src1_sel:DWORD
	v_mul_u32_u24_sdwa v71, v49, s31 dst_sel:DWORD dst_unused:UNUSED_PAD src0_sel:WORD_0 src1_sel:DWORD
	v_mul_u32_u24_sdwa v49, v49, s31 dst_sel:DWORD dst_unused:UNUSED_PAD src0_sel:WORD_1 src1_sel:DWORD
	v_mul_u32_u24_sdwa v48, v48, s31 dst_sel:DWORD dst_unused:UNUSED_PAD src0_sel:WORD_1 src1_sel:DWORD
	s_waitcnt lgkmcnt(1)
	v_pk_fma_f16 v58, v52, v25, v58
	v_pk_fma_f16 v94, v52, v49, v24
	;; [unrolled: 1-line block ×3, first 2 shown]
	v_lshl_add_u64 v[24:25], s[6:7], 0, v[16:17]
	v_pk_fma_f16 v56, v52, v48, v56
	v_pk_fma_f16 v57, v52, v71, v57
	;; [unrolled: 1-line block ×5, first 2 shown]
	v_lshl_add_u64 v[24:25], v[24:25], 0, v[8:9]
	v_lshl_add_u64 v[52:53], s[6:7], 0, v[18:19]
	v_mul_u32_u24_sdwa v96, v50, s31 dst_sel:DWORD dst_unused:UNUSED_PAD src0_sel:WORD_0 src1_sel:DWORD
	v_mul_u32_u24_sdwa v97, v50, s31 dst_sel:DWORD dst_unused:UNUSED_PAD src0_sel:WORD_1 src1_sel:DWORD
	v_mul_u32_u24_sdwa v98, v51, s31 dst_sel:DWORD dst_unused:UNUSED_PAD src0_sel:WORD_0 src1_sel:DWORD
	v_mul_u32_u24_sdwa v99, v51, s31 dst_sel:DWORD dst_unused:UNUSED_PAD src0_sel:WORD_1 src1_sel:DWORD
	ds_read2_b64 v[48:51], v22 offset0:64 offset1:96
	ds_read2_b64 v[70:73], v22 offset0:128 offset1:160
	;; [unrolled: 1-line block ×3, first 2 shown]
	ds_read_b128 v[78:81], v42 offset:224
	ds_read_b128 v[82:85], v42 offset:240
	s_waitcnt lgkmcnt(0)
	s_barrier
	v_lshl_add_u64 v[52:53], v[52:53], 0, v[8:9]
	global_load_dwordx4 v[86:89], v[24:25], off
	global_load_dwordx4 v[90:93], v[52:53], off
	v_pk_fma_f16 v58, v54, v96, v58
	v_pk_fma_f16 v56, v54, v97, v56
	v_pk_fma_f16 v24, v54, v98, v57
	v_pk_fma_f16 v25, v54, v99, v94
	v_pk_fma_f16 v52, v55, v96, v65
	v_pk_fma_f16 v47, v55, v97, v47
	v_pk_fma_f16 v53, v55, v98, v95
	v_pk_fma_f16 v23, v55, v99, v23
	v_mul_u32_u24_sdwa v54, v66, s31 dst_sel:DWORD dst_unused:UNUSED_PAD src0_sel:WORD_0 src1_sel:DWORD
	v_mul_u32_u24_sdwa v55, v66, s31 dst_sel:DWORD dst_unused:UNUSED_PAD src0_sel:WORD_1 src1_sel:DWORD
	v_mul_u32_u24_sdwa v57, v67, s31 dst_sel:DWORD dst_unused:UNUSED_PAD src0_sel:WORD_0 src1_sel:DWORD
	v_mul_u32_u24_sdwa v65, v67, s31 dst_sel:DWORD dst_unused:UNUSED_PAD src0_sel:WORD_1 src1_sel:DWORD
	v_pk_fma_f16 v58, v48, v54, v58
	v_pk_fma_f16 v56, v48, v55, v56
	v_pk_fma_f16 v24, v48, v57, v24
	v_pk_fma_f16 v25, v48, v65, v25
	v_pk_fma_f16 v48, v49, v54, v52
	v_pk_fma_f16 v47, v49, v55, v47
	v_pk_fma_f16 v52, v49, v57, v53
	v_pk_fma_f16 v23, v49, v65, v23
	v_mul_u32_u24_sdwa v49, v68, s31 dst_sel:DWORD dst_unused:UNUSED_PAD src0_sel:WORD_0 src1_sel:DWORD
	v_mul_u32_u24_sdwa v53, v68, s31 dst_sel:DWORD dst_unused:UNUSED_PAD src0_sel:WORD_1 src1_sel:DWORD
	v_mul_u32_u24_sdwa v54, v69, s31 dst_sel:DWORD dst_unused:UNUSED_PAD src0_sel:WORD_0 src1_sel:DWORD
	v_mul_u32_u24_sdwa v55, v69, s31 dst_sel:DWORD dst_unused:UNUSED_PAD src0_sel:WORD_1 src1_sel:DWORD
	;; [unrolled: 12-line block ×6, first 2 shown]
	v_pk_fma_f16 v56, v76, v50, v54
	v_pk_fma_f16 v57, v76, v51, v55
	;; [unrolled: 1-line block ×8, first 2 shown]
	s_waitcnt vmcnt(1)
	ds_write_b128 v43, v[86:89]
	s_waitcnt vmcnt(0)
	ds_write_b128 v44, v[90:93]
	s_waitcnt lgkmcnt(0)
	s_barrier
	ds_read_b128 v[48:51], v42 offset:256
	ds_read2_b64 v[52:55], v34 offset1:32
	ds_read_b128 v[66:69], v42 offset:272
	ds_read_b128 v[70:73], v42 offset:288
	;; [unrolled: 1-line block ×3, first 2 shown]
	s_waitcnt lgkmcnt(4)
	v_mul_u32_u24_sdwa v78, v48, s31 dst_sel:DWORD dst_unused:UNUSED_PAD src0_sel:WORD_0 src1_sel:DWORD
	v_mul_u32_u24_sdwa v48, v48, s31 dst_sel:DWORD dst_unused:UNUSED_PAD src0_sel:WORD_1 src1_sel:DWORD
	v_mul_u32_u24_sdwa v79, v49, s31 dst_sel:DWORD dst_unused:UNUSED_PAD src0_sel:WORD_0 src1_sel:DWORD
	v_mul_u32_u24_sdwa v49, v49, s31 dst_sel:DWORD dst_unused:UNUSED_PAD src0_sel:WORD_1 src1_sel:DWORD
	s_waitcnt lgkmcnt(3)
	v_pk_fma_f16 v56, v52, v78, v56
	v_pk_fma_f16 v57, v52, v48, v57
	;; [unrolled: 1-line block ×8, first 2 shown]
	v_mul_u32_u24_sdwa v49, v50, s31 dst_sel:DWORD dst_unused:UNUSED_PAD src0_sel:WORD_0 src1_sel:DWORD
	v_mul_u32_u24_sdwa v50, v50, s31 dst_sel:DWORD dst_unused:UNUSED_PAD src0_sel:WORD_1 src1_sel:DWORD
	v_mul_u32_u24_sdwa v53, v51, s31 dst_sel:DWORD dst_unused:UNUSED_PAD src0_sel:WORD_0 src1_sel:DWORD
	v_mul_u32_u24_sdwa v51, v51, s31 dst_sel:DWORD dst_unused:UNUSED_PAD src0_sel:WORD_1 src1_sel:DWORD
	v_pk_fma_f16 v56, v54, v49, v56
	v_pk_fma_f16 v57, v54, v50, v57
	;; [unrolled: 1-line block ×8, first 2 shown]
	ds_read2_b64 v[48:51], v34 offset0:64 offset1:96
	s_waitcnt lgkmcnt(3)
	v_mul_u32_u24_sdwa v54, v66, s31 dst_sel:DWORD dst_unused:UNUSED_PAD src0_sel:WORD_0 src1_sel:DWORD
	v_mul_u32_u24_sdwa v55, v66, s31 dst_sel:DWORD dst_unused:UNUSED_PAD src0_sel:WORD_1 src1_sel:DWORD
	v_mul_u32_u24_sdwa v58, v67, s31 dst_sel:DWORD dst_unused:UNUSED_PAD src0_sel:WORD_0 src1_sel:DWORD
	v_mul_u32_u24_sdwa v65, v67, s31 dst_sel:DWORD dst_unused:UNUSED_PAD src0_sel:WORD_1 src1_sel:DWORD
	s_waitcnt lgkmcnt(0)
	v_pk_fma_f16 v56, v48, v54, v56
	v_pk_fma_f16 v57, v48, v55, v57
	;; [unrolled: 1-line block ×8, first 2 shown]
	v_mul_u32_u24_sdwa v49, v68, s31 dst_sel:DWORD dst_unused:UNUSED_PAD src0_sel:WORD_0 src1_sel:DWORD
	v_mul_u32_u24_sdwa v53, v68, s31 dst_sel:DWORD dst_unused:UNUSED_PAD src0_sel:WORD_1 src1_sel:DWORD
	v_mul_u32_u24_sdwa v54, v69, s31 dst_sel:DWORD dst_unused:UNUSED_PAD src0_sel:WORD_0 src1_sel:DWORD
	v_mul_u32_u24_sdwa v55, v69, s31 dst_sel:DWORD dst_unused:UNUSED_PAD src0_sel:WORD_1 src1_sel:DWORD
	v_pk_fma_f16 v56, v50, v49, v56
	v_pk_fma_f16 v57, v50, v53, v57
	;; [unrolled: 1-line block ×8, first 2 shown]
	ds_read2_b64 v[48:51], v34 offset0:128 offset1:160
	v_mul_u32_u24_sdwa v53, v70, s31 dst_sel:DWORD dst_unused:UNUSED_PAD src0_sel:WORD_0 src1_sel:DWORD
	v_mul_u32_u24_sdwa v54, v70, s31 dst_sel:DWORD dst_unused:UNUSED_PAD src0_sel:WORD_1 src1_sel:DWORD
	v_mul_u32_u24_sdwa v55, v71, s31 dst_sel:DWORD dst_unused:UNUSED_PAD src0_sel:WORD_0 src1_sel:DWORD
	v_mul_u32_u24_sdwa v65, v71, s31 dst_sel:DWORD dst_unused:UNUSED_PAD src0_sel:WORD_1 src1_sel:DWORD
	s_waitcnt lgkmcnt(0)
	v_pk_fma_f16 v56, v48, v53, v56
	v_pk_fma_f16 v57, v48, v54, v57
	;; [unrolled: 1-line block ×8, first 2 shown]
	v_mul_u32_u24_sdwa v49, v72, s31 dst_sel:DWORD dst_unused:UNUSED_PAD src0_sel:WORD_0 src1_sel:DWORD
	v_mul_u32_u24_sdwa v53, v72, s31 dst_sel:DWORD dst_unused:UNUSED_PAD src0_sel:WORD_1 src1_sel:DWORD
	v_mul_u32_u24_sdwa v54, v73, s31 dst_sel:DWORD dst_unused:UNUSED_PAD src0_sel:WORD_0 src1_sel:DWORD
	v_mul_u32_u24_sdwa v55, v73, s31 dst_sel:DWORD dst_unused:UNUSED_PAD src0_sel:WORD_1 src1_sel:DWORD
	v_pk_fma_f16 v56, v50, v49, v56
	v_pk_fma_f16 v57, v50, v53, v57
	;; [unrolled: 1-line block ×8, first 2 shown]
	ds_read2_b64 v[48:51], v34 offset0:192 offset1:224
	v_mul_u32_u24_sdwa v53, v74, s31 dst_sel:DWORD dst_unused:UNUSED_PAD src0_sel:WORD_0 src1_sel:DWORD
	v_mul_u32_u24_sdwa v54, v74, s31 dst_sel:DWORD dst_unused:UNUSED_PAD src0_sel:WORD_1 src1_sel:DWORD
	v_mul_u32_u24_sdwa v55, v75, s31 dst_sel:DWORD dst_unused:UNUSED_PAD src0_sel:WORD_0 src1_sel:DWORD
	v_mul_u32_u24_sdwa v65, v75, s31 dst_sel:DWORD dst_unused:UNUSED_PAD src0_sel:WORD_1 src1_sel:DWORD
	s_waitcnt lgkmcnt(0)
	v_pk_fma_f16 v56, v48, v53, v56
	v_pk_fma_f16 v57, v48, v54, v57
	;; [unrolled: 1-line block ×7, first 2 shown]
	v_mul_u32_u24_sdwa v52, v76, s31 dst_sel:DWORD dst_unused:UNUSED_PAD src0_sel:WORD_1 src1_sel:DWORD
	v_pk_fma_f16 v57, v50, v52, v57
	v_pk_fma_f16 v47, v51, v52, v47
	ds_read_b128 v[52:55], v42 offset:320
	v_pk_fma_f16 v23, v49, v65, v23
	v_mul_u32_u24_sdwa v49, v76, s31 dst_sel:DWORD dst_unused:UNUSED_PAD src0_sel:WORD_0 src1_sel:DWORD
	v_mul_u32_u24_sdwa v65, v77, s31 dst_sel:DWORD dst_unused:UNUSED_PAD src0_sel:WORD_0 src1_sel:DWORD
	v_mul_u32_u24_sdwa v66, v77, s31 dst_sel:DWORD dst_unused:UNUSED_PAD src0_sel:WORD_1 src1_sel:DWORD
	v_pk_fma_f16 v56, v50, v49, v56
	v_pk_fma_f16 v24, v50, v65, v24
	;; [unrolled: 1-line block ×6, first 2 shown]
	ds_read2_b64 v[48:51], v20 offset1:32
	ds_read_b128 v[66:69], v42 offset:336
	s_waitcnt lgkmcnt(2)
	v_mul_u32_u24_sdwa v65, v52, s31 dst_sel:DWORD dst_unused:UNUSED_PAD src0_sel:WORD_0 src1_sel:DWORD
	v_mul_u32_u24_sdwa v52, v52, s31 dst_sel:DWORD dst_unused:UNUSED_PAD src0_sel:WORD_1 src1_sel:DWORD
	v_mul_u32_u24_sdwa v71, v53, s31 dst_sel:DWORD dst_unused:UNUSED_PAD src0_sel:WORD_0 src1_sel:DWORD
	v_mul_u32_u24_sdwa v53, v53, s31 dst_sel:DWORD dst_unused:UNUSED_PAD src0_sel:WORD_1 src1_sel:DWORD
	s_waitcnt lgkmcnt(1)
	v_pk_fma_f16 v56, v48, v65, v56
	v_pk_fma_f16 v57, v48, v52, v57
	;; [unrolled: 1-line block ×8, first 2 shown]
	v_mul_u32_u24_sdwa v49, v54, s31 dst_sel:DWORD dst_unused:UNUSED_PAD src0_sel:WORD_0 src1_sel:DWORD
	v_mul_u32_u24_sdwa v53, v54, s31 dst_sel:DWORD dst_unused:UNUSED_PAD src0_sel:WORD_1 src1_sel:DWORD
	v_mul_u32_u24_sdwa v54, v55, s31 dst_sel:DWORD dst_unused:UNUSED_PAD src0_sel:WORD_0 src1_sel:DWORD
	v_mul_u32_u24_sdwa v55, v55, s31 dst_sel:DWORD dst_unused:UNUSED_PAD src0_sel:WORD_1 src1_sel:DWORD
	v_pk_fma_f16 v56, v50, v49, v56
	v_pk_fma_f16 v57, v50, v53, v57
	;; [unrolled: 1-line block ×8, first 2 shown]
	ds_read2_b64 v[48:51], v20 offset0:64 offset1:96
	s_waitcnt lgkmcnt(1)
	v_mul_u32_u24_sdwa v53, v66, s31 dst_sel:DWORD dst_unused:UNUSED_PAD src0_sel:WORD_0 src1_sel:DWORD
	v_mul_u32_u24_sdwa v54, v66, s31 dst_sel:DWORD dst_unused:UNUSED_PAD src0_sel:WORD_1 src1_sel:DWORD
	v_mul_u32_u24_sdwa v55, v67, s31 dst_sel:DWORD dst_unused:UNUSED_PAD src0_sel:WORD_0 src1_sel:DWORD
	v_mul_u32_u24_sdwa v65, v67, s31 dst_sel:DWORD dst_unused:UNUSED_PAD src0_sel:WORD_1 src1_sel:DWORD
	s_waitcnt lgkmcnt(0)
	v_pk_fma_f16 v56, v48, v53, v56
	v_pk_fma_f16 v57, v48, v54, v57
	;; [unrolled: 1-line block ×7, first 2 shown]
	v_mul_u32_u24_sdwa v52, v68, s31 dst_sel:DWORD dst_unused:UNUSED_PAD src0_sel:WORD_1 src1_sel:DWORD
	v_pk_fma_f16 v57, v50, v52, v57
	v_pk_fma_f16 v47, v51, v52, v47
	ds_read_b128 v[52:55], v42 offset:352
	v_pk_fma_f16 v23, v49, v65, v23
	v_mul_u32_u24_sdwa v49, v68, s31 dst_sel:DWORD dst_unused:UNUSED_PAD src0_sel:WORD_0 src1_sel:DWORD
	v_mul_u32_u24_sdwa v65, v69, s31 dst_sel:DWORD dst_unused:UNUSED_PAD src0_sel:WORD_0 src1_sel:DWORD
	v_mul_u32_u24_sdwa v66, v69, s31 dst_sel:DWORD dst_unused:UNUSED_PAD src0_sel:WORD_1 src1_sel:DWORD
	v_pk_fma_f16 v56, v50, v49, v56
	v_pk_fma_f16 v24, v50, v65, v24
	;; [unrolled: 1-line block ×6, first 2 shown]
	ds_read2_b64 v[48:51], v20 offset0:128 offset1:160
	ds_read_b128 v[66:69], v42 offset:368
	s_waitcnt lgkmcnt(2)
	v_mul_u32_u24_sdwa v65, v52, s31 dst_sel:DWORD dst_unused:UNUSED_PAD src0_sel:WORD_0 src1_sel:DWORD
	v_mul_u32_u24_sdwa v52, v52, s31 dst_sel:DWORD dst_unused:UNUSED_PAD src0_sel:WORD_1 src1_sel:DWORD
	v_mul_u32_u24_sdwa v71, v53, s31 dst_sel:DWORD dst_unused:UNUSED_PAD src0_sel:WORD_0 src1_sel:DWORD
	v_mul_u32_u24_sdwa v53, v53, s31 dst_sel:DWORD dst_unused:UNUSED_PAD src0_sel:WORD_1 src1_sel:DWORD
	s_waitcnt lgkmcnt(1)
	v_pk_fma_f16 v56, v48, v65, v56
	v_pk_fma_f16 v57, v48, v52, v57
	;; [unrolled: 1-line block ×8, first 2 shown]
	v_mul_u32_u24_sdwa v49, v54, s31 dst_sel:DWORD dst_unused:UNUSED_PAD src0_sel:WORD_0 src1_sel:DWORD
	v_mul_u32_u24_sdwa v53, v54, s31 dst_sel:DWORD dst_unused:UNUSED_PAD src0_sel:WORD_1 src1_sel:DWORD
	v_mul_u32_u24_sdwa v54, v55, s31 dst_sel:DWORD dst_unused:UNUSED_PAD src0_sel:WORD_0 src1_sel:DWORD
	v_mul_u32_u24_sdwa v55, v55, s31 dst_sel:DWORD dst_unused:UNUSED_PAD src0_sel:WORD_1 src1_sel:DWORD
	v_pk_fma_f16 v56, v50, v49, v56
	v_pk_fma_f16 v57, v50, v53, v57
	;; [unrolled: 1-line block ×8, first 2 shown]
	ds_read2_b64 v[48:51], v20 offset0:192 offset1:224
	s_waitcnt lgkmcnt(1)
	v_mul_u32_u24_sdwa v20, v66, s31 dst_sel:DWORD dst_unused:UNUSED_PAD src0_sel:WORD_0 src1_sel:DWORD
	v_mul_u32_u24_sdwa v53, v66, s31 dst_sel:DWORD dst_unused:UNUSED_PAD src0_sel:WORD_1 src1_sel:DWORD
	v_mul_u32_u24_sdwa v54, v67, s31 dst_sel:DWORD dst_unused:UNUSED_PAD src0_sel:WORD_0 src1_sel:DWORD
	v_mul_u32_u24_sdwa v55, v67, s31 dst_sel:DWORD dst_unused:UNUSED_PAD src0_sel:WORD_1 src1_sel:DWORD
	s_waitcnt lgkmcnt(0)
	v_pk_fma_f16 v56, v48, v20, v56
	v_pk_fma_f16 v57, v48, v53, v57
	;; [unrolled: 1-line block ×6, first 2 shown]
	v_mul_u32_u24_sdwa v52, v68, s31 dst_sel:DWORD dst_unused:UNUSED_PAD src0_sel:WORD_1 src1_sel:DWORD
	v_pk_fma_f16 v23, v49, v55, v23
	v_pk_fma_f16 v57, v50, v52, v57
	;; [unrolled: 1-line block ×3, first 2 shown]
	ds_read_b128 v[52:55], v42 offset:384
	v_pk_fma_f16 v20, v49, v20, v58
	v_mul_u32_u24_sdwa v49, v68, s31 dst_sel:DWORD dst_unused:UNUSED_PAD src0_sel:WORD_0 src1_sel:DWORD
	v_mul_u32_u24_sdwa v58, v69, s31 dst_sel:DWORD dst_unused:UNUSED_PAD src0_sel:WORD_0 src1_sel:DWORD
	v_mul_u32_u24_sdwa v65, v69, s31 dst_sel:DWORD dst_unused:UNUSED_PAD src0_sel:WORD_1 src1_sel:DWORD
	v_pk_fma_f16 v56, v50, v49, v56
	v_pk_fma_f16 v24, v50, v58, v24
	;; [unrolled: 1-line block ×6, first 2 shown]
	ds_read2_b64 v[48:51], v21 offset1:32
	ds_read_b128 v[66:69], v42 offset:400
	s_waitcnt lgkmcnt(2)
	v_mul_u32_u24_sdwa v65, v52, s31 dst_sel:DWORD dst_unused:UNUSED_PAD src0_sel:WORD_0 src1_sel:DWORD
	v_mul_u32_u24_sdwa v52, v52, s31 dst_sel:DWORD dst_unused:UNUSED_PAD src0_sel:WORD_1 src1_sel:DWORD
	v_mul_u32_u24_sdwa v70, v53, s31 dst_sel:DWORD dst_unused:UNUSED_PAD src0_sel:WORD_0 src1_sel:DWORD
	v_mul_u32_u24_sdwa v53, v53, s31 dst_sel:DWORD dst_unused:UNUSED_PAD src0_sel:WORD_1 src1_sel:DWORD
	s_waitcnt lgkmcnt(1)
	v_pk_fma_f16 v56, v48, v65, v56
	v_pk_fma_f16 v57, v48, v52, v57
	;; [unrolled: 1-line block ×8, first 2 shown]
	v_mul_u32_u24_sdwa v49, v54, s31 dst_sel:DWORD dst_unused:UNUSED_PAD src0_sel:WORD_0 src1_sel:DWORD
	v_mul_u32_u24_sdwa v52, v54, s31 dst_sel:DWORD dst_unused:UNUSED_PAD src0_sel:WORD_1 src1_sel:DWORD
	v_mul_u32_u24_sdwa v53, v55, s31 dst_sel:DWORD dst_unused:UNUSED_PAD src0_sel:WORD_0 src1_sel:DWORD
	v_mul_u32_u24_sdwa v54, v55, s31 dst_sel:DWORD dst_unused:UNUSED_PAD src0_sel:WORD_1 src1_sel:DWORD
	v_pk_fma_f16 v55, v50, v49, v56
	v_pk_fma_f16 v56, v50, v52, v57
	;; [unrolled: 1-line block ×8, first 2 shown]
	ds_read2_b64 v[48:51], v21 offset0:64 offset1:96
	s_waitcnt lgkmcnt(1)
	v_mul_u32_u24_sdwa v53, v66, s31 dst_sel:DWORD dst_unused:UNUSED_PAD src0_sel:WORD_0 src1_sel:DWORD
	v_mul_u32_u24_sdwa v54, v66, s31 dst_sel:DWORD dst_unused:UNUSED_PAD src0_sel:WORD_1 src1_sel:DWORD
	v_mul_u32_u24_sdwa v57, v67, s31 dst_sel:DWORD dst_unused:UNUSED_PAD src0_sel:WORD_0 src1_sel:DWORD
	v_mul_u32_u24_sdwa v58, v67, s31 dst_sel:DWORD dst_unused:UNUSED_PAD src0_sel:WORD_1 src1_sel:DWORD
	s_waitcnt lgkmcnt(0)
	v_pk_fma_f16 v55, v48, v53, v55
	v_pk_fma_f16 v56, v48, v54, v56
	;; [unrolled: 1-line block ×8, first 2 shown]
	v_mul_u32_u24_sdwa v49, v68, s31 dst_sel:DWORD dst_unused:UNUSED_PAD src0_sel:WORD_0 src1_sel:DWORD
	v_mul_u32_u24_sdwa v52, v68, s31 dst_sel:DWORD dst_unused:UNUSED_PAD src0_sel:WORD_1 src1_sel:DWORD
	v_pk_fma_f16 v65, v50, v49, v55
	v_pk_fma_f16 v56, v50, v52, v56
	;; [unrolled: 1-line block ×3, first 2 shown]
	ds_read_b128 v[52:55], v42 offset:416
	v_mul_u32_u24_sdwa v57, v69, s31 dst_sel:DWORD dst_unused:UNUSED_PAD src0_sel:WORD_0 src1_sel:DWORD
	v_mul_u32_u24_sdwa v58, v69, s31 dst_sel:DWORD dst_unused:UNUSED_PAD src0_sel:WORD_1 src1_sel:DWORD
	v_pk_fma_f16 v24, v50, v57, v24
	v_pk_fma_f16 v25, v50, v58, v25
	;; [unrolled: 1-line block ×5, first 2 shown]
	ds_read2_b64 v[48:51], v21 offset0:128 offset1:160
	ds_read_b128 v[66:69], v42 offset:432
	s_waitcnt lgkmcnt(2)
	v_mul_u32_u24_sdwa v58, v52, s31 dst_sel:DWORD dst_unused:UNUSED_PAD src0_sel:WORD_0 src1_sel:DWORD
	v_mul_u32_u24_sdwa v52, v52, s31 dst_sel:DWORD dst_unused:UNUSED_PAD src0_sel:WORD_1 src1_sel:DWORD
	v_mul_u32_u24_sdwa v70, v53, s31 dst_sel:DWORD dst_unused:UNUSED_PAD src0_sel:WORD_0 src1_sel:DWORD
	v_mul_u32_u24_sdwa v53, v53, s31 dst_sel:DWORD dst_unused:UNUSED_PAD src0_sel:WORD_1 src1_sel:DWORD
	s_waitcnt lgkmcnt(1)
	v_pk_fma_f16 v65, v48, v58, v65
	v_pk_fma_f16 v56, v48, v52, v56
	;; [unrolled: 1-line block ×8, first 2 shown]
	v_mul_u32_u24_sdwa v49, v54, s31 dst_sel:DWORD dst_unused:UNUSED_PAD src0_sel:WORD_0 src1_sel:DWORD
	v_mul_u32_u24_sdwa v52, v54, s31 dst_sel:DWORD dst_unused:UNUSED_PAD src0_sel:WORD_1 src1_sel:DWORD
	v_mul_u32_u24_sdwa v53, v55, s31 dst_sel:DWORD dst_unused:UNUSED_PAD src0_sel:WORD_0 src1_sel:DWORD
	v_mul_u32_u24_sdwa v54, v55, s31 dst_sel:DWORD dst_unused:UNUSED_PAD src0_sel:WORD_1 src1_sel:DWORD
	v_pk_fma_f16 v55, v50, v49, v65
	v_pk_fma_f16 v56, v50, v52, v56
	;; [unrolled: 1-line block ×8, first 2 shown]
	ds_read2_b64 v[48:51], v21 offset0:192 offset1:224
	s_waitcnt lgkmcnt(1)
	v_mul_u32_u24_sdwa v21, v66, s31 dst_sel:DWORD dst_unused:UNUSED_PAD src0_sel:WORD_0 src1_sel:DWORD
	v_mul_u32_u24_sdwa v53, v66, s31 dst_sel:DWORD dst_unused:UNUSED_PAD src0_sel:WORD_1 src1_sel:DWORD
	v_mul_u32_u24_sdwa v54, v67, s31 dst_sel:DWORD dst_unused:UNUSED_PAD src0_sel:WORD_0 src1_sel:DWORD
	v_mul_u32_u24_sdwa v57, v67, s31 dst_sel:DWORD dst_unused:UNUSED_PAD src0_sel:WORD_1 src1_sel:DWORD
	s_waitcnt lgkmcnt(0)
	v_pk_fma_f16 v55, v48, v21, v55
	v_pk_fma_f16 v56, v48, v53, v56
	;; [unrolled: 1-line block ×4, first 2 shown]
	v_mul_u32_u24_sdwa v48, v68, s31 dst_sel:DWORD dst_unused:UNUSED_PAD src0_sel:WORD_0 src1_sel:DWORD
	v_pk_fma_f16 v20, v49, v21, v20
	v_pk_fma_f16 v21, v49, v53, v47
	v_pk_fma_f16 v47, v49, v54, v52
	v_pk_fma_f16 v65, v50, v48, v55
	ds_read_b128 v[52:55], v42 offset:448
	v_pk_fma_f16 v23, v49, v57, v23
	v_mul_u32_u24_sdwa v49, v68, s31 dst_sel:DWORD dst_unused:UNUSED_PAD src0_sel:WORD_1 src1_sel:DWORD
	v_mul_u32_u24_sdwa v57, v69, s31 dst_sel:DWORD dst_unused:UNUSED_PAD src0_sel:WORD_0 src1_sel:DWORD
	v_mul_u32_u24_sdwa v58, v69, s31 dst_sel:DWORD dst_unused:UNUSED_PAD src0_sel:WORD_1 src1_sel:DWORD
	v_pk_fma_f16 v56, v50, v49, v56
	v_pk_fma_f16 v24, v50, v57, v24
	;; [unrolled: 1-line block ×7, first 2 shown]
	ds_read2_b64 v[48:51], v22 offset1:32
	ds_read_b128 v[66:69], v42 offset:464
	s_waitcnt lgkmcnt(2)
	v_mul_u32_u24_sdwa v57, v52, s31 dst_sel:DWORD dst_unused:UNUSED_PAD src0_sel:WORD_0 src1_sel:DWORD
	v_mul_u32_u24_sdwa v52, v52, s31 dst_sel:DWORD dst_unused:UNUSED_PAD src0_sel:WORD_1 src1_sel:DWORD
	v_mul_u32_u24_sdwa v58, v53, s31 dst_sel:DWORD dst_unused:UNUSED_PAD src0_sel:WORD_0 src1_sel:DWORD
	v_mul_u32_u24_sdwa v53, v53, s31 dst_sel:DWORD dst_unused:UNUSED_PAD src0_sel:WORD_1 src1_sel:DWORD
	s_waitcnt lgkmcnt(1)
	v_pk_fma_f16 v65, v48, v57, v65
	v_pk_fma_f16 v56, v48, v52, v56
	;; [unrolled: 1-line block ×8, first 2 shown]
	v_mul_u32_u24_sdwa v48, v54, s31 dst_sel:DWORD dst_unused:UNUSED_PAD src0_sel:WORD_0 src1_sel:DWORD
	v_mul_u32_u24_sdwa v49, v54, s31 dst_sel:DWORD dst_unused:UNUSED_PAD src0_sel:WORD_1 src1_sel:DWORD
	v_mul_u32_u24_sdwa v52, v55, s31 dst_sel:DWORD dst_unused:UNUSED_PAD src0_sel:WORD_0 src1_sel:DWORD
	v_mul_u32_u24_sdwa v53, v55, s31 dst_sel:DWORD dst_unused:UNUSED_PAD src0_sel:WORD_1 src1_sel:DWORD
	v_pk_fma_f16 v54, v50, v48, v65
	v_pk_fma_f16 v55, v50, v49, v56
	;; [unrolled: 1-line block ×8, first 2 shown]
	ds_read2_b64 v[48:51], v22 offset0:64 offset1:96
	s_waitcnt lgkmcnt(1)
	v_mul_u32_u24_sdwa v52, v66, s31 dst_sel:DWORD dst_unused:UNUSED_PAD src0_sel:WORD_0 src1_sel:DWORD
	v_mul_u32_u24_sdwa v53, v66, s31 dst_sel:DWORD dst_unused:UNUSED_PAD src0_sel:WORD_1 src1_sel:DWORD
	v_mul_u32_u24_sdwa v56, v67, s31 dst_sel:DWORD dst_unused:UNUSED_PAD src0_sel:WORD_0 src1_sel:DWORD
	v_mul_u32_u24_sdwa v57, v67, s31 dst_sel:DWORD dst_unused:UNUSED_PAD src0_sel:WORD_1 src1_sel:DWORD
	s_waitcnt lgkmcnt(0)
	v_pk_fma_f16 v54, v48, v52, v54
	v_pk_fma_f16 v55, v48, v53, v55
	;; [unrolled: 1-line block ×8, first 2 shown]
	v_mul_u32_u24_sdwa v48, v68, s31 dst_sel:DWORD dst_unused:UNUSED_PAD src0_sel:WORD_0 src1_sel:DWORD
	v_mul_u32_u24_sdwa v49, v68, s31 dst_sel:DWORD dst_unused:UNUSED_PAD src0_sel:WORD_1 src1_sel:DWORD
	v_pk_fma_f16 v58, v50, v48, v54
	v_pk_fma_f16 v65, v50, v49, v55
	ds_read_b128 v[52:55], v42 offset:480
	v_mul_u32_u24_sdwa v56, v69, s31 dst_sel:DWORD dst_unused:UNUSED_PAD src0_sel:WORD_0 src1_sel:DWORD
	v_mul_u32_u24_sdwa v57, v69, s31 dst_sel:DWORD dst_unused:UNUSED_PAD src0_sel:WORD_1 src1_sel:DWORD
	v_pk_fma_f16 v24, v50, v56, v24
	v_pk_fma_f16 v25, v50, v57, v25
	;; [unrolled: 1-line block ×6, first 2 shown]
	ds_read2_b64 v[48:51], v22 offset0:128 offset1:160
	ds_read_b128 v[66:69], v42 offset:496
	s_waitcnt lgkmcnt(2)
	v_mul_u32_u24_sdwa v56, v52, s31 dst_sel:DWORD dst_unused:UNUSED_PAD src0_sel:WORD_0 src1_sel:DWORD
	v_mul_u32_u24_sdwa v52, v52, s31 dst_sel:DWORD dst_unused:UNUSED_PAD src0_sel:WORD_1 src1_sel:DWORD
	v_mul_u32_u24_sdwa v57, v53, s31 dst_sel:DWORD dst_unused:UNUSED_PAD src0_sel:WORD_0 src1_sel:DWORD
	v_mul_u32_u24_sdwa v53, v53, s31 dst_sel:DWORD dst_unused:UNUSED_PAD src0_sel:WORD_1 src1_sel:DWORD
	s_waitcnt lgkmcnt(1)
	v_pk_fma_f16 v58, v48, v56, v58
	v_pk_fma_f16 v65, v48, v52, v65
	;; [unrolled: 1-line block ×8, first 2 shown]
	v_mul_u32_u24_sdwa v48, v54, s31 dst_sel:DWORD dst_unused:UNUSED_PAD src0_sel:WORD_0 src1_sel:DWORD
	v_mul_u32_u24_sdwa v49, v54, s31 dst_sel:DWORD dst_unused:UNUSED_PAD src0_sel:WORD_1 src1_sel:DWORD
	v_mul_u32_u24_sdwa v52, v55, s31 dst_sel:DWORD dst_unused:UNUSED_PAD src0_sel:WORD_0 src1_sel:DWORD
	v_mul_u32_u24_sdwa v53, v55, s31 dst_sel:DWORD dst_unused:UNUSED_PAD src0_sel:WORD_1 src1_sel:DWORD
	v_pk_fma_f16 v54, v50, v48, v58
	v_pk_fma_f16 v55, v50, v49, v65
	;; [unrolled: 1-line block ×7, first 2 shown]
	ds_read2_b64 v[20:23], v22 offset0:192 offset1:224
	s_waitcnt lgkmcnt(0)
	s_barrier
	s_load_dword s6, s[4:5], 0x4
	v_pk_fma_f16 v47, v51, v52, v47
	v_mul_u32_u24_sdwa v51, v66, s31 dst_sel:DWORD dst_unused:UNUSED_PAD src0_sel:WORD_0 src1_sel:DWORD
	v_mul_u32_u24_sdwa v52, v66, s31 dst_sel:DWORD dst_unused:UNUSED_PAD src0_sel:WORD_1 src1_sel:DWORD
	v_mul_u32_u24_sdwa v53, v67, s31 dst_sel:DWORD dst_unused:UNUSED_PAD src0_sel:WORD_0 src1_sel:DWORD
	v_mul_u32_u24_sdwa v56, v67, s31 dst_sel:DWORD dst_unused:UNUSED_PAD src0_sel:WORD_1 src1_sel:DWORD
	s_waitcnt lgkmcnt(0)
	s_lshl_b32 s6, s6, 6
	v_pk_fma_f16 v54, v20, v51, v54
	v_pk_fma_f16 v55, v20, v52, v55
	;; [unrolled: 1-line block ×8, first 2 shown]
	v_mul_u32_u24_sdwa v21, v68, s31 dst_sel:DWORD dst_unused:UNUSED_PAD src0_sel:WORD_0 src1_sel:DWORD
	v_mul_u32_u24_sdwa v50, v68, s31 dst_sel:DWORD dst_unused:UNUSED_PAD src0_sel:WORD_1 src1_sel:DWORD
	v_mul_u32_u24_sdwa v58, v69, s31 dst_sel:DWORD dst_unused:UNUSED_PAD src0_sel:WORD_0 src1_sel:DWORD
	v_mul_u32_u24_sdwa v65, v69, s31 dst_sel:DWORD dst_unused:UNUSED_PAD src0_sel:WORD_1 src1_sel:DWORD
	s_add_i32 s2, s6, s2
	v_pk_fma_f16 v52, v22, v21, v54
	v_pk_fma_f16 v51, v22, v50, v55
	;; [unrolled: 1-line block ×7, first 2 shown]
	s_cmp_ge_i32 s2, s30
	v_pk_fma_f16 v47, v23, v65, v56
	s_cbranch_scc1 .LBB81_7
; %bb.64:                               ;   in Loop: Header=BB81_31 Depth=1
	v_mov_b32_e32 v20, v0
	v_mov_b32_e32 v23, v1
	;; [unrolled: 1-line block ×4, first 2 shown]
	s_branch .LBB81_31
	.section	.rodata,"a",@progbits
	.p2align	6, 0x0
	.amdhsa_kernel _ZL15flash_attn_tileILi128ELi128ELi16ELi2ELb1EEvPKcS1_S1_S1_S1_PKiPfP15HIP_vector_typeIfLj2EEffffjfiS5_IjLj3EEiiiiiiiiiiiliiliiiiil
		.amdhsa_group_segment_fixed_size 21504
		.amdhsa_private_segment_fixed_size 0
		.amdhsa_kernarg_size 464
		.amdhsa_user_sgpr_count 2
		.amdhsa_user_sgpr_dispatch_ptr 0
		.amdhsa_user_sgpr_queue_ptr 0
		.amdhsa_user_sgpr_kernarg_segment_ptr 1
		.amdhsa_user_sgpr_dispatch_id 0
		.amdhsa_user_sgpr_kernarg_preload_length 0
		.amdhsa_user_sgpr_kernarg_preload_offset 0
		.amdhsa_user_sgpr_private_segment_size 0
		.amdhsa_uses_dynamic_stack 0
		.amdhsa_enable_private_segment 0
		.amdhsa_system_sgpr_workgroup_id_x 1
		.amdhsa_system_sgpr_workgroup_id_y 1
		.amdhsa_system_sgpr_workgroup_id_z 1
		.amdhsa_system_sgpr_workgroup_info 0
		.amdhsa_system_vgpr_workitem_id 1
		.amdhsa_next_free_vgpr 100
		.amdhsa_next_free_sgpr 75
		.amdhsa_accum_offset 100
		.amdhsa_reserve_vcc 1
		.amdhsa_float_round_mode_32 0
		.amdhsa_float_round_mode_16_64 0
		.amdhsa_float_denorm_mode_32 3
		.amdhsa_float_denorm_mode_16_64 3
		.amdhsa_dx10_clamp 1
		.amdhsa_ieee_mode 1
		.amdhsa_fp16_overflow 0
		.amdhsa_tg_split 0
		.amdhsa_exception_fp_ieee_invalid_op 0
		.amdhsa_exception_fp_denorm_src 0
		.amdhsa_exception_fp_ieee_div_zero 0
		.amdhsa_exception_fp_ieee_overflow 0
		.amdhsa_exception_fp_ieee_underflow 0
		.amdhsa_exception_fp_ieee_inexact 0
		.amdhsa_exception_int_div_zero 0
	.end_amdhsa_kernel
	.section	.text._ZL15flash_attn_tileILi128ELi128ELi16ELi2ELb1EEvPKcS1_S1_S1_S1_PKiPfP15HIP_vector_typeIfLj2EEffffjfiS5_IjLj3EEiiiiiiiiiiiliiliiiiil,"axG",@progbits,_ZL15flash_attn_tileILi128ELi128ELi16ELi2ELb1EEvPKcS1_S1_S1_S1_PKiPfP15HIP_vector_typeIfLj2EEffffjfiS5_IjLj3EEiiiiiiiiiiiliiliiiiil,comdat
.Lfunc_end81:
	.size	_ZL15flash_attn_tileILi128ELi128ELi16ELi2ELb1EEvPKcS1_S1_S1_S1_PKiPfP15HIP_vector_typeIfLj2EEffffjfiS5_IjLj3EEiiiiiiiiiiiliiliiiiil, .Lfunc_end81-_ZL15flash_attn_tileILi128ELi128ELi16ELi2ELb1EEvPKcS1_S1_S1_S1_PKiPfP15HIP_vector_typeIfLj2EEffffjfiS5_IjLj3EEiiiiiiiiiiiliiliiiiil
                                        ; -- End function
	.set _ZL15flash_attn_tileILi128ELi128ELi16ELi2ELb1EEvPKcS1_S1_S1_S1_PKiPfP15HIP_vector_typeIfLj2EEffffjfiS5_IjLj3EEiiiiiiiiiiiliiliiiiil.num_vgpr, 100
	.set _ZL15flash_attn_tileILi128ELi128ELi16ELi2ELb1EEvPKcS1_S1_S1_S1_PKiPfP15HIP_vector_typeIfLj2EEffffjfiS5_IjLj3EEiiiiiiiiiiiliiliiiiil.num_agpr, 0
	.set _ZL15flash_attn_tileILi128ELi128ELi16ELi2ELb1EEvPKcS1_S1_S1_S1_PKiPfP15HIP_vector_typeIfLj2EEffffjfiS5_IjLj3EEiiiiiiiiiiiliiliiiiil.numbered_sgpr, 44
	.set _ZL15flash_attn_tileILi128ELi128ELi16ELi2ELb1EEvPKcS1_S1_S1_S1_PKiPfP15HIP_vector_typeIfLj2EEffffjfiS5_IjLj3EEiiiiiiiiiiiliiliiiiil.num_named_barrier, 0
	.set _ZL15flash_attn_tileILi128ELi128ELi16ELi2ELb1EEvPKcS1_S1_S1_S1_PKiPfP15HIP_vector_typeIfLj2EEffffjfiS5_IjLj3EEiiiiiiiiiiiliiliiiiil.private_seg_size, 0
	.set _ZL15flash_attn_tileILi128ELi128ELi16ELi2ELb1EEvPKcS1_S1_S1_S1_PKiPfP15HIP_vector_typeIfLj2EEffffjfiS5_IjLj3EEiiiiiiiiiiiliiliiiiil.uses_vcc, 1
	.set _ZL15flash_attn_tileILi128ELi128ELi16ELi2ELb1EEvPKcS1_S1_S1_S1_PKiPfP15HIP_vector_typeIfLj2EEffffjfiS5_IjLj3EEiiiiiiiiiiiliiliiiiil.uses_flat_scratch, 0
	.set _ZL15flash_attn_tileILi128ELi128ELi16ELi2ELb1EEvPKcS1_S1_S1_S1_PKiPfP15HIP_vector_typeIfLj2EEffffjfiS5_IjLj3EEiiiiiiiiiiiliiliiiiil.has_dyn_sized_stack, 0
	.set _ZL15flash_attn_tileILi128ELi128ELi16ELi2ELb1EEvPKcS1_S1_S1_S1_PKiPfP15HIP_vector_typeIfLj2EEffffjfiS5_IjLj3EEiiiiiiiiiiiliiliiiiil.has_recursion, 0
	.set _ZL15flash_attn_tileILi128ELi128ELi16ELi2ELb1EEvPKcS1_S1_S1_S1_PKiPfP15HIP_vector_typeIfLj2EEffffjfiS5_IjLj3EEiiiiiiiiiiiliiliiiiil.has_indirect_call, 0
	.section	.AMDGPU.csdata,"",@progbits
; Kernel info:
; codeLenInByte = 25712
; TotalNumSgprs: 50
; NumVgprs: 100
; NumAgprs: 0
; TotalNumVgprs: 100
; ScratchSize: 0
; MemoryBound: 0
; FloatMode: 240
; IeeeMode: 1
; LDSByteSize: 21504 bytes/workgroup (compile time only)
; SGPRBlocks: 10
; VGPRBlocks: 12
; NumSGPRsForWavesPerEU: 81
; NumVGPRsForWavesPerEU: 100
; AccumOffset: 100
; Occupancy: 4
; WaveLimiterHint : 1
; COMPUTE_PGM_RSRC2:SCRATCH_EN: 0
; COMPUTE_PGM_RSRC2:USER_SGPR: 2
; COMPUTE_PGM_RSRC2:TRAP_HANDLER: 0
; COMPUTE_PGM_RSRC2:TGID_X_EN: 1
; COMPUTE_PGM_RSRC2:TGID_Y_EN: 1
; COMPUTE_PGM_RSRC2:TGID_Z_EN: 1
; COMPUTE_PGM_RSRC2:TIDIG_COMP_CNT: 1
; COMPUTE_PGM_RSRC3_GFX90A:ACCUM_OFFSET: 24
; COMPUTE_PGM_RSRC3_GFX90A:TG_SPLIT: 0
	.section	.text._ZL15flash_attn_tileILi128ELi128ELi8ELi2ELb1EEvPKcS1_S1_S1_S1_PKiPfP15HIP_vector_typeIfLj2EEffffjfiS5_IjLj3EEiiiiiiiiiiiliiliiiiil,"axG",@progbits,_ZL15flash_attn_tileILi128ELi128ELi8ELi2ELb1EEvPKcS1_S1_S1_S1_PKiPfP15HIP_vector_typeIfLj2EEffffjfiS5_IjLj3EEiiiiiiiiiiiliiliiiiil,comdat
	.globl	_ZL15flash_attn_tileILi128ELi128ELi8ELi2ELb1EEvPKcS1_S1_S1_S1_PKiPfP15HIP_vector_typeIfLj2EEffffjfiS5_IjLj3EEiiiiiiiiiiiliiliiiiil ; -- Begin function _ZL15flash_attn_tileILi128ELi128ELi8ELi2ELb1EEvPKcS1_S1_S1_S1_PKiPfP15HIP_vector_typeIfLj2EEffffjfiS5_IjLj3EEiiiiiiiiiiiliiliiiiil
	.p2align	8
	.type	_ZL15flash_attn_tileILi128ELi128ELi8ELi2ELb1EEvPKcS1_S1_S1_S1_PKiPfP15HIP_vector_typeIfLj2EEffffjfiS5_IjLj3EEiiiiiiiiiiiliiliiiiil,@function
_ZL15flash_attn_tileILi128ELi128ELi8ELi2ELb1EEvPKcS1_S1_S1_S1_PKiPfP15HIP_vector_typeIfLj2EEffffjfiS5_IjLj3EEiiiiiiiiiiiliiliiiiil: ; @_ZL15flash_attn_tileILi128ELi128ELi8ELi2ELb1EEvPKcS1_S1_S1_S1_PKiPfP15HIP_vector_typeIfLj2EEffffjfiS5_IjLj3EEiiiiiiiiiiiliiliiiiil
; %bb.0:
	s_load_dwordx4 s[20:23], s[0:1], 0x5c
	s_load_dwordx2 s[30:31], s[0:1], 0x80
	s_load_dwordx2 s[36:37], s[0:1], 0xb8
	s_mov_b64 s[34:35], 0
	s_waitcnt lgkmcnt(0)
	s_lshr_b32 s5, s23, 31
	s_add_i32 s5, s23, s5
	s_ashr_i32 s5, s5, 1
	v_cvt_f32_u32_e32 v1, s5
	s_sub_i32 s6, 0, s5
	v_rcp_iflag_f32_e32 v1, v1
	s_nop 0
	v_mul_f32_e32 v1, 0x4f7ffffe, v1
	v_cvt_u32_f32_e32 v1, v1
	s_nop 0
	v_readfirstlane_b32 s7, v1
	s_mul_i32 s6, s6, s7
	s_mul_hi_u32 s6, s7, s6
	s_add_i32 s7, s7, s6
	s_mul_hi_u32 s6, s4, s7
	s_mul_i32 s7, s6, s5
	s_sub_i32 s7, s4, s7
	s_add_i32 s8, s6, 1
	s_sub_i32 s9, s7, s5
	s_cmp_ge_u32 s7, s5
	s_cselect_b32 s6, s8, s6
	s_cselect_b32 s7, s9, s7
	s_add_i32 s8, s6, 1
	s_cmp_ge_u32 s7, s5
	s_cselect_b32 s33, s8, s6
	s_abs_i32 s5, s31
	v_cvt_f32_u32_e32 v1, s5
	s_lshl_b32 s4, s4, 1
	s_mul_i32 s8, s33, s23
	s_sub_i32 s9, 0, s5
	v_rcp_iflag_f32_e32 v1, v1
	s_sub_i32 s28, s4, s8
	s_abs_i32 s7, s23
	s_xor_b32 s6, s23, s31
	v_mul_f32_e32 v1, 0x4f7ffffe, v1
	v_cvt_u32_f32_e32 v1, v1
	s_ashr_i32 s6, s6, 31
	v_readfirstlane_b32 s4, v1
	s_mul_i32 s9, s9, s4
	s_mul_hi_u32 s8, s4, s9
	s_add_i32 s4, s4, s8
	s_mul_hi_u32 s4, s7, s4
	s_mul_i32 s8, s4, s5
	s_sub_i32 s7, s7, s8
	s_add_i32 s9, s4, 1
	s_sub_i32 s8, s7, s5
	s_cmp_ge_u32 s7, s5
	s_cselect_b32 s4, s9, s4
	s_cselect_b32 s7, s8, s7
	s_add_i32 s8, s4, 1
	s_cmp_ge_u32 s7, s5
	s_cselect_b32 s4, s8, s4
	s_xor_b32 s4, s4, s6
	s_sub_i32 s31, s4, s6
	s_abs_i32 s29, s31
	v_cvt_f32_u32_e32 v1, s29
	s_load_dwordx16 s[4:19], s[0:1], 0x0
	v_rcp_iflag_f32_e32 v1, v1
	s_waitcnt lgkmcnt(0)
	s_cmp_eq_u64 s[10:11], 0
	v_mul_f32_e32 v1, 0x4f7ffffe, v1
	v_cvt_u32_f32_e32 v1, v1
	s_nop 0
	v_readfirstlane_b32 s38, v1
	s_cbranch_scc1 .LBB82_2
; %bb.1:
	s_abs_i32 s26, s36
	v_cvt_f32_u32_e32 v1, s26
	s_sub_i32 s35, 0, s26
	s_abs_i32 s34, s33
	s_ashr_i32 s27, s33, 31
	v_rcp_iflag_f32_e32 v1, v1
	s_load_dwordx2 s[24:25], s[0:1], 0xc8
	v_mul_f32_e32 v1, 0x4f7ffffe, v1
	v_cvt_u32_f32_e32 v1, v1
	s_nop 0
	v_readfirstlane_b32 s36, v1
	s_mul_i32 s35, s35, s36
	s_mul_hi_u32 s35, s36, s35
	s_add_i32 s36, s36, s35
	s_mul_hi_u32 s35, s34, s36
	s_mul_i32 s35, s35, s26
	s_sub_i32 s34, s34, s35
	s_sub_i32 s35, s34, s26
	s_cmp_ge_u32 s34, s26
	s_cselect_b32 s34, s35, s34
	s_sub_i32 s35, s34, s26
	s_cmp_ge_u32 s34, s26
	s_cselect_b32 s26, s35, s34
	s_xor_b32 s26, s26, s27
	s_sub_i32 s26, s26, s27
	s_ashr_i32 s27, s26, 31
	s_waitcnt lgkmcnt(0)
	s_mul_hi_u32 s34, s24, s26
	s_mul_i32 s27, s24, s27
	s_mul_i32 s25, s25, s26
	s_add_i32 s27, s34, s27
	s_add_i32 s27, s27, s25
	s_mul_i32 s24, s24, s26
	s_add_u32 s34, s10, s24
	s_addc_u32 s35, s11, s27
.LBB82_2:
	s_load_dwordx4 s[24:27], s[0:1], 0x70
	v_bfe_u32 v2, v0, 10, 10
	v_lshl_add_u32 v1, s2, 3, v2
	v_mul_hi_u32 v3, s20, v1
	v_add_u32_e32 v3, v1, v3
	s_waitcnt lgkmcnt(0)
	s_mul_i32 s10, s33, s26
	s_ashr_i32 s26, s10, 31
	s_mul_i32 s11, s28, s25
	s_add_u32 s4, s4, s10
	s_addc_u32 s5, s5, s26
	s_ashr_i32 s10, s11, 31
	s_add_u32 s4, s4, s11
	v_lshrrev_b32_e32 v3, s21, v3
	s_addc_u32 s5, s5, s10
	v_mul_lo_u32 v3, v3, s22
	s_ashr_i32 s11, s24, 31
	s_mov_b32 s10, s24
	v_sub_u32_e32 v3, v1, v3
	s_lshr_b64 s[20:21], s[10:11], 2
	v_mad_u64_u32 v[4:5], s[20:21], s20, v3, 0
	v_mov_b32_e32 v6, v5
	s_lshr_b32 s10, s11, 2
	v_mad_u64_u32 v[6:7], s[10:11], s10, v3, v[6:7]
	v_mov_b32_e32 v5, v6
	v_and_b32_e32 v0, 0x3ff, v0
	v_lshl_add_u64 v[4:5], v[4:5], 2, s[4:5]
	v_lshlrev_b32_e32 v6, 4, v0
	v_mov_b32_e32 v7, 0
	v_lshl_add_u64 v[8:9], v[4:5], 0, v[6:7]
	s_ashr_i32 s5, s25, 31
	s_and_b32 s4, s25, -4
	global_load_dwordx4 v[4:7], v[8:9], off
	v_lshl_add_u64 v[8:9], v[8:9], 0, s[4:5]
	global_load_dwordx4 v[8:11], v[8:9], off
	s_load_dword s4, s[0:1], 0x40
	v_mov_b32_e32 v12, 0x4400
	v_lshl_add_u32 v27, v2, 9, v12
	v_lshlrev_b32_e32 v28, 3, v0
	v_add_u32_e32 v12, v27, v28
	s_cmp_eq_u64 s[14:15], 0
	s_waitcnt vmcnt(1) lgkmcnt(0)
	v_fma_mixlo_f16 v4, s4, v4, 0
	v_fma_mixlo_f16 v5, s4, v5, 0
	;; [unrolled: 1-line block ×4, first 2 shown]
	v_lshlrev_b32_e32 v5, 16, v5
	v_and_b32_e32 v4, 0xffff, v4
	v_lshlrev_b32_e32 v7, 16, v7
	v_and_b32_e32 v6, 0xffff, v6
	s_waitcnt vmcnt(0)
	v_fma_mixlo_f16 v8, s4, v8, 0
	v_fma_mixlo_f16 v9, s4, v9, 0
	;; [unrolled: 1-line block ×4, first 2 shown]
	v_or_b32_e32 v4, v5, v4
	v_or3_b32 v5, v7, v6, 0
	v_lshlrev_b32_e32 v6, 16, v9
	v_and_b32_e32 v7, 0xffff, v8
	v_lshlrev_b32_e32 v8, 16, v11
	v_and_b32_e32 v9, 0xffff, v10
	v_or_b32_e32 v6, v6, v7
	v_or3_b32 v4, 0, 0, v4
	v_or3_b32 v7, v8, v9, 0
	;; [unrolled: 1-line block ×3, first 2 shown]
	ds_write2_b64 v12, v[4:5], v[6:7] offset1:32
	s_waitcnt lgkmcnt(0)
	s_barrier
	s_cbranch_scc1 .LBB82_4
; %bb.3:
	s_load_dword s4, s[0:1], 0xd0
	s_mov_b32 s5, 0
	s_waitcnt lgkmcnt(0)
	s_mul_i32 s4, s4, s33
	s_add_i32 s4, s4, s2
	s_lshl_b64 s[4:5], s[4:5], 2
	s_add_u32 s4, s14, s4
	s_addc_u32 s5, s15, s5
	s_load_dword s30, s[4:5], 0x0
.LBB82_4:
	s_lshl_b32 s2, s3, 6
	s_waitcnt lgkmcnt(0)
	s_cmp_lt_i32 s2, s30
	v_mbcnt_lo_u32_b32 v24, -1, 0
	s_cbranch_scc1 .LBB82_19
; %bb.5:
	v_mbcnt_hi_u32_b32 v15, -1, v24
	v_and_b32_e32 v4, 0x60, v15
	v_add_u32_e32 v49, 32, v4
	v_xor_b32_e32 v54, 16, v15
	v_xor_b32_e32 v50, 8, v15
	;; [unrolled: 1-line block ×5, first 2 shown]
	v_lshlrev_b32_e32 v26, 2, v0
	s_cbranch_execz .LBB82_20
; %bb.6:
	v_mov_b32_e32 v3, 0
	v_mov_b32_e32 v25, 0xfeffffff
	;; [unrolled: 1-line block ×8, first 2 shown]
.LBB82_7:
	v_cmp_lt_i32_e32 vcc, v54, v49
	s_cmp_lg_u64 s[12:13], 0
	s_cselect_b64 s[4:5], -1, 0
	v_cndmask_b32_e32 v4, v15, v54, vcc
	v_lshlrev_b32_e32 v5, 2, v4
	ds_bpermute_b32 v4, v5, v2
	ds_bpermute_b32 v5, v5, v3
	v_cmp_lt_i32_e32 vcc, v50, v49
	s_cmp_eq_u32 s3, 0
	s_cselect_b64 s[6:7], -1, 0
	v_cndmask_b32_e32 v6, v15, v50, vcc
	v_lshlrev_b32_e32 v6, 2, v6
	s_waitcnt lgkmcnt(0)
	v_pk_add_f32 v[2:3], v[2:3], v[4:5]
	ds_bpermute_b32 v4, v6, v2
	ds_bpermute_b32 v5, v6, v3
	v_cmp_lt_i32_e32 vcc, v51, v49
	s_and_b64 s[4:5], s[6:7], s[4:5]
	s_waitcnt lgkmcnt(0)
	v_pk_add_f32 v[2:3], v[2:3], v[4:5]
	v_cndmask_b32_e32 v6, v15, v51, vcc
	v_lshlrev_b32_e32 v6, 2, v6
	ds_bpermute_b32 v4, v6, v2
	ds_bpermute_b32 v5, v6, v3
	v_cmp_lt_i32_e32 vcc, v52, v49
	s_waitcnt lgkmcnt(0)
	v_pk_add_f32 v[2:3], v[2:3], v[4:5]
	v_cndmask_b32_e32 v6, v15, v52, vcc
	v_lshlrev_b32_e32 v6, 2, v6
	ds_bpermute_b32 v4, v6, v2
	ds_bpermute_b32 v5, v6, v3
	v_cmp_lt_i32_e32 vcc, v53, v49
	s_waitcnt lgkmcnt(0)
	v_pk_add_f32 v[2:3], v[2:3], v[4:5]
	v_cndmask_b32_e32 v6, v15, v53, vcc
	v_lshlrev_b32_e32 v6, 2, v6
	ds_bpermute_b32 v4, v6, v2
	ds_bpermute_b32 v5, v6, v3
	s_and_b64 vcc, exec, s[4:5]
	s_waitcnt lgkmcnt(0)
	v_pk_add_f32 v[2:3], v[2:3], v[4:5]
	s_cbranch_vccz .LBB82_9
; %bb.8:
	s_ashr_i32 s29, s28, 31
	s_lshl_b64 s[4:5], s[28:29], 2
	s_add_u32 s4, s12, s4
	s_addc_u32 s5, s13, s5
	v_mov_b32_e32 v4, 0
	global_load_dwordx2 v[4:5], v4, s[4:5]
	v_max_f32_e32 v6, v24, v24
	v_max_f32_e32 v7, v25, v25
	s_mov_b32 s2, 0x3fb8aa3b
	s_mov_b32 s4, 0xc2ce8ed0
	;; [unrolled: 1-line block ×3, first 2 shown]
	v_mov_b32_e32 v9, 0x7f800000
	s_waitcnt vmcnt(0)
	v_max_f32_e32 v8, v4, v4
	v_max_f32_e32 v6, v6, v8
	;; [unrolled: 1-line block ×3, first 2 shown]
	v_sub_f32_e32 v8, v24, v6
	v_max_f32_e32 v7, v7, v10
	v_sub_f32_e32 v10, v4, v6
	v_mul_f32_e32 v4, 0x3fb8aa3b, v8
	v_sub_f32_e32 v11, v25, v7
	v_sub_f32_e32 v12, v5, v7
	v_mul_f32_e32 v5, 0x3fb8aa3b, v10
	v_fma_f32 v15, v8, s2, -v4
	v_rndne_f32_e32 v16, v4
	v_mul_f32_e32 v13, 0x3fb8aa3b, v11
	v_fma_f32 v17, v10, s2, -v5
	v_rndne_f32_e32 v18, v5
	v_fmac_f32_e32 v15, 0x32a5705f, v8
	v_sub_f32_e32 v4, v4, v16
	v_mul_f32_e32 v14, 0x3fb8aa3b, v12
	v_fma_f32 v19, v11, s2, -v13
	v_rndne_f32_e32 v20, v13
	v_fmac_f32_e32 v17, 0x32a5705f, v10
	v_sub_f32_e32 v5, v5, v18
	v_add_f32_e32 v4, v4, v15
	v_fma_f32 v21, v12, s2, -v14
	v_rndne_f32_e32 v22, v14
	v_cvt_i32_f32_e32 v16, v16
	v_fmac_f32_e32 v19, 0x32a5705f, v11
	v_sub_f32_e32 v13, v13, v20
	v_add_f32_e32 v5, v5, v17
	v_exp_f32_e32 v4, v4
	v_cvt_i32_f32_e32 v18, v18
	v_fmac_f32_e32 v21, 0x32a5705f, v12
	v_sub_f32_e32 v14, v14, v22
	v_add_f32_e32 v13, v13, v19
	v_exp_f32_e32 v5, v5
	v_cvt_i32_f32_e32 v20, v20
	v_add_f32_e32 v14, v14, v21
	v_exp_f32_e32 v13, v13
	v_cvt_i32_f32_e32 v22, v22
	v_exp_f32_e32 v14, v14
	v_ldexp_f32 v4, v4, v16
	v_cmp_ngt_f32_e32 vcc, s4, v8
	v_ldexp_f32 v5, v5, v18
	v_ldexp_f32 v13, v13, v20
	v_cndmask_b32_e32 v4, 0, v4, vcc
	v_cmp_ngt_f32_e32 vcc, s4, v10
	v_ldexp_f32 v14, v14, v22
	v_mov_b64_e32 v[24:25], v[6:7]
	v_cndmask_b32_e32 v5, 0, v5, vcc
	v_cmp_ngt_f32_e32 vcc, s4, v11
	s_nop 1
	v_cndmask_b32_e32 v13, 0, v13, vcc
	v_cmp_ngt_f32_e32 vcc, s4, v12
	s_nop 1
	v_cndmask_b32_e32 v14, 0, v14, vcc
	v_cmp_nlt_f32_e32 vcc, s5, v8
	s_nop 1
	v_cndmask_b32_e32 v4, v9, v4, vcc
	v_cmp_nlt_f32_e32 vcc, s5, v10
	v_cvt_f16_f32_e32 v10, v4
	s_nop 0
	v_cndmask_b32_e32 v8, v9, v5, vcc
	v_cmp_nlt_f32_e32 vcc, s5, v11
	s_nop 1
	v_cndmask_b32_e32 v5, v9, v13, vcc
	v_cvt_f16_f32_e32 v11, v5
	v_cmp_nlt_f32_e32 vcc, s5, v12
	s_nop 1
	v_cndmask_b32_e32 v9, v9, v14, vcc
	v_pk_fma_f32 v[2:3], v[2:3], v[4:5], v[8:9]
	v_mul_u32_u24_e32 v4, 0x10001, v10
	v_mul_u32_u24_e32 v5, 0x10001, v11
	v_pk_mul_f16 v43, v43, v4
	v_pk_mul_f16 v44, v44, v4
	;; [unrolled: 1-line block ×4, first 2 shown]
.LBB82_9:
	v_cmp_gt_i32_e32 vcc, s22, v1
	s_and_saveexec_b64 s[4:5], vcc
	s_cbranch_execz .LBB82_18
; %bb.10:
	s_load_dword s6, s[0:1], 0xd4
	v_mov_b32_e32 v4, 1.0
	s_waitcnt lgkmcnt(0)
	s_cmp_lg_u32 s6, 1
	s_cselect_b64 s[0:1], -1, 0
	s_cmp_eq_u32 s6, 1
	s_cselect_b64 s[4:5], -1, 0
	s_and_b64 vcc, exec, s[0:1]
	s_cbranch_vccnz .LBB82_12
; %bb.11:
	v_div_scale_f32 v4, s[8:9], v2, v2, 1.0
	v_rcp_f32_e32 v5, v4
	v_div_scale_f32 v6, vcc, 1.0, v2, 1.0
	v_fma_f32 v7, -v4, v5, 1.0
	v_fmac_f32_e32 v5, v7, v5
	v_mul_f32_e32 v7, v6, v5
	v_fma_f32 v8, -v4, v7, v6
	v_fmac_f32_e32 v7, v8, v5
	v_fma_f32 v4, -v4, v7, v6
	v_div_fmas_f32 v4, v4, v5, v7
	v_div_fixup_f32 v4, v4, v2, 1.0
.LBB82_12:
	s_mul_i32 s33, s33, s22
	v_add_u32_e32 v1, s33, v1
	v_mul_lo_u32 v1, v1, s23
	v_add_u32_e32 v1, s28, v1
	v_cvt_f32_f16_sdwa v9, v43 dst_sel:DWORD dst_unused:UNUSED_PAD src0_sel:WORD_1
	v_cvt_f32_f16_e32 v8, v43
	v_cvt_f32_f16_sdwa v11, v44 dst_sel:DWORD dst_unused:UNUSED_PAD src0_sel:WORD_1
	v_cvt_f32_f16_e32 v10, v44
	v_cmp_eq_u32_e32 vcc, 0, v0
	v_mul_lo_u32 v0, s6, v1
	v_add_u32_e32 v0, s3, v0
	v_lshl_add_u32 v6, v0, 7, v26
	v_mov_b32_e32 v7, 0
	s_and_b64 s[0:1], vcc, s[0:1]
	v_lshl_add_u64 v[12:13], v[6:7], 2, s[16:17]
	v_pk_mul_f32 v[6:7], v[4:5], v[8:9] op_sel_hi:[0,1]
	v_pk_mul_f32 v[8:9], v[4:5], v[10:11] op_sel_hi:[0,1]
	global_store_dwordx4 v[12:13], v[6:9], off
	s_and_saveexec_b64 s[2:3], s[0:1]
	s_cbranch_execz .LBB82_14
; %bb.13:
	v_ashrrev_i32_e32 v1, 31, v0
	v_lshl_add_u64 v[4:5], v[0:1], 3, s[18:19]
	v_mov_b32_e32 v6, v24
	v_mov_b32_e32 v7, v2
	global_store_dwordx2 v[4:5], v[6:7], off
.LBB82_14:
	s_or_b64 exec, exec, s[2:3]
	s_andn2_b64 vcc, exec, s[4:5]
	v_mov_b32_e32 v2, 1.0
	s_cbranch_vccnz .LBB82_16
; %bb.15:
	v_div_scale_f32 v1, s[2:3], v3, v3, 1.0
	v_rcp_f32_e32 v2, v1
	v_div_scale_f32 v4, vcc, 1.0, v3, 1.0
	v_fma_f32 v5, -v1, v2, 1.0
	v_fmac_f32_e32 v2, v5, v2
	v_mul_f32_e32 v5, v4, v2
	v_fma_f32 v6, -v1, v5, v4
	v_fmac_f32_e32 v5, v6, v2
	v_fma_f32 v1, -v1, v5, v4
	v_div_fmas_f32 v1, v1, v2, v5
	v_div_fixup_f32 v2, v1, v3, 1.0
.LBB82_16:
	v_cvt_f32_f16_sdwa v7, v41 dst_sel:DWORD dst_unused:UNUSED_PAD src0_sel:WORD_1
	v_cvt_f32_f16_e32 v6, v41
	v_cvt_f32_f16_sdwa v9, v42 dst_sel:DWORD dst_unused:UNUSED_PAD src0_sel:WORD_1
	v_cvt_f32_f16_e32 v8, v42
	v_add_u32_e32 v0, s6, v0
	v_lshl_add_u32 v4, v0, 7, v26
	v_mov_b32_e32 v5, 0
	v_lshl_add_u64 v[10:11], v[4:5], 2, s[16:17]
	v_pk_mul_f32 v[4:5], v[2:3], v[6:7] op_sel_hi:[0,1]
	v_pk_mul_f32 v[6:7], v[2:3], v[8:9] op_sel_hi:[0,1]
	global_store_dwordx4 v[10:11], v[4:7], off
	s_and_b64 exec, exec, s[0:1]
	s_cbranch_execz .LBB82_18
; %bb.17:
	v_ashrrev_i32_e32 v1, 31, v0
	v_lshl_add_u64 v[0:1], v[0:1], 3, s[18:19]
	v_mov_b32_e32 v2, v25
	global_store_dwordx2 v[0:1], v[2:3], off
.LBB82_18:
	s_endpgm
.LBB82_19:
                                        ; implicit-def: $vgpr15
                                        ; implicit-def: $vgpr49
                                        ; implicit-def: $vgpr54
                                        ; implicit-def: $vgpr50
                                        ; implicit-def: $vgpr51
                                        ; implicit-def: $vgpr52
                                        ; implicit-def: $vgpr53
	v_lshlrev_b32_e32 v26, 2, v0
.LBB82_20:
	s_sub_i32 s4, 0, s29
	s_mul_i32 s4, s4, s38
	s_mul_hi_u32 s4, s38, s4
	s_add_i32 s38, s38, s4
	s_load_dwordx4 s[24:27], s[0:1], 0x98
	s_load_dword s10, s[0:1], 0x54
	s_load_dwordx2 s[4:5], s[0:1], 0x8c
	s_abs_i32 s15, s28
	s_mul_hi_u32 s20, s15, s38
	s_waitcnt lgkmcnt(0)
	s_ashr_i32 s11, s26, 2
	s_ashr_i32 s26, s37, 1
	;; [unrolled: 1-line block ×4, first 2 shown]
	s_mul_hi_u32 s36, s24, s33
	s_mul_i32 s37, s24, s4
	s_add_i32 s36, s36, s37
	s_mul_i32 s25, s25, s33
	s_ashr_i32 s21, s28, 31
	s_ashr_i32 s31, s31, 31
	s_add_i32 s36, s36, s25
	s_mul_i32 s24, s24, s33
	s_add_u32 s6, s6, s24
	s_mul_i32 s24, s20, s29
	s_addc_u32 s7, s7, s36
	s_sub_i32 s15, s15, s24
	s_xor_b32 s21, s21, s31
	s_add_i32 s24, s20, 1
	s_sub_i32 s25, s15, s29
	s_cmp_ge_u32 s15, s29
	s_cselect_b32 s20, s24, s20
	s_cselect_b32 s15, s25, s15
	s_add_i32 s24, s20, 1
	s_cmp_ge_u32 s15, s29
	s_load_dwordx2 s[38:39], s[0:1], 0xa8
	s_cselect_b32 s15, s24, s20
	s_xor_b32 s15, s15, s21
	s_sub_i32 s21, s15, s21
	s_mul_i32 s5, s21, s5
	s_ashr_i32 s20, s5, 31
	s_add_u32 s15, s6, s5
	s_waitcnt lgkmcnt(0)
	s_mul_hi_u32 s5, s38, s33
	s_mul_i32 s4, s38, s4
	s_addc_u32 s20, s7, s20
	s_add_i32 s4, s5, s4
	s_mul_i32 s5, s39, s33
	s_add_i32 s4, s4, s5
	s_mul_i32 s5, s38, s33
	s_add_u32 s5, s8, s5
	s_mul_i32 s21, s21, s27
	s_addc_u32 s4, s9, s4
	s_ashr_i32 s6, s21, 31
	v_lshrrev_b32_e32 v4, 4, v0
	s_add_u32 s8, s5, s21
	v_lshl_add_u32 v16, v2, 1, v4
	v_and_b32_e32 v4, 60, v26
	s_addc_u32 s9, s4, s6
	v_lshlrev_b32_e32 v17, 2, v4
	s_movk_i32 s4, 0x110
	v_mad_u32_u24 v29, v16, s4, v17
	v_mul_lo_u32 v6, s14, v16
	s_lshl_b32 s4, s14, 4
	v_add_u32_e32 v8, s4, v6
	v_add_u32_e32 v10, s4, v8
	;; [unrolled: 1-line block ×3, first 2 shown]
	v_mad_u64_u32 v[14:15], s[4:5], v3, s26, v[0:1]
	v_lshl_or_b32 v35, v16, 8, v17
	v_mul_lo_u32 v16, s11, v16
	s_lshl_b32 s4, s11, 4
	v_add_u32_e32 v18, s4, v16
	v_mov_b32_e32 v3, 0x5400
	v_add_u32_e32 v20, s4, v18
	v_mov_b32_e32 v5, 0
	v_lshl_add_u32 v34, v2, 8, v3
	v_add_u32_e32 v22, s4, v20
	s_add_u32 s4, s0, 0xd0
                                        ; implicit-def: $vgpr2
                                        ; implicit-def: $vgpr2
	;; [unrolled: 1-line block ×3, first 2 shown]
	v_ashrrev_i32_e32 v7, 31, v6
	v_add_u32_e32 v30, 0x1100, v29
	v_ashrrev_i32_e32 v9, 31, v8
	v_add_u32_e32 v31, 0x2200, v29
	;; [unrolled: 2-line block ×3, first 2 shown]
	v_ashrrev_i32_e32 v13, 31, v12
	v_mul_u32_u24_e32 v33, 0x110, v0
	v_ashrrev_i32_e32 v17, 31, v16
	v_add_u32_e32 v36, 0x1000, v35
	v_ashrrev_i32_e32 v19, 31, v18
	v_add_u32_e32 v37, 0x2000, v35
	;; [unrolled: 2-line block ×3, first 2 shown]
	v_ashrrev_i32_e32 v23, 31, v22
	s_addc_u32 s5, s1, 0
	v_mov_b32_e32 v46, 0xfeffffff
	v_lshlrev_b32_e32 v4, 2, v4
	s_mov_b32 s21, 0x3f200000
	s_mov_b32 s24, 0x3fb8aa3b
	;; [unrolled: 1-line block ×4, first 2 shown]
	v_mov_b32_e32 v39, 0x3ca908c9
	s_brev_b32 s27, -2
	s_mov_b32 s29, 0x10001
	v_mov_b32_e32 v40, 0x7f800000
	v_mbcnt_hi_u32_b32 v15, -1, v24
	v_mov_b32_e32 v42, v5
	v_mov_b32_e32 v41, v5
	;; [unrolled: 1-line block ×7, first 2 shown]
.LBB82_21:                              ; =>This Inner Loop Header: Depth=1
	s_mul_hi_i32 s7, s2, s14
	s_mul_i32 s6, s2, s14
	s_lshl_b64 s[6:7], s[6:7], 2
	s_add_u32 s6, s15, s6
	s_addc_u32 s7, s20, s7
	v_lshl_add_u64 v[24:25], v[6:7], 2, s[6:7]
	v_lshl_add_u64 v[24:25], v[24:25], 0, v[4:5]
	;; [unrolled: 1-line block ×4, first 2 shown]
	global_load_dwordx4 v[50:53], v[24:25], off
	global_load_dwordx4 v[54:57], v[48:49], off
	v_lshl_add_u64 v[24:25], v[10:11], 2, s[6:7]
	v_lshl_add_u64 v[24:25], v[24:25], 0, v[4:5]
	;; [unrolled: 1-line block ×4, first 2 shown]
	global_load_dwordx4 v[58:61], v[24:25], off
	global_load_dwordx4 v[62:65], v[48:49], off
	v_mov_b32_e32 v49, 0
	v_mov_b32_e32 v47, 0
	;; [unrolled: 1-line block ×3, first 2 shown]
	s_waitcnt vmcnt(3)
	ds_write_b128 v29, v[50:53]
	s_waitcnt vmcnt(2)
	ds_write_b128 v30, v[54:57]
	;; [unrolled: 2-line block ×4, first 2 shown]
	s_waitcnt lgkmcnt(0)
	s_barrier
	ds_read_b128 v[52:55], v33
	ds_read_b128 v[56:59], v27
	ds_read_b128 v[60:63], v33 offset:8704
	ds_read_b128 v[64:67], v27 offset:256
	s_waitcnt lgkmcnt(2)
	;;#ASMSTART
	v_dot2_f32_f16 v49, v52, v56, v49
	;;#ASMEND
	s_nop 0
	;;#ASMSTART
	v_dot2_f32_f16 v49, v53, v57, v49
	;;#ASMEND
	v_mov_b32_e32 v50, 0
	;;#ASMSTART
	v_dot2_f32_f16 v49, v54, v58, v49
	;;#ASMEND
                                        ; implicit-def: $vgpr51
	s_nop 0
	;;#ASMSTART
	v_dot2_f32_f16 v49, v55, v59, v49
	;;#ASMEND
	s_waitcnt lgkmcnt(0)
	;;#ASMSTART
	v_dot2_f32_f16 v47, v52, v64, v47
	;;#ASMEND
	s_nop 0
	;;#ASMSTART
	v_dot2_f32_f16 v47, v53, v65, v47
	;;#ASMEND
	s_nop 0
	;;#ASMSTART
	v_dot2_f32_f16 v47, v54, v66, v47
	;;#ASMEND
	s_nop 0
	;;#ASMSTART
	v_dot2_f32_f16 v47, v55, v67, v47
	;;#ASMEND
	;;#ASMSTART
	v_dot2_f32_f16 v50, v60, v56, v50
	;;#ASMEND
	s_nop 0
	;;#ASMSTART
	v_dot2_f32_f16 v50, v61, v57, v50
	;;#ASMEND
	s_nop 0
	;;#ASMSTART
	v_dot2_f32_f16 v50, v62, v58, v50
	;;#ASMEND
	s_nop 0
	;;#ASMSTART
	v_dot2_f32_f16 v50, v63, v59, v50
	;;#ASMEND
	;; [unrolled: 15-line block ×3, first 2 shown]
	ds_read_b128 v[52:55], v27 offset:16
	ds_read_b128 v[56:59], v33 offset:16
	;; [unrolled: 1-line block ×4, first 2 shown]
	s_waitcnt lgkmcnt(2)
	;;#ASMSTART
	v_dot2_f32_f16 v49, v56, v52, v49
	;;#ASMEND
	s_nop 0
	;;#ASMSTART
	v_dot2_f32_f16 v49, v57, v53, v49
	;;#ASMEND
	s_nop 0
	;; [unrolled: 4-line block ×3, first 2 shown]
	;;#ASMSTART
	v_dot2_f32_f16 v49, v59, v55, v49
	;;#ASMEND
	s_waitcnt lgkmcnt(0)
	;;#ASMSTART
	v_dot2_f32_f16 v47, v56, v64, v47
	;;#ASMEND
	s_nop 0
	;;#ASMSTART
	v_dot2_f32_f16 v47, v57, v65, v47
	;;#ASMEND
	s_nop 0
	;;#ASMSTART
	v_dot2_f32_f16 v47, v58, v66, v47
	;;#ASMEND
	s_nop 0
	;;#ASMSTART
	v_dot2_f32_f16 v47, v59, v67, v47
	;;#ASMEND
	;;#ASMSTART
	v_dot2_f32_f16 v50, v60, v52, v50
	;;#ASMEND
	s_nop 0
	;;#ASMSTART
	v_dot2_f32_f16 v50, v61, v53, v50
	;;#ASMEND
	s_nop 0
	;;#ASMSTART
	v_dot2_f32_f16 v50, v62, v54, v50
	;;#ASMEND
	s_nop 0
	;;#ASMSTART
	v_dot2_f32_f16 v50, v63, v55, v50
	;;#ASMEND
	;; [unrolled: 15-line block ×3, first 2 shown]
	ds_read_b128 v[52:55], v27 offset:32
	ds_read_b128 v[56:59], v33 offset:32
	;; [unrolled: 1-line block ×4, first 2 shown]
	s_waitcnt lgkmcnt(2)
	;;#ASMSTART
	v_dot2_f32_f16 v49, v56, v52, v49
	;;#ASMEND
	s_nop 0
	;;#ASMSTART
	v_dot2_f32_f16 v49, v57, v53, v49
	;;#ASMEND
	s_nop 0
	;; [unrolled: 4-line block ×3, first 2 shown]
	;;#ASMSTART
	v_dot2_f32_f16 v49, v59, v55, v49
	;;#ASMEND
	s_waitcnt lgkmcnt(0)
	;;#ASMSTART
	v_dot2_f32_f16 v47, v56, v64, v47
	;;#ASMEND
	s_nop 0
	;;#ASMSTART
	v_dot2_f32_f16 v47, v57, v65, v47
	;;#ASMEND
	s_nop 0
	;;#ASMSTART
	v_dot2_f32_f16 v47, v58, v66, v47
	;;#ASMEND
	s_nop 0
	;;#ASMSTART
	v_dot2_f32_f16 v47, v59, v67, v47
	;;#ASMEND
	;;#ASMSTART
	v_dot2_f32_f16 v50, v60, v52, v50
	;;#ASMEND
	s_nop 0
	;;#ASMSTART
	v_dot2_f32_f16 v50, v61, v53, v50
	;;#ASMEND
	s_nop 0
	;;#ASMSTART
	v_dot2_f32_f16 v50, v62, v54, v50
	;;#ASMEND
	s_nop 0
	;;#ASMSTART
	v_dot2_f32_f16 v50, v63, v55, v50
	;;#ASMEND
	;; [unrolled: 15-line block ×3, first 2 shown]
	ds_read_b128 v[52:55], v27 offset:48
	ds_read_b128 v[56:59], v33 offset:48
	;; [unrolled: 1-line block ×4, first 2 shown]
	s_waitcnt lgkmcnt(2)
	;;#ASMSTART
	v_dot2_f32_f16 v49, v56, v52, v49
	;;#ASMEND
	s_nop 0
	;;#ASMSTART
	v_dot2_f32_f16 v49, v57, v53, v49
	;;#ASMEND
	s_nop 0
	;; [unrolled: 4-line block ×3, first 2 shown]
	;;#ASMSTART
	v_dot2_f32_f16 v49, v59, v55, v49
	;;#ASMEND
	s_waitcnt lgkmcnt(0)
	;;#ASMSTART
	v_dot2_f32_f16 v47, v56, v64, v47
	;;#ASMEND
	s_nop 0
	;;#ASMSTART
	v_dot2_f32_f16 v47, v57, v65, v47
	;;#ASMEND
	s_nop 0
	;;#ASMSTART
	v_dot2_f32_f16 v47, v58, v66, v47
	;;#ASMEND
	s_nop 0
	;;#ASMSTART
	v_dot2_f32_f16 v47, v59, v67, v47
	;;#ASMEND
	;;#ASMSTART
	v_dot2_f32_f16 v50, v60, v52, v50
	;;#ASMEND
	s_nop 0
	;;#ASMSTART
	v_dot2_f32_f16 v50, v61, v53, v50
	;;#ASMEND
	s_nop 0
	;;#ASMSTART
	v_dot2_f32_f16 v50, v62, v54, v50
	;;#ASMEND
	s_nop 0
	;;#ASMSTART
	v_dot2_f32_f16 v50, v63, v55, v50
	;;#ASMEND
	;; [unrolled: 15-line block ×3, first 2 shown]
	ds_read_b128 v[52:55], v27 offset:64
	ds_read_b128 v[56:59], v33 offset:64
	;; [unrolled: 1-line block ×4, first 2 shown]
	s_waitcnt lgkmcnt(2)
	;;#ASMSTART
	v_dot2_f32_f16 v49, v56, v52, v49
	;;#ASMEND
	s_nop 0
	;;#ASMSTART
	v_dot2_f32_f16 v49, v57, v53, v49
	;;#ASMEND
	s_nop 0
	;; [unrolled: 4-line block ×3, first 2 shown]
	;;#ASMSTART
	v_dot2_f32_f16 v49, v59, v55, v49
	;;#ASMEND
	s_waitcnt lgkmcnt(0)
	;;#ASMSTART
	v_dot2_f32_f16 v47, v56, v64, v47
	;;#ASMEND
	s_nop 0
	;;#ASMSTART
	v_dot2_f32_f16 v47, v57, v65, v47
	;;#ASMEND
	s_nop 0
	;;#ASMSTART
	v_dot2_f32_f16 v47, v58, v66, v47
	;;#ASMEND
	s_nop 0
	;;#ASMSTART
	v_dot2_f32_f16 v47, v59, v67, v47
	;;#ASMEND
	;;#ASMSTART
	v_dot2_f32_f16 v50, v60, v52, v50
	;;#ASMEND
	s_nop 0
	;;#ASMSTART
	v_dot2_f32_f16 v50, v61, v53, v50
	;;#ASMEND
	s_nop 0
	;;#ASMSTART
	v_dot2_f32_f16 v50, v62, v54, v50
	;;#ASMEND
	s_nop 0
	;;#ASMSTART
	v_dot2_f32_f16 v50, v63, v55, v50
	;;#ASMEND
	;; [unrolled: 15-line block ×3, first 2 shown]
	ds_read_b128 v[52:55], v27 offset:80
	ds_read_b128 v[56:59], v33 offset:80
	;; [unrolled: 1-line block ×4, first 2 shown]
	s_waitcnt lgkmcnt(2)
	;;#ASMSTART
	v_dot2_f32_f16 v49, v56, v52, v49
	;;#ASMEND
	s_nop 0
	;;#ASMSTART
	v_dot2_f32_f16 v49, v57, v53, v49
	;;#ASMEND
	s_nop 0
	;; [unrolled: 4-line block ×3, first 2 shown]
	;;#ASMSTART
	v_dot2_f32_f16 v49, v59, v55, v49
	;;#ASMEND
	s_waitcnt lgkmcnt(0)
	;;#ASMSTART
	v_dot2_f32_f16 v47, v56, v64, v47
	;;#ASMEND
	s_nop 0
	;;#ASMSTART
	v_dot2_f32_f16 v47, v57, v65, v47
	;;#ASMEND
	s_nop 0
	;;#ASMSTART
	v_dot2_f32_f16 v47, v58, v66, v47
	;;#ASMEND
	s_nop 0
	;;#ASMSTART
	v_dot2_f32_f16 v47, v59, v67, v47
	;;#ASMEND
	;;#ASMSTART
	v_dot2_f32_f16 v50, v60, v52, v50
	;;#ASMEND
	s_nop 0
	;;#ASMSTART
	v_dot2_f32_f16 v50, v61, v53, v50
	;;#ASMEND
	s_nop 0
	;;#ASMSTART
	v_dot2_f32_f16 v50, v62, v54, v50
	;;#ASMEND
	s_nop 0
	;;#ASMSTART
	v_dot2_f32_f16 v50, v63, v55, v50
	;;#ASMEND
	;; [unrolled: 15-line block ×3, first 2 shown]
	ds_read_b128 v[52:55], v27 offset:96
	ds_read_b128 v[56:59], v33 offset:96
	;; [unrolled: 1-line block ×4, first 2 shown]
	s_waitcnt lgkmcnt(2)
	;;#ASMSTART
	v_dot2_f32_f16 v49, v56, v52, v49
	;;#ASMEND
	s_nop 0
	;;#ASMSTART
	v_dot2_f32_f16 v49, v57, v53, v49
	;;#ASMEND
	s_nop 0
	;;#ASMSTART
	v_dot2_f32_f16 v49, v58, v54, v49
	;;#ASMEND
	s_nop 0
	;;#ASMSTART
	v_dot2_f32_f16 v49, v59, v55, v49
	;;#ASMEND
	s_waitcnt lgkmcnt(0)
	;;#ASMSTART
	v_dot2_f32_f16 v47, v56, v64, v47
	;;#ASMEND
	s_nop 0
	;;#ASMSTART
	v_dot2_f32_f16 v47, v57, v65, v47
	;;#ASMEND
	s_nop 0
	;;#ASMSTART
	v_dot2_f32_f16 v47, v58, v66, v47
	;;#ASMEND
	s_nop 0
	;;#ASMSTART
	v_dot2_f32_f16 v47, v59, v67, v47
	;;#ASMEND
	;;#ASMSTART
	v_dot2_f32_f16 v50, v60, v52, v50
	;;#ASMEND
	s_nop 0
	;;#ASMSTART
	v_dot2_f32_f16 v50, v61, v53, v50
	;;#ASMEND
	s_nop 0
	;;#ASMSTART
	v_dot2_f32_f16 v50, v62, v54, v50
	;;#ASMEND
	s_nop 0
	;;#ASMSTART
	v_dot2_f32_f16 v50, v63, v55, v50
	;;#ASMEND
	;; [unrolled: 15-line block ×3, first 2 shown]
	ds_read_b128 v[52:55], v27 offset:112
	ds_read_b128 v[56:59], v33 offset:112
	;; [unrolled: 1-line block ×4, first 2 shown]
	s_waitcnt lgkmcnt(2)
	;;#ASMSTART
	v_dot2_f32_f16 v49, v56, v52, v49
	;;#ASMEND
	s_nop 0
	;;#ASMSTART
	v_dot2_f32_f16 v49, v57, v53, v49
	;;#ASMEND
	s_nop 0
	;;#ASMSTART
	v_dot2_f32_f16 v49, v58, v54, v49
	;;#ASMEND
	s_nop 0
	;;#ASMSTART
	v_dot2_f32_f16 v49, v59, v55, v49
	;;#ASMEND
	s_waitcnt lgkmcnt(0)
	;;#ASMSTART
	v_dot2_f32_f16 v47, v56, v64, v47
	;;#ASMEND
	s_nop 0
	;;#ASMSTART
	v_dot2_f32_f16 v47, v57, v65, v47
	;;#ASMEND
	s_nop 0
	;;#ASMSTART
	v_dot2_f32_f16 v47, v58, v66, v47
	;;#ASMEND
	s_nop 0
	;;#ASMSTART
	v_dot2_f32_f16 v47, v59, v67, v47
	;;#ASMEND
	;;#ASMSTART
	v_dot2_f32_f16 v50, v60, v52, v50
	;;#ASMEND
	s_nop 0
	;;#ASMSTART
	v_dot2_f32_f16 v50, v61, v53, v50
	;;#ASMEND
	s_nop 0
	;;#ASMSTART
	v_dot2_f32_f16 v50, v62, v54, v50
	;;#ASMEND
	s_nop 0
	;;#ASMSTART
	v_dot2_f32_f16 v50, v63, v55, v50
	;;#ASMEND
	;; [unrolled: 15-line block ×3, first 2 shown]
	ds_read_b128 v[52:55], v27 offset:128
	ds_read_b128 v[56:59], v33 offset:128
	;; [unrolled: 1-line block ×4, first 2 shown]
	s_waitcnt lgkmcnt(2)
	;;#ASMSTART
	v_dot2_f32_f16 v49, v56, v52, v49
	;;#ASMEND
	s_nop 0
	;;#ASMSTART
	v_dot2_f32_f16 v49, v57, v53, v49
	;;#ASMEND
	s_nop 0
	;; [unrolled: 4-line block ×3, first 2 shown]
	;;#ASMSTART
	v_dot2_f32_f16 v49, v59, v55, v49
	;;#ASMEND
	s_waitcnt lgkmcnt(0)
	;;#ASMSTART
	v_dot2_f32_f16 v47, v56, v64, v47
	;;#ASMEND
	s_nop 0
	;;#ASMSTART
	v_dot2_f32_f16 v47, v57, v65, v47
	;;#ASMEND
	s_nop 0
	;;#ASMSTART
	v_dot2_f32_f16 v47, v58, v66, v47
	;;#ASMEND
	s_nop 0
	;;#ASMSTART
	v_dot2_f32_f16 v47, v59, v67, v47
	;;#ASMEND
	;;#ASMSTART
	v_dot2_f32_f16 v50, v60, v52, v50
	;;#ASMEND
	s_nop 0
	;;#ASMSTART
	v_dot2_f32_f16 v50, v61, v53, v50
	;;#ASMEND
	s_nop 0
	;;#ASMSTART
	v_dot2_f32_f16 v50, v62, v54, v50
	;;#ASMEND
	s_nop 0
	;;#ASMSTART
	v_dot2_f32_f16 v50, v63, v55, v50
	;;#ASMEND
	;; [unrolled: 15-line block ×3, first 2 shown]
	ds_read_b128 v[52:55], v27 offset:144
	ds_read_b128 v[56:59], v33 offset:144
	;; [unrolled: 1-line block ×4, first 2 shown]
	s_waitcnt lgkmcnt(2)
	;;#ASMSTART
	v_dot2_f32_f16 v49, v56, v52, v49
	;;#ASMEND
	s_nop 0
	;;#ASMSTART
	v_dot2_f32_f16 v49, v57, v53, v49
	;;#ASMEND
	s_nop 0
	;; [unrolled: 4-line block ×3, first 2 shown]
	;;#ASMSTART
	v_dot2_f32_f16 v49, v59, v55, v49
	;;#ASMEND
	s_waitcnt lgkmcnt(0)
	;;#ASMSTART
	v_dot2_f32_f16 v47, v56, v64, v47
	;;#ASMEND
	s_nop 0
	;;#ASMSTART
	v_dot2_f32_f16 v47, v57, v65, v47
	;;#ASMEND
	s_nop 0
	;;#ASMSTART
	v_dot2_f32_f16 v47, v58, v66, v47
	;;#ASMEND
	s_nop 0
	;;#ASMSTART
	v_dot2_f32_f16 v47, v59, v67, v47
	;;#ASMEND
	;;#ASMSTART
	v_dot2_f32_f16 v50, v60, v52, v50
	;;#ASMEND
	s_nop 0
	;;#ASMSTART
	v_dot2_f32_f16 v50, v61, v53, v50
	;;#ASMEND
	s_nop 0
	;;#ASMSTART
	v_dot2_f32_f16 v50, v62, v54, v50
	;;#ASMEND
	s_nop 0
	;;#ASMSTART
	v_dot2_f32_f16 v50, v63, v55, v50
	;;#ASMEND
	;; [unrolled: 15-line block ×3, first 2 shown]
	ds_read_b128 v[52:55], v27 offset:160
	ds_read_b128 v[56:59], v33 offset:160
	;; [unrolled: 1-line block ×4, first 2 shown]
	s_waitcnt lgkmcnt(2)
	;;#ASMSTART
	v_dot2_f32_f16 v49, v56, v52, v49
	;;#ASMEND
	s_nop 0
	;;#ASMSTART
	v_dot2_f32_f16 v49, v57, v53, v49
	;;#ASMEND
	s_nop 0
	;; [unrolled: 4-line block ×3, first 2 shown]
	;;#ASMSTART
	v_dot2_f32_f16 v49, v59, v55, v49
	;;#ASMEND
	s_waitcnt lgkmcnt(0)
	;;#ASMSTART
	v_dot2_f32_f16 v47, v56, v64, v47
	;;#ASMEND
	s_nop 0
	;;#ASMSTART
	v_dot2_f32_f16 v47, v57, v65, v47
	;;#ASMEND
	s_nop 0
	;;#ASMSTART
	v_dot2_f32_f16 v47, v58, v66, v47
	;;#ASMEND
	s_nop 0
	;;#ASMSTART
	v_dot2_f32_f16 v47, v59, v67, v47
	;;#ASMEND
	;;#ASMSTART
	v_dot2_f32_f16 v50, v60, v52, v50
	;;#ASMEND
	s_nop 0
	;;#ASMSTART
	v_dot2_f32_f16 v50, v61, v53, v50
	;;#ASMEND
	s_nop 0
	;;#ASMSTART
	v_dot2_f32_f16 v50, v62, v54, v50
	;;#ASMEND
	s_nop 0
	;;#ASMSTART
	v_dot2_f32_f16 v50, v63, v55, v50
	;;#ASMEND
	;; [unrolled: 15-line block ×3, first 2 shown]
	ds_read_b128 v[52:55], v27 offset:176
	ds_read_b128 v[56:59], v33 offset:176
	;; [unrolled: 1-line block ×4, first 2 shown]
	s_waitcnt lgkmcnt(2)
	;;#ASMSTART
	v_dot2_f32_f16 v49, v56, v52, v49
	;;#ASMEND
	s_nop 0
	;;#ASMSTART
	v_dot2_f32_f16 v49, v57, v53, v49
	;;#ASMEND
	s_nop 0
	;; [unrolled: 4-line block ×3, first 2 shown]
	;;#ASMSTART
	v_dot2_f32_f16 v49, v59, v55, v49
	;;#ASMEND
	s_waitcnt lgkmcnt(0)
	;;#ASMSTART
	v_dot2_f32_f16 v47, v56, v64, v47
	;;#ASMEND
	s_nop 0
	;;#ASMSTART
	v_dot2_f32_f16 v47, v57, v65, v47
	;;#ASMEND
	s_nop 0
	;;#ASMSTART
	v_dot2_f32_f16 v47, v58, v66, v47
	;;#ASMEND
	s_nop 0
	;;#ASMSTART
	v_dot2_f32_f16 v47, v59, v67, v47
	;;#ASMEND
	;;#ASMSTART
	v_dot2_f32_f16 v50, v60, v52, v50
	;;#ASMEND
	s_nop 0
	;;#ASMSTART
	v_dot2_f32_f16 v50, v61, v53, v50
	;;#ASMEND
	s_nop 0
	;;#ASMSTART
	v_dot2_f32_f16 v50, v62, v54, v50
	;;#ASMEND
	s_nop 0
	;;#ASMSTART
	v_dot2_f32_f16 v50, v63, v55, v50
	;;#ASMEND
	;; [unrolled: 15-line block ×3, first 2 shown]
	ds_read_b128 v[52:55], v27 offset:192
	ds_read_b128 v[56:59], v33 offset:192
	;; [unrolled: 1-line block ×4, first 2 shown]
	s_waitcnt lgkmcnt(2)
	;;#ASMSTART
	v_dot2_f32_f16 v49, v56, v52, v49
	;;#ASMEND
	s_nop 0
	;;#ASMSTART
	v_dot2_f32_f16 v49, v57, v53, v49
	;;#ASMEND
	s_nop 0
	;; [unrolled: 4-line block ×3, first 2 shown]
	;;#ASMSTART
	v_dot2_f32_f16 v49, v59, v55, v49
	;;#ASMEND
	s_waitcnt lgkmcnt(0)
	;;#ASMSTART
	v_dot2_f32_f16 v47, v56, v64, v47
	;;#ASMEND
	s_nop 0
	;;#ASMSTART
	v_dot2_f32_f16 v47, v57, v65, v47
	;;#ASMEND
	s_nop 0
	;;#ASMSTART
	v_dot2_f32_f16 v47, v58, v66, v47
	;;#ASMEND
	s_nop 0
	;;#ASMSTART
	v_dot2_f32_f16 v47, v59, v67, v47
	;;#ASMEND
	;;#ASMSTART
	v_dot2_f32_f16 v50, v60, v52, v50
	;;#ASMEND
	s_nop 0
	;;#ASMSTART
	v_dot2_f32_f16 v50, v61, v53, v50
	;;#ASMEND
	s_nop 0
	;;#ASMSTART
	v_dot2_f32_f16 v50, v62, v54, v50
	;;#ASMEND
	s_nop 0
	;;#ASMSTART
	v_dot2_f32_f16 v50, v63, v55, v50
	;;#ASMEND
	;; [unrolled: 15-line block ×3, first 2 shown]
	ds_read_b128 v[52:55], v27 offset:208
	ds_read_b128 v[56:59], v33 offset:208
	ds_read_b128 v[60:63], v33 offset:8912
	ds_read_b128 v[64:67], v27 offset:464
	s_waitcnt lgkmcnt(2)
	;;#ASMSTART
	v_dot2_f32_f16 v49, v56, v52, v49
	;;#ASMEND
	s_nop 0
	;;#ASMSTART
	v_dot2_f32_f16 v49, v57, v53, v49
	;;#ASMEND
	s_nop 0
	;; [unrolled: 4-line block ×3, first 2 shown]
	;;#ASMSTART
	v_dot2_f32_f16 v49, v59, v55, v49
	;;#ASMEND
	s_waitcnt lgkmcnt(0)
	;;#ASMSTART
	v_dot2_f32_f16 v47, v56, v64, v47
	;;#ASMEND
	s_nop 0
	;;#ASMSTART
	v_dot2_f32_f16 v47, v57, v65, v47
	;;#ASMEND
	s_nop 0
	;;#ASMSTART
	v_dot2_f32_f16 v47, v58, v66, v47
	;;#ASMEND
	s_nop 0
	;;#ASMSTART
	v_dot2_f32_f16 v47, v59, v67, v47
	;;#ASMEND
	;;#ASMSTART
	v_dot2_f32_f16 v50, v60, v52, v50
	;;#ASMEND
	s_nop 0
	;;#ASMSTART
	v_dot2_f32_f16 v50, v61, v53, v50
	;;#ASMEND
	s_nop 0
	;;#ASMSTART
	v_dot2_f32_f16 v50, v62, v54, v50
	;;#ASMEND
	s_nop 0
	;;#ASMSTART
	v_dot2_f32_f16 v50, v63, v55, v50
	;;#ASMEND
	;; [unrolled: 15-line block ×3, first 2 shown]
	ds_read_b128 v[52:55], v27 offset:224
	ds_read_b128 v[56:59], v33 offset:224
	;; [unrolled: 1-line block ×4, first 2 shown]
	s_waitcnt lgkmcnt(2)
	;;#ASMSTART
	v_dot2_f32_f16 v49, v56, v52, v49
	;;#ASMEND
	s_nop 0
	;;#ASMSTART
	v_dot2_f32_f16 v49, v57, v53, v49
	;;#ASMEND
	s_nop 0
	;; [unrolled: 4-line block ×3, first 2 shown]
	;;#ASMSTART
	v_dot2_f32_f16 v49, v59, v55, v49
	;;#ASMEND
	s_waitcnt lgkmcnt(0)
	;;#ASMSTART
	v_dot2_f32_f16 v47, v56, v64, v47
	;;#ASMEND
	s_nop 0
	;;#ASMSTART
	v_dot2_f32_f16 v47, v57, v65, v47
	;;#ASMEND
	s_nop 0
	;;#ASMSTART
	v_dot2_f32_f16 v47, v58, v66, v47
	;;#ASMEND
	s_nop 0
	;;#ASMSTART
	v_dot2_f32_f16 v47, v59, v67, v47
	;;#ASMEND
	;;#ASMSTART
	v_dot2_f32_f16 v50, v60, v52, v50
	;;#ASMEND
	s_nop 0
	;;#ASMSTART
	v_dot2_f32_f16 v50, v61, v53, v50
	;;#ASMEND
	s_nop 0
	;;#ASMSTART
	v_dot2_f32_f16 v50, v62, v54, v50
	;;#ASMEND
	s_nop 0
	;;#ASMSTART
	v_dot2_f32_f16 v50, v63, v55, v50
	;;#ASMEND
	;;#ASMSTART
	v_dot2_f32_f16 v48, v60, v64, v48
	;;#ASMEND
	s_nop 0
	;;#ASMSTART
	v_dot2_f32_f16 v48, v61, v65, v48
	;;#ASMEND
	s_nop 0
	;;#ASMSTART
	v_dot2_f32_f16 v48, v62, v66, v48
	;;#ASMEND
	s_nop 0
	;;#ASMSTART
	v_dot2_f32_f16 v48, v63, v67, v48
	;;#ASMEND
	ds_read_b128 v[52:55], v27 offset:240
	ds_read_b128 v[56:59], v33 offset:240
	;; [unrolled: 1-line block ×4, first 2 shown]
	s_waitcnt lgkmcnt(2)
	;;#ASMSTART
	v_dot2_f32_f16 v49, v56, v52, v49
	;;#ASMEND
	s_nop 0
	;;#ASMSTART
	v_dot2_f32_f16 v49, v57, v53, v49
	;;#ASMEND
	s_nop 0
	;; [unrolled: 4-line block ×3, first 2 shown]
	;;#ASMSTART
	v_dot2_f32_f16 v49, v59, v55, v49
	;;#ASMEND
	s_waitcnt lgkmcnt(0)
	;;#ASMSTART
	v_dot2_f32_f16 v47, v56, v64, v47
	;;#ASMEND
	s_nop 0
	;;#ASMSTART
	v_dot2_f32_f16 v47, v57, v65, v47
	;;#ASMEND
	v_cmp_nlt_f32_e64 s[6:7], |v49|, s21
	;;#ASMSTART
	v_dot2_f32_f16 v47, v58, v66, v47
	;;#ASMEND
	s_nop 0
	;;#ASMSTART
	v_dot2_f32_f16 v47, v59, v67, v47
	;;#ASMEND
	;;#ASMSTART
	v_dot2_f32_f16 v50, v60, v52, v50
	;;#ASMEND
	s_nop 0
	;;#ASMSTART
	v_dot2_f32_f16 v50, v61, v53, v50
	;;#ASMEND
	s_nop 0
	;; [unrolled: 4-line block ×3, first 2 shown]
	;;#ASMSTART
	v_dot2_f32_f16 v50, v63, v55, v50
	;;#ASMEND
	;;#ASMSTART
	v_dot2_f32_f16 v48, v60, v64, v48
	;;#ASMEND
	s_nop 0
	;;#ASMSTART
	v_dot2_f32_f16 v48, v61, v65, v48
	;;#ASMEND
	s_nop 0
	;; [unrolled: 4-line block ×3, first 2 shown]
	;;#ASMSTART
	v_dot2_f32_f16 v48, v63, v67, v48
	;;#ASMEND
	s_and_saveexec_b64 s[36:37], s[6:7]
	s_xor_b64 s[6:7], exec, s[36:37]
	s_cbranch_execz .LBB82_23
; %bb.22:                               ;   in Loop: Header=BB82_21 Depth=1
	v_add_f32_e64 v24, |v49|, |v49|
	v_mul_f32_e32 v25, 0x3fb8aa3b, v24
	v_rndne_f32_e32 v51, v25
	v_sub_f32_e32 v52, v25, v51
	v_fma_f32 v25, v24, s24, -v25
	v_fmac_f32_e32 v25, 0x32a5705f, v24
	v_add_f32_e32 v25, v52, v25
	v_cvt_i32_f32_e32 v51, v51
	v_exp_f32_e32 v25, v25
	v_cmp_ngt_f32_e32 vcc, s25, v24
	v_ldexp_f32 v25, v25, v51
	s_nop 0
	v_cndmask_b32_e32 v25, 0, v25, vcc
	v_cmp_nlt_f32_e32 vcc, s26, v24
	s_nop 1
	v_cndmask_b32_e32 v24, v40, v25, vcc
	v_add_f32_e32 v24, 1.0, v24
	v_rcp_f32_e32 v24, v24
	s_nop 0
	v_fma_f32 v51, v24, -2.0, 1.0
.LBB82_23:                              ;   in Loop: Header=BB82_21 Depth=1
	s_andn2_saveexec_b64 s[6:7], s[6:7]
; %bb.24:                               ;   in Loop: Header=BB82_21 Depth=1
	v_mul_f32_e32 v24, v49, v49
	v_fmamk_f32 v25, v24, 0xbbbac73d, v39
	v_fmaak_f32 v25, v24, v25, 0xbd5c1c4e
	v_fmaak_f32 v25, v24, v25, 0x3e088382
	;; [unrolled: 1-line block ×3, first 2 shown]
	v_mul_f32_e64 v25, |v49|, v25
	v_fma_f32 v51, v24, v25, |v49|
; %bb.25:                               ;   in Loop: Header=BB82_21 Depth=1
	s_or_b64 exec, exec, s[6:7]
	v_add_u32_e32 v24, s2, v14
	v_ashrrev_i32_e32 v25, 31, v24
	v_lshl_add_u64 v[24:25], v[24:25], 1, s[34:35]
	global_load_ushort v55, v[24:25], off
	v_cmp_nlt_f32_e64 s[6:7], |v50|, s21
                                        ; implicit-def: $vgpr52
	s_and_saveexec_b64 s[36:37], s[6:7]
	s_xor_b64 s[6:7], exec, s[36:37]
	s_cbranch_execz .LBB82_27
; %bb.26:                               ;   in Loop: Header=BB82_21 Depth=1
	v_add_f32_e64 v52, |v50|, |v50|
	v_mul_f32_e32 v53, 0x3fb8aa3b, v52
	v_rndne_f32_e32 v54, v53
	v_sub_f32_e32 v56, v53, v54
	v_fma_f32 v53, v52, s24, -v53
	v_fmac_f32_e32 v53, 0x32a5705f, v52
	v_add_f32_e32 v53, v56, v53
	v_cvt_i32_f32_e32 v54, v54
	v_exp_f32_e32 v53, v53
	v_cmp_ngt_f32_e32 vcc, s25, v52
	v_ldexp_f32 v53, v53, v54
	s_nop 0
	v_cndmask_b32_e32 v53, 0, v53, vcc
	v_cmp_nlt_f32_e32 vcc, s26, v52
	s_nop 1
	v_cndmask_b32_e32 v52, v40, v53, vcc
	v_add_f32_e32 v52, 1.0, v52
	v_rcp_f32_e32 v52, v52
	s_nop 0
	v_fma_f32 v52, v52, -2.0, 1.0
.LBB82_27:                              ;   in Loop: Header=BB82_21 Depth=1
	s_andn2_saveexec_b64 s[6:7], s[6:7]
; %bb.28:                               ;   in Loop: Header=BB82_21 Depth=1
	v_mul_f32_e32 v52, v50, v50
	v_fmamk_f32 v53, v52, 0xbbbac73d, v39
	v_fmaak_f32 v53, v52, v53, 0xbd5c1c4e
	v_fmaak_f32 v53, v52, v53, 0x3e088382
	;; [unrolled: 1-line block ×3, first 2 shown]
	v_mul_f32_e64 v53, |v50|, v53
	v_fma_f32 v52, v52, v53, |v50|
; %bb.29:                               ;   in Loop: Header=BB82_21 Depth=1
	s_or_b64 exec, exec, s[6:7]
	global_load_ushort v61, v[24:25], off offset:64
	v_bfi_b32 v24, s27, v51, v49
	s_waitcnt vmcnt(1)
	v_fma_mix_f32 v56, s10, v24, v55 op_sel_hi:[0,0,1]
	v_and_b32_e32 v24, 0x60, v15
	v_add_u32_e32 v49, 32, v24
	v_xor_b32_e32 v54, 16, v15
	v_bfi_b32 v25, s27, v52, v50
	v_cmp_lt_i32_e32 vcc, v54, v49
	v_add_f32_e32 v51, 0x40051340, v56
	v_cmp_nlt_f32_e64 s[6:7], |v47|, s21
	v_cndmask_b32_e32 v24, v15, v54, vcc
	v_lshlrev_b32_e32 v24, 2, v24
                                        ; implicit-def: $vgpr64
	s_waitcnt vmcnt(0)
	v_fma_mix_f32 v25, s10, v25, v61 op_sel_hi:[0,0,1]
	v_add_f32_e32 v50, 0x40051340, v25
	v_max3_f32 v51, v46, v51, v50
	ds_bpermute_b32 v52, v24, v51
	v_xor_b32_e32 v50, 8, v15
	v_cmp_lt_i32_e32 vcc, v50, v49
	s_waitcnt lgkmcnt(0)
	v_max_f32_e32 v52, v52, v52
	v_cndmask_b32_e32 v53, v15, v50, vcc
	v_lshlrev_b32_e32 v60, 2, v53
	v_max_f32_e32 v52, v51, v52
	ds_bpermute_b32 v53, v60, v52
	v_xor_b32_e32 v51, 4, v15
	v_cmp_lt_i32_e32 vcc, v51, v49
	s_waitcnt lgkmcnt(0)
	v_max_f32_e32 v53, v53, v53
	v_cndmask_b32_e32 v57, v15, v51, vcc
	v_lshlrev_b32_e32 v59, 2, v57
	v_max_f32_e32 v53, v52, v53
	;; [unrolled: 8-line block ×4, first 2 shown]
	ds_bpermute_b32 v63, v57, v62
	s_and_saveexec_b64 s[36:37], s[6:7]
	s_xor_b64 s[6:7], exec, s[36:37]
	s_cbranch_execz .LBB82_31
; %bb.30:                               ;   in Loop: Header=BB82_21 Depth=1
	v_add_f32_e64 v64, |v47|, |v47|
	v_mul_f32_e32 v65, 0x3fb8aa3b, v64
	v_rndne_f32_e32 v66, v65
	v_sub_f32_e32 v67, v65, v66
	v_fma_f32 v65, v64, s24, -v65
	v_fmac_f32_e32 v65, 0x32a5705f, v64
	v_add_f32_e32 v65, v67, v65
	v_cvt_i32_f32_e32 v66, v66
	v_exp_f32_e32 v65, v65
	v_cmp_ngt_f32_e32 vcc, s25, v64
	v_ldexp_f32 v65, v65, v66
	s_nop 0
	v_cndmask_b32_e32 v65, 0, v65, vcc
	v_cmp_nlt_f32_e32 vcc, s26, v64
	s_nop 1
	v_cndmask_b32_e32 v64, v40, v65, vcc
	v_add_f32_e32 v64, 1.0, v64
	v_rcp_f32_e32 v64, v64
	s_nop 0
	v_fma_f32 v64, v64, -2.0, 1.0
.LBB82_31:                              ;   in Loop: Header=BB82_21 Depth=1
	s_andn2_saveexec_b64 s[6:7], s[6:7]
; %bb.32:                               ;   in Loop: Header=BB82_21 Depth=1
	v_mul_f32_e32 v64, v47, v47
	v_fmamk_f32 v65, v64, 0xbbbac73d, v39
	v_fmaak_f32 v65, v64, v65, 0xbd5c1c4e
	v_fmaak_f32 v65, v64, v65, 0x3e088382
	;; [unrolled: 1-line block ×3, first 2 shown]
	v_mul_f32_e64 v65, |v47|, v65
	v_fma_f32 v64, v64, v65, |v47|
; %bb.33:                               ;   in Loop: Header=BB82_21 Depth=1
	s_or_b64 exec, exec, s[6:7]
	v_cmp_nlt_f32_e64 s[6:7], |v48|, s21
                                        ; implicit-def: $vgpr65
	s_and_saveexec_b64 s[36:37], s[6:7]
	s_xor_b64 s[6:7], exec, s[36:37]
	s_cbranch_execz .LBB82_35
; %bb.34:                               ;   in Loop: Header=BB82_21 Depth=1
	v_add_f32_e64 v65, |v48|, |v48|
	v_mul_f32_e32 v66, 0x3fb8aa3b, v65
	v_rndne_f32_e32 v67, v66
	v_sub_f32_e32 v68, v66, v67
	v_fma_f32 v66, v65, s24, -v66
	v_fmac_f32_e32 v66, 0x32a5705f, v65
	v_add_f32_e32 v66, v68, v66
	v_cvt_i32_f32_e32 v67, v67
	v_exp_f32_e32 v66, v66
	v_cmp_ngt_f32_e32 vcc, s25, v65
	v_ldexp_f32 v66, v66, v67
	s_nop 0
	v_cndmask_b32_e32 v66, 0, v66, vcc
	v_cmp_nlt_f32_e32 vcc, s26, v65
	s_nop 1
	v_cndmask_b32_e32 v65, v40, v66, vcc
	v_add_f32_e32 v65, 1.0, v65
	v_rcp_f32_e32 v65, v65
	s_nop 0
	v_fma_f32 v65, v65, -2.0, 1.0
.LBB82_35:                              ;   in Loop: Header=BB82_21 Depth=1
	s_andn2_saveexec_b64 s[6:7], s[6:7]
; %bb.36:                               ;   in Loop: Header=BB82_21 Depth=1
	v_mul_f32_e32 v65, v48, v48
	v_fmamk_f32 v66, v65, 0xbbbac73d, v39
	v_fmaak_f32 v66, v65, v66, 0xbd5c1c4e
	v_fmaak_f32 v66, v65, v66, 0x3e088382
	v_fmaak_f32 v66, v65, v66, 0xbeaaaa99
	v_mul_f32_e64 v66, |v48|, v66
	v_fma_f32 v65, v65, v66, |v48|
; %bb.37:                               ;   in Loop: Header=BB82_21 Depth=1
	s_or_b64 exec, exec, s[6:7]
	v_cvt_f32_f16_e32 v55, v55
	v_cvt_f32_f16_e32 v78, v61
	v_bfi_b32 v47, s27, v64, v47
	v_bfi_b32 v48, s27, v65, v48
	v_fmac_f32_e32 v55, s10, v47
	v_fmac_f32_e32 v78, s10, v48
	v_add_f32_e32 v47, 0x40051340, v55
	v_add_f32_e32 v48, 0x40051340, v78
	v_max3_f32 v47, v45, v47, v48
	ds_bpermute_b32 v24, v24, v47
	s_waitcnt lgkmcnt(1)
	v_max_f32_e32 v48, v63, v63
	v_max_f32_e32 v61, v62, v62
	s_mul_hi_i32 s7, s2, s11
	s_mul_i32 s6, s2, s11
	s_waitcnt lgkmcnt(0)
	v_max_f32_e32 v24, v24, v24
	v_max_f32_e32 v47, v47, v24
	ds_bpermute_b32 v60, v60, v47
	v_max_f32_e32 v24, v61, v48
	v_sub_f32_e32 v48, v56, v24
	v_sub_f32_e32 v80, v25, v24
	;; [unrolled: 1-line block ×3, first 2 shown]
	s_waitcnt lgkmcnt(0)
	v_max_f32_e32 v56, v60, v60
	v_max_f32_e32 v47, v47, v56
	ds_bpermute_b32 v56, v59, v47
	v_mul_f32_e32 v59, 0x3fb8aa3b, v48
	v_fma_f32 v60, v48, s24, -v59
	v_rndne_f32_e32 v61, v59
	v_fmac_f32_e32 v60, 0x32a5705f, v48
	s_waitcnt lgkmcnt(0)
	v_max_f32_e32 v56, v56, v56
	v_max_f32_e32 v47, v47, v56
	ds_bpermute_b32 v56, v58, v47
	v_sub_f32_e32 v58, v59, v61
	v_mul_f32_e32 v46, 0x3fb8aa3b, v80
	s_lshl_b64 s[6:7], s[6:7], 2
	v_add_f32_e32 v58, v58, v60
	s_waitcnt lgkmcnt(0)
	v_max_f32_e32 v56, v56, v56
	v_max_f32_e32 v47, v47, v56
	ds_bpermute_b32 v56, v57, v47
	s_add_u32 s6, s8, s6
	v_cvt_i32_f32_e32 v59, v61
	v_exp_f32_e32 v58, v58
	s_addc_u32 s7, s9, s7
	s_waitcnt lgkmcnt(0)
	v_max_f32_e32 v25, v56, v56
	v_max_f32_e32 v25, v47, v25
	v_fma_f32 v47, v80, s24, -v46
	v_rndne_f32_e32 v56, v46
	v_fmac_f32_e32 v47, 0x32a5705f, v80
	v_sub_f32_e32 v46, v46, v56
	v_add_f32_e32 v46, v46, v47
	v_cvt_i32_f32_e32 v83, v56
	v_lshl_add_u64 v[56:57], v[18:19], 2, s[6:7]
	v_exp_f32_e32 v82, v46
	v_lshl_add_u64 v[46:47], v[16:17], 2, s[6:7]
	v_lshl_add_u64 v[72:73], v[56:57], 0, v[4:5]
	;; [unrolled: 1-line block ×6, first 2 shown]
	s_barrier
	v_ldexp_f32 v81, v58, v59
	v_lshl_add_u64 v[76:77], v[56:57], 0, v[4:5]
	global_load_dwordx4 v[56:59], v[46:47], off
	global_load_dwordx4 v[60:63], v[72:73], off
	;; [unrolled: 1-line block ×4, first 2 shown]
	v_cmp_ngt_f32_e32 vcc, s25, v48
	v_ldexp_f32 v47, v82, v83
	s_nop 0
	v_cndmask_b32_e32 v46, 0, v81, vcc
	v_cmp_nlt_f32_e32 vcc, s26, v48
	v_mul_f32_e32 v48, 0x3fb8aa3b, v79
	v_fma_f32 v72, v79, s24, -v48
	v_rndne_f32_e32 v73, v48
	v_fmac_f32_e32 v72, 0x32a5705f, v79
	v_sub_f32_e32 v48, v48, v73
	v_add_f32_e32 v48, v48, v72
	v_exp_f32_e32 v48, v48
	v_cvt_i32_f32_e32 v73, v73
	v_cndmask_b32_e32 v46, v40, v46, vcc
	v_cmp_ngt_f32_e32 vcc, s25, v80
	s_nop 1
	v_cndmask_b32_e32 v47, 0, v47, vcc
	v_cmp_nlt_f32_e32 vcc, s26, v80
	s_nop 1
	v_cndmask_b32_e32 v72, v40, v47, vcc
	v_ldexp_f32 v47, v48, v73
	v_sub_f32_e32 v48, v55, v25
	v_cmp_ngt_f32_e32 vcc, s25, v79
	v_mul_f32_e32 v55, 0x3fb8aa3b, v48
	v_fma_f32 v73, v48, s24, -v55
	v_cndmask_b32_e32 v47, 0, v47, vcc
	v_cmp_nlt_f32_e32 vcc, s26, v79
	v_rndne_f32_e32 v75, v55
	v_fmac_f32_e32 v73, 0x32a5705f, v48
	v_cndmask_b32_e32 v74, v40, v47, vcc
	v_sub_f32_e32 v55, v55, v75
	v_cvt_f16_f32_e32 v47, v74
	v_add_f32_e32 v55, v55, v73
	v_exp_f32_e32 v55, v55
	v_cvt_i32_f32_e32 v73, v75
	v_mul_u32_u24_e32 v76, 0x10001, v47
	v_pk_mul_f16 v77, v44, v76
	v_sub_f32_e32 v44, v45, v25
	v_ldexp_f32 v45, v55, v73
	v_cmp_ngt_f32_e32 vcc, s25, v48
	s_nop 1
	v_cndmask_b32_e32 v45, 0, v45, vcc
	v_cmp_nlt_f32_e32 vcc, s26, v48
	s_nop 1
	v_cndmask_b32_e32 v47, v40, v45, vcc
	v_sub_f32_e32 v45, v78, v25
	v_mul_f32_e32 v48, 0x3fb8aa3b, v45
	v_fma_f32 v55, v45, s24, -v48
	v_rndne_f32_e32 v73, v48
	v_fmac_f32_e32 v55, 0x32a5705f, v45
	v_sub_f32_e32 v48, v48, v73
	v_add_f32_e32 v48, v48, v55
	v_cvt_i32_f32_e32 v55, v73
	v_mul_f32_e32 v73, 0x3fb8aa3b, v44
	v_fma_f32 v75, v44, s24, -v73
	v_rndne_f32_e32 v78, v73
	v_fmac_f32_e32 v75, 0x32a5705f, v44
	v_sub_f32_e32 v73, v73, v78
	v_exp_f32_e32 v48, v48
	v_add_f32_e32 v73, v73, v75
	v_exp_f32_e32 v73, v73
	v_cvt_i32_f32_e32 v75, v78
	v_ldexp_f32 v48, v48, v55
	v_cmp_ngt_f32_e32 vcc, s25, v45
	v_ldexp_f32 v55, v73, v75
	s_nop 0
	v_cndmask_b32_e32 v48, 0, v48, vcc
	v_cmp_ngt_f32_e32 vcc, s25, v44
	s_nop 1
	v_cndmask_b32_e32 v55, 0, v55, vcc
	v_cmp_nlt_f32_e32 vcc, s26, v44
	s_nop 1
	v_cndmask_b32_e32 v75, v40, v55, vcc
	v_cmp_nlt_f32_e32 vcc, s26, v45
	v_cvt_f16_f32_e32 v55, v75
	s_nop 0
	v_cndmask_b32_e32 v73, v40, v48, vcc
	v_pk_add_f32 v[44:45], v[46:47], v[72:73]
	v_mul_u32_u24_e32 v48, 0x10001, v55
	v_pk_fma_f32 v[2:3], v[2:3], v[74:75], v[44:45]
	v_add_u32_e32 v44, v34, v26
	v_cvt_pk_f16_f32 v45, v46, v47
	v_cvt_pk_f16_f32 v46, v72, v73
	ds_write2_b32 v44, v45, v46 offset1:32
	s_waitcnt vmcnt(3)
	ds_write_b128 v35, v[56:59]
	s_waitcnt vmcnt(2)
	ds_write_b128 v36, v[60:63]
	s_waitcnt vmcnt(1)
	ds_write_b128 v37, v[64:67]
	s_waitcnt vmcnt(0)
	ds_write_b128 v38, v[68:71]
	s_waitcnt lgkmcnt(0)
	s_barrier
	ds_read_b128 v[44:47], v34
	ds_read2_b64 v[56:59], v28 offset1:32
	ds_read_b128 v[60:63], v34 offset:16
	ds_read_b128 v[64:67], v34 offset:32
	;; [unrolled: 1-line block ×3, first 2 shown]
	s_waitcnt lgkmcnt(4)
	v_mul_u32_u24_sdwa v55, v44, s29 dst_sel:DWORD dst_unused:UNUSED_PAD src0_sel:WORD_0 src1_sel:DWORD
	v_mul_u32_u24_sdwa v44, v44, s29 dst_sel:DWORD dst_unused:UNUSED_PAD src0_sel:WORD_1 src1_sel:DWORD
	s_waitcnt lgkmcnt(3)
	v_pk_mul_f16 v72, v56, v55
	v_pk_mul_f16 v56, v56, v44
	;; [unrolled: 1-line block ×3, first 2 shown]
	v_pk_fma_f16 v43, v43, v76, v72
	v_pk_fma_f16 v41, v41, v48, v56
	v_mul_u32_u24_sdwa v56, v45, s29 dst_sel:DWORD dst_unused:UNUSED_PAD src0_sel:WORD_0 src1_sel:DWORD
	v_pk_fma_f16 v48, v57, v55, v77
	v_pk_fma_f16 v55, v57, v44, v42
	v_mul_u32_u24_sdwa v57, v45, s29 dst_sel:DWORD dst_unused:UNUSED_PAD src0_sel:WORD_1 src1_sel:DWORD
	v_pk_fma_f16 v72, v58, v56, v43
	ds_read2_b64 v[42:45], v28 offset0:64 offset1:96
	v_pk_fma_f16 v41, v58, v57, v41
	v_pk_fma_f16 v48, v59, v56, v48
	;; [unrolled: 1-line block ×3, first 2 shown]
	v_mul_u32_u24_sdwa v56, v46, s29 dst_sel:DWORD dst_unused:UNUSED_PAD src0_sel:WORD_0 src1_sel:DWORD
	v_mul_u32_u24_sdwa v46, v46, s29 dst_sel:DWORD dst_unused:UNUSED_PAD src0_sel:WORD_1 src1_sel:DWORD
	s_waitcnt lgkmcnt(0)
	v_pk_fma_f16 v57, v42, v56, v72
	v_pk_fma_f16 v41, v42, v46, v41
	;; [unrolled: 1-line block ×4, first 2 shown]
	v_mul_u32_u24_sdwa v46, v47, s29 dst_sel:DWORD dst_unused:UNUSED_PAD src0_sel:WORD_0 src1_sel:DWORD
	v_pk_fma_f16 v48, v44, v46, v57
	ds_read2_b64 v[56:59], v28 offset0:128 offset1:160
	v_mul_u32_u24_sdwa v47, v47, s29 dst_sel:DWORD dst_unused:UNUSED_PAD src0_sel:WORD_1 src1_sel:DWORD
	v_pk_fma_f16 v41, v44, v47, v41
	v_pk_fma_f16 v42, v45, v46, v42
	;; [unrolled: 1-line block ×3, first 2 shown]
	v_mul_u32_u24_sdwa v44, v60, s29 dst_sel:DWORD dst_unused:UNUSED_PAD src0_sel:WORD_0 src1_sel:DWORD
	v_mul_u32_u24_sdwa v45, v60, s29 dst_sel:DWORD dst_unused:UNUSED_PAD src0_sel:WORD_1 src1_sel:DWORD
	s_waitcnt lgkmcnt(0)
	v_pk_fma_f16 v46, v56, v44, v48
	v_pk_fma_f16 v41, v56, v45, v41
	;; [unrolled: 1-line block ×4, first 2 shown]
	ds_read2_b64 v[42:45], v28 offset0:192 offset1:224
	v_mul_u32_u24_sdwa v55, v61, s29 dst_sel:DWORD dst_unused:UNUSED_PAD src0_sel:WORD_0 src1_sel:DWORD
	v_mul_u32_u24_sdwa v56, v61, s29 dst_sel:DWORD dst_unused:UNUSED_PAD src0_sel:WORD_1 src1_sel:DWORD
	v_pk_fma_f16 v46, v58, v55, v46
	v_pk_fma_f16 v41, v58, v56, v41
	;; [unrolled: 1-line block ×4, first 2 shown]
	v_mul_u32_u24_sdwa v55, v62, s29 dst_sel:DWORD dst_unused:UNUSED_PAD src0_sel:WORD_0 src1_sel:DWORD
	v_mul_u32_u24_sdwa v56, v62, s29 dst_sel:DWORD dst_unused:UNUSED_PAD src0_sel:WORD_1 src1_sel:DWORD
	s_waitcnt lgkmcnt(0)
	v_pk_fma_f16 v46, v42, v55, v46
	v_pk_fma_f16 v41, v42, v56, v41
	;; [unrolled: 1-line block ×3, first 2 shown]
	v_add_u32_e32 v55, 0x800, v28
	v_pk_fma_f16 v43, v43, v56, v48
	ds_read2_b64 v[56:59], v55 offset1:32
	v_mul_u32_u24_sdwa v47, v63, s29 dst_sel:DWORD dst_unused:UNUSED_PAD src0_sel:WORD_0 src1_sel:DWORD
	v_mul_u32_u24_sdwa v48, v63, s29 dst_sel:DWORD dst_unused:UNUSED_PAD src0_sel:WORD_1 src1_sel:DWORD
	v_pk_fma_f16 v46, v44, v47, v46
	v_pk_fma_f16 v41, v44, v48, v41
	v_pk_fma_f16 v42, v45, v47, v42
	v_pk_fma_f16 v43, v45, v48, v43
	v_mul_u32_u24_sdwa v44, v64, s29 dst_sel:DWORD dst_unused:UNUSED_PAD src0_sel:WORD_0 src1_sel:DWORD
	v_mul_u32_u24_sdwa v45, v64, s29 dst_sel:DWORD dst_unused:UNUSED_PAD src0_sel:WORD_1 src1_sel:DWORD
	s_waitcnt lgkmcnt(0)
	v_pk_fma_f16 v46, v56, v44, v46
	v_pk_fma_f16 v41, v56, v45, v41
	v_pk_fma_f16 v47, v57, v44, v42
	v_pk_fma_f16 v48, v57, v45, v43
	ds_read2_b64 v[42:45], v55 offset0:64 offset1:96
	v_mul_u32_u24_sdwa v56, v65, s29 dst_sel:DWORD dst_unused:UNUSED_PAD src0_sel:WORD_0 src1_sel:DWORD
	v_mul_u32_u24_sdwa v57, v65, s29 dst_sel:DWORD dst_unused:UNUSED_PAD src0_sel:WORD_1 src1_sel:DWORD
	v_pk_fma_f16 v46, v58, v56, v46
	v_pk_fma_f16 v41, v58, v57, v41
	v_pk_fma_f16 v47, v59, v56, v47
	v_pk_fma_f16 v48, v59, v57, v48
	v_mul_u32_u24_sdwa v56, v66, s29 dst_sel:DWORD dst_unused:UNUSED_PAD src0_sel:WORD_0 src1_sel:DWORD
	v_mul_u32_u24_sdwa v57, v66, s29 dst_sel:DWORD dst_unused:UNUSED_PAD src0_sel:WORD_1 src1_sel:DWORD
	s_waitcnt lgkmcnt(0)
	v_pk_fma_f16 v46, v42, v56, v46
	v_pk_fma_f16 v41, v42, v57, v41
	v_pk_fma_f16 v42, v43, v56, v47
	v_pk_fma_f16 v43, v43, v57, v48
	ds_read2_b64 v[56:59], v55 offset0:128 offset1:160
	v_mul_u32_u24_sdwa v47, v67, s29 dst_sel:DWORD dst_unused:UNUSED_PAD src0_sel:WORD_0 src1_sel:DWORD
	v_mul_u32_u24_sdwa v48, v67, s29 dst_sel:DWORD dst_unused:UNUSED_PAD src0_sel:WORD_1 src1_sel:DWORD
	v_pk_fma_f16 v46, v44, v47, v46
	v_pk_fma_f16 v41, v44, v48, v41
	v_pk_fma_f16 v42, v45, v47, v42
	v_pk_fma_f16 v43, v45, v48, v43
	v_mul_u32_u24_sdwa v44, v68, s29 dst_sel:DWORD dst_unused:UNUSED_PAD src0_sel:WORD_0 src1_sel:DWORD
	v_mul_u32_u24_sdwa v45, v68, s29 dst_sel:DWORD dst_unused:UNUSED_PAD src0_sel:WORD_1 src1_sel:DWORD
	s_waitcnt lgkmcnt(0)
	v_pk_fma_f16 v46, v56, v44, v46
	v_pk_fma_f16 v41, v56, v45, v41
	v_pk_fma_f16 v47, v57, v44, v42
	v_pk_fma_f16 v48, v57, v45, v43
	ds_read2_b64 v[42:45], v55 offset0:192 offset1:224
	v_mul_u32_u24_sdwa v56, v69, s29 dst_sel:DWORD dst_unused:UNUSED_PAD src0_sel:WORD_0 src1_sel:DWORD
	v_mul_u32_u24_sdwa v57, v69, s29 dst_sel:DWORD dst_unused:UNUSED_PAD src0_sel:WORD_1 src1_sel:DWORD
	v_pk_fma_f16 v46, v58, v56, v46
	v_pk_fma_f16 v41, v58, v57, v41
	;; [unrolled: 1-line block ×4, first 2 shown]
	v_mul_u32_u24_sdwa v55, v70, s29 dst_sel:DWORD dst_unused:UNUSED_PAD src0_sel:WORD_0 src1_sel:DWORD
	v_mul_u32_u24_sdwa v56, v70, s29 dst_sel:DWORD dst_unused:UNUSED_PAD src0_sel:WORD_1 src1_sel:DWORD
	s_waitcnt lgkmcnt(0)
	v_pk_fma_f16 v46, v42, v55, v46
	v_pk_fma_f16 v41, v42, v56, v41
	;; [unrolled: 1-line block ×4, first 2 shown]
	ds_read_b128 v[56:59], v34 offset:64
	v_add_u32_e32 v55, 0x1000, v28
	ds_read2_b64 v[60:63], v55 offset1:32
	v_mul_u32_u24_sdwa v47, v71, s29 dst_sel:DWORD dst_unused:UNUSED_PAD src0_sel:WORD_0 src1_sel:DWORD
	v_mul_u32_u24_sdwa v48, v71, s29 dst_sel:DWORD dst_unused:UNUSED_PAD src0_sel:WORD_1 src1_sel:DWORD
	v_pk_fma_f16 v46, v44, v47, v46
	v_pk_fma_f16 v41, v44, v48, v41
	;; [unrolled: 1-line block ×4, first 2 shown]
	ds_read_b128 v[42:45], v34 offset:80
	s_waitcnt lgkmcnt(2)
	v_mul_u32_u24_sdwa v64, v56, s29 dst_sel:DWORD dst_unused:UNUSED_PAD src0_sel:WORD_0 src1_sel:DWORD
	s_waitcnt lgkmcnt(1)
	v_pk_fma_f16 v46, v60, v64, v46
	v_pk_fma_f16 v47, v61, v64, v47
	ds_read2_b64 v[64:67], v55 offset0:64 offset1:96
	v_mul_u32_u24_sdwa v56, v56, s29 dst_sel:DWORD dst_unused:UNUSED_PAD src0_sel:WORD_1 src1_sel:DWORD
	v_pk_fma_f16 v41, v60, v56, v41
	v_pk_fma_f16 v48, v61, v56, v48
	v_mul_u32_u24_sdwa v56, v57, s29 dst_sel:DWORD dst_unused:UNUSED_PAD src0_sel:WORD_0 src1_sel:DWORD
	v_mul_u32_u24_sdwa v57, v57, s29 dst_sel:DWORD dst_unused:UNUSED_PAD src0_sel:WORD_1 src1_sel:DWORD
	v_pk_fma_f16 v46, v62, v56, v46
	v_pk_fma_f16 v41, v62, v57, v41
	;; [unrolled: 1-line block ×4, first 2 shown]
	v_mul_u32_u24_sdwa v56, v58, s29 dst_sel:DWORD dst_unused:UNUSED_PAD src0_sel:WORD_0 src1_sel:DWORD
	v_mul_u32_u24_sdwa v57, v58, s29 dst_sel:DWORD dst_unused:UNUSED_PAD src0_sel:WORD_1 src1_sel:DWORD
	s_waitcnt lgkmcnt(0)
	v_pk_fma_f16 v46, v64, v56, v46
	v_pk_fma_f16 v41, v64, v57, v41
	;; [unrolled: 1-line block ×4, first 2 shown]
	v_mul_u32_u24_sdwa v60, v59, s29 dst_sel:DWORD dst_unused:UNUSED_PAD src0_sel:WORD_0 src1_sel:DWORD
	v_mul_u32_u24_sdwa v61, v59, s29 dst_sel:DWORD dst_unused:UNUSED_PAD src0_sel:WORD_1 src1_sel:DWORD
	ds_read2_b64 v[56:59], v55 offset0:128 offset1:160
	v_pk_fma_f16 v46, v66, v60, v46
	v_pk_fma_f16 v47, v67, v60, v47
	v_mul_u32_u24_sdwa v60, v42, s29 dst_sel:DWORD dst_unused:UNUSED_PAD src0_sel:WORD_0 src1_sel:DWORD
	v_pk_fma_f16 v41, v66, v61, v41
	v_pk_fma_f16 v48, v67, v61, v48
	s_waitcnt lgkmcnt(0)
	v_pk_fma_f16 v46, v56, v60, v46
	v_pk_fma_f16 v47, v57, v60, v47
	ds_read2_b64 v[60:63], v55 offset0:192 offset1:224
	v_mul_u32_u24_sdwa v42, v42, s29 dst_sel:DWORD dst_unused:UNUSED_PAD src0_sel:WORD_1 src1_sel:DWORD
	v_pk_fma_f16 v41, v56, v42, v41
	v_pk_fma_f16 v42, v57, v42, v48
	v_mul_u32_u24_sdwa v48, v43, s29 dst_sel:DWORD dst_unused:UNUSED_PAD src0_sel:WORD_0 src1_sel:DWORD
	v_mul_u32_u24_sdwa v43, v43, s29 dst_sel:DWORD dst_unused:UNUSED_PAD src0_sel:WORD_1 src1_sel:DWORD
	v_pk_fma_f16 v46, v58, v48, v46
	v_pk_fma_f16 v41, v58, v43, v41
	;; [unrolled: 1-line block ×4, first 2 shown]
	v_mul_u32_u24_sdwa v43, v44, s29 dst_sel:DWORD dst_unused:UNUSED_PAD src0_sel:WORD_0 src1_sel:DWORD
	v_mul_u32_u24_sdwa v44, v44, s29 dst_sel:DWORD dst_unused:UNUSED_PAD src0_sel:WORD_1 src1_sel:DWORD
	s_waitcnt lgkmcnt(0)
	v_pk_fma_f16 v46, v60, v43, v46
	v_pk_fma_f16 v43, v61, v43, v47
	v_pk_fma_f16 v47, v61, v44, v42
	v_mul_u32_u24_sdwa v42, v45, s29 dst_sel:DWORD dst_unused:UNUSED_PAD src0_sel:WORD_0 src1_sel:DWORD
	v_pk_fma_f16 v41, v60, v44, v41
	v_mul_u32_u24_sdwa v48, v45, s29 dst_sel:DWORD dst_unused:UNUSED_PAD src0_sel:WORD_1 src1_sel:DWORD
	v_pk_fma_f16 v46, v62, v42, v46
	v_pk_fma_f16 v55, v63, v42, v43
	ds_read_b128 v[42:45], v34 offset:96
	v_add_u32_e32 v68, 0x1800, v28
	ds_read2_b64 v[56:59], v68 offset1:32
	ds_read2_b64 v[64:67], v68 offset0:64 offset1:96
	v_pk_fma_f16 v41, v62, v48, v41
	v_pk_fma_f16 v47, v63, v48, v47
	ds_read_b128 v[60:63], v34 offset:112
	s_waitcnt lgkmcnt(3)
	v_mul_u32_u24_sdwa v48, v42, s29 dst_sel:DWORD dst_unused:UNUSED_PAD src0_sel:WORD_0 src1_sel:DWORD
	v_mul_u32_u24_sdwa v42, v42, s29 dst_sel:DWORD dst_unused:UNUSED_PAD src0_sel:WORD_1 src1_sel:DWORD
	s_waitcnt lgkmcnt(2)
	v_pk_fma_f16 v46, v56, v48, v46
	v_pk_fma_f16 v41, v56, v42, v41
	;; [unrolled: 1-line block ×4, first 2 shown]
	v_mul_u32_u24_sdwa v47, v43, s29 dst_sel:DWORD dst_unused:UNUSED_PAD src0_sel:WORD_0 src1_sel:DWORD
	v_mul_u32_u24_sdwa v43, v43, s29 dst_sel:DWORD dst_unused:UNUSED_PAD src0_sel:WORD_1 src1_sel:DWORD
	v_pk_fma_f16 v46, v58, v47, v46
	v_pk_fma_f16 v41, v58, v43, v41
	;; [unrolled: 1-line block ×4, first 2 shown]
	v_mul_u32_u24_sdwa v43, v44, s29 dst_sel:DWORD dst_unused:UNUSED_PAD src0_sel:WORD_0 src1_sel:DWORD
	v_mul_u32_u24_sdwa v44, v44, s29 dst_sel:DWORD dst_unused:UNUSED_PAD src0_sel:WORD_1 src1_sel:DWORD
	s_waitcnt lgkmcnt(1)
	v_pk_fma_f16 v46, v64, v43, v46
	v_pk_fma_f16 v41, v64, v44, v41
	;; [unrolled: 1-line block ×4, first 2 shown]
	v_mul_u32_u24_sdwa v55, v45, s29 dst_sel:DWORD dst_unused:UNUSED_PAD src0_sel:WORD_0 src1_sel:DWORD
	v_mul_u32_u24_sdwa v56, v45, s29 dst_sel:DWORD dst_unused:UNUSED_PAD src0_sel:WORD_1 src1_sel:DWORD
	ds_read2_b64 v[42:45], v68 offset0:128 offset1:160
	v_pk_fma_f16 v46, v66, v55, v46
	v_pk_fma_f16 v41, v66, v56, v41
	;; [unrolled: 1-line block ×4, first 2 shown]
	s_waitcnt lgkmcnt(1)
	v_mul_u32_u24_sdwa v55, v60, s29 dst_sel:DWORD dst_unused:UNUSED_PAD src0_sel:WORD_0 src1_sel:DWORD
	v_mul_u32_u24_sdwa v56, v60, s29 dst_sel:DWORD dst_unused:UNUSED_PAD src0_sel:WORD_1 src1_sel:DWORD
	s_waitcnt lgkmcnt(0)
	v_pk_fma_f16 v46, v42, v55, v46
	v_pk_fma_f16 v41, v42, v56, v41
	;; [unrolled: 1-line block ×4, first 2 shown]
	ds_read2_b64 v[56:59], v68 offset0:192 offset1:224
	v_mul_u32_u24_sdwa v47, v61, s29 dst_sel:DWORD dst_unused:UNUSED_PAD src0_sel:WORD_0 src1_sel:DWORD
	v_mul_u32_u24_sdwa v48, v61, s29 dst_sel:DWORD dst_unused:UNUSED_PAD src0_sel:WORD_1 src1_sel:DWORD
	v_pk_fma_f16 v46, v44, v47, v46
	v_pk_fma_f16 v41, v44, v48, v41
	;; [unrolled: 1-line block ×4, first 2 shown]
	v_mul_u32_u24_sdwa v44, v62, s29 dst_sel:DWORD dst_unused:UNUSED_PAD src0_sel:WORD_0 src1_sel:DWORD
	v_mul_u32_u24_sdwa v45, v62, s29 dst_sel:DWORD dst_unused:UNUSED_PAD src0_sel:WORD_1 src1_sel:DWORD
	s_waitcnt lgkmcnt(0)
	v_pk_fma_f16 v46, v56, v44, v46
	v_pk_fma_f16 v42, v57, v44, v42
	;; [unrolled: 1-line block ×3, first 2 shown]
	v_mul_u32_u24_sdwa v43, v63, s29 dst_sel:DWORD dst_unused:UNUSED_PAD src0_sel:WORD_0 src1_sel:DWORD
	v_pk_fma_f16 v41, v56, v45, v41
	v_pk_fma_f16 v46, v58, v43, v46
	;; [unrolled: 1-line block ×3, first 2 shown]
	ds_read_b128 v[42:45], v34 offset:128
	v_add_u32_e32 v68, 0x2000, v28
	v_mul_u32_u24_sdwa v48, v63, s29 dst_sel:DWORD dst_unused:UNUSED_PAD src0_sel:WORD_1 src1_sel:DWORD
	ds_read2_b64 v[60:63], v68 offset1:32
	ds_read2_b64 v[64:67], v68 offset0:64 offset1:96
	v_pk_fma_f16 v41, v58, v48, v41
	v_pk_fma_f16 v47, v59, v48, v47
	ds_read_b128 v[56:59], v34 offset:144
	s_waitcnt lgkmcnt(3)
	v_mul_u32_u24_sdwa v48, v42, s29 dst_sel:DWORD dst_unused:UNUSED_PAD src0_sel:WORD_0 src1_sel:DWORD
	v_mul_u32_u24_sdwa v42, v42, s29 dst_sel:DWORD dst_unused:UNUSED_PAD src0_sel:WORD_1 src1_sel:DWORD
	s_waitcnt lgkmcnt(2)
	v_pk_fma_f16 v46, v60, v48, v46
	v_pk_fma_f16 v41, v60, v42, v41
	;; [unrolled: 1-line block ×4, first 2 shown]
	v_mul_u32_u24_sdwa v47, v43, s29 dst_sel:DWORD dst_unused:UNUSED_PAD src0_sel:WORD_0 src1_sel:DWORD
	v_mul_u32_u24_sdwa v43, v43, s29 dst_sel:DWORD dst_unused:UNUSED_PAD src0_sel:WORD_1 src1_sel:DWORD
	v_pk_fma_f16 v46, v62, v47, v46
	v_pk_fma_f16 v41, v62, v43, v41
	;; [unrolled: 1-line block ×4, first 2 shown]
	v_mul_u32_u24_sdwa v43, v44, s29 dst_sel:DWORD dst_unused:UNUSED_PAD src0_sel:WORD_0 src1_sel:DWORD
	v_mul_u32_u24_sdwa v44, v44, s29 dst_sel:DWORD dst_unused:UNUSED_PAD src0_sel:WORD_1 src1_sel:DWORD
	s_waitcnt lgkmcnt(1)
	v_pk_fma_f16 v46, v64, v43, v46
	v_pk_fma_f16 v41, v64, v44, v41
	;; [unrolled: 1-line block ×4, first 2 shown]
	v_mul_u32_u24_sdwa v55, v45, s29 dst_sel:DWORD dst_unused:UNUSED_PAD src0_sel:WORD_0 src1_sel:DWORD
	v_mul_u32_u24_sdwa v60, v45, s29 dst_sel:DWORD dst_unused:UNUSED_PAD src0_sel:WORD_1 src1_sel:DWORD
	ds_read2_b64 v[42:45], v68 offset0:128 offset1:160
	v_pk_fma_f16 v41, v66, v60, v41
	v_pk_fma_f16 v48, v67, v60, v48
	ds_read2_b64 v[60:63], v68 offset0:192 offset1:224
	v_pk_fma_f16 v46, v66, v55, v46
	v_pk_fma_f16 v47, v67, v55, v47
	s_waitcnt lgkmcnt(2)
	v_mul_u32_u24_sdwa v55, v56, s29 dst_sel:DWORD dst_unused:UNUSED_PAD src0_sel:WORD_0 src1_sel:DWORD
	v_mul_u32_u24_sdwa v56, v56, s29 dst_sel:DWORD dst_unused:UNUSED_PAD src0_sel:WORD_1 src1_sel:DWORD
	s_waitcnt lgkmcnt(1)
	v_pk_fma_f16 v46, v42, v55, v46
	v_pk_fma_f16 v41, v42, v56, v41
	v_pk_fma_f16 v42, v43, v55, v47
	v_pk_fma_f16 v43, v43, v56, v48
	v_mul_u32_u24_sdwa v47, v57, s29 dst_sel:DWORD dst_unused:UNUSED_PAD src0_sel:WORD_0 src1_sel:DWORD
	v_mul_u32_u24_sdwa v48, v57, s29 dst_sel:DWORD dst_unused:UNUSED_PAD src0_sel:WORD_1 src1_sel:DWORD
	v_pk_fma_f16 v46, v44, v47, v46
	v_pk_fma_f16 v41, v44, v48, v41
	;; [unrolled: 1-line block ×4, first 2 shown]
	v_mul_u32_u24_sdwa v44, v58, s29 dst_sel:DWORD dst_unused:UNUSED_PAD src0_sel:WORD_0 src1_sel:DWORD
	v_mul_u32_u24_sdwa v45, v58, s29 dst_sel:DWORD dst_unused:UNUSED_PAD src0_sel:WORD_1 src1_sel:DWORD
	s_waitcnt lgkmcnt(0)
	v_pk_fma_f16 v46, v60, v44, v46
	v_pk_fma_f16 v42, v61, v44, v42
	;; [unrolled: 1-line block ×3, first 2 shown]
	v_mul_u32_u24_sdwa v43, v59, s29 dst_sel:DWORD dst_unused:UNUSED_PAD src0_sel:WORD_0 src1_sel:DWORD
	v_pk_fma_f16 v41, v60, v45, v41
	v_pk_fma_f16 v46, v62, v43, v46
	;; [unrolled: 1-line block ×3, first 2 shown]
	ds_read_b128 v[42:45], v34 offset:160
	v_add_u32_e32 v68, 0x2800, v28
	v_mul_u32_u24_sdwa v48, v59, s29 dst_sel:DWORD dst_unused:UNUSED_PAD src0_sel:WORD_1 src1_sel:DWORD
	ds_read2_b64 v[56:59], v68 offset1:32
	ds_read2_b64 v[64:67], v68 offset0:64 offset1:96
	v_pk_fma_f16 v41, v62, v48, v41
	v_pk_fma_f16 v47, v63, v48, v47
	ds_read_b128 v[60:63], v34 offset:176
	s_waitcnt lgkmcnt(3)
	v_mul_u32_u24_sdwa v48, v42, s29 dst_sel:DWORD dst_unused:UNUSED_PAD src0_sel:WORD_0 src1_sel:DWORD
	v_mul_u32_u24_sdwa v42, v42, s29 dst_sel:DWORD dst_unused:UNUSED_PAD src0_sel:WORD_1 src1_sel:DWORD
	s_waitcnt lgkmcnt(2)
	v_pk_fma_f16 v46, v56, v48, v46
	v_pk_fma_f16 v41, v56, v42, v41
	;; [unrolled: 1-line block ×4, first 2 shown]
	v_mul_u32_u24_sdwa v47, v43, s29 dst_sel:DWORD dst_unused:UNUSED_PAD src0_sel:WORD_0 src1_sel:DWORD
	v_mul_u32_u24_sdwa v43, v43, s29 dst_sel:DWORD dst_unused:UNUSED_PAD src0_sel:WORD_1 src1_sel:DWORD
	v_pk_fma_f16 v46, v58, v47, v46
	v_pk_fma_f16 v41, v58, v43, v41
	;; [unrolled: 1-line block ×4, first 2 shown]
	v_mul_u32_u24_sdwa v43, v44, s29 dst_sel:DWORD dst_unused:UNUSED_PAD src0_sel:WORD_0 src1_sel:DWORD
	v_mul_u32_u24_sdwa v44, v44, s29 dst_sel:DWORD dst_unused:UNUSED_PAD src0_sel:WORD_1 src1_sel:DWORD
	s_waitcnt lgkmcnt(1)
	v_pk_fma_f16 v46, v64, v43, v46
	v_pk_fma_f16 v41, v64, v44, v41
	v_pk_fma_f16 v47, v65, v43, v47
	v_pk_fma_f16 v48, v65, v44, v42
	v_mul_u32_u24_sdwa v55, v45, s29 dst_sel:DWORD dst_unused:UNUSED_PAD src0_sel:WORD_0 src1_sel:DWORD
	v_mul_u32_u24_sdwa v56, v45, s29 dst_sel:DWORD dst_unused:UNUSED_PAD src0_sel:WORD_1 src1_sel:DWORD
	ds_read2_b64 v[42:45], v68 offset0:128 offset1:160
	v_pk_fma_f16 v46, v66, v55, v46
	v_pk_fma_f16 v41, v66, v56, v41
	v_pk_fma_f16 v47, v67, v55, v47
	v_pk_fma_f16 v48, v67, v56, v48
	s_waitcnt lgkmcnt(1)
	v_mul_u32_u24_sdwa v55, v60, s29 dst_sel:DWORD dst_unused:UNUSED_PAD src0_sel:WORD_0 src1_sel:DWORD
	v_mul_u32_u24_sdwa v56, v60, s29 dst_sel:DWORD dst_unused:UNUSED_PAD src0_sel:WORD_1 src1_sel:DWORD
	s_waitcnt lgkmcnt(0)
	v_pk_fma_f16 v46, v42, v55, v46
	v_pk_fma_f16 v41, v42, v56, v41
	;; [unrolled: 1-line block ×4, first 2 shown]
	ds_read2_b64 v[56:59], v68 offset0:192 offset1:224
	v_mul_u32_u24_sdwa v47, v61, s29 dst_sel:DWORD dst_unused:UNUSED_PAD src0_sel:WORD_0 src1_sel:DWORD
	v_mul_u32_u24_sdwa v48, v61, s29 dst_sel:DWORD dst_unused:UNUSED_PAD src0_sel:WORD_1 src1_sel:DWORD
	v_pk_fma_f16 v46, v44, v47, v46
	v_pk_fma_f16 v41, v44, v48, v41
	;; [unrolled: 1-line block ×4, first 2 shown]
	v_mul_u32_u24_sdwa v44, v62, s29 dst_sel:DWORD dst_unused:UNUSED_PAD src0_sel:WORD_0 src1_sel:DWORD
	v_mul_u32_u24_sdwa v45, v62, s29 dst_sel:DWORD dst_unused:UNUSED_PAD src0_sel:WORD_1 src1_sel:DWORD
	s_waitcnt lgkmcnt(0)
	v_pk_fma_f16 v46, v56, v44, v46
	v_pk_fma_f16 v42, v57, v44, v42
	;; [unrolled: 1-line block ×3, first 2 shown]
	v_mul_u32_u24_sdwa v43, v63, s29 dst_sel:DWORD dst_unused:UNUSED_PAD src0_sel:WORD_0 src1_sel:DWORD
	v_pk_fma_f16 v41, v56, v45, v41
	v_pk_fma_f16 v46, v58, v43, v46
	;; [unrolled: 1-line block ×3, first 2 shown]
	ds_read_b128 v[42:45], v34 offset:192
	v_add_u32_e32 v68, 0x3000, v28
	v_mul_u32_u24_sdwa v48, v63, s29 dst_sel:DWORD dst_unused:UNUSED_PAD src0_sel:WORD_1 src1_sel:DWORD
	ds_read2_b64 v[60:63], v68 offset1:32
	ds_read2_b64 v[64:67], v68 offset0:64 offset1:96
	v_pk_fma_f16 v41, v58, v48, v41
	v_pk_fma_f16 v47, v59, v48, v47
	ds_read_b128 v[56:59], v34 offset:208
	s_waitcnt lgkmcnt(3)
	v_mul_u32_u24_sdwa v48, v42, s29 dst_sel:DWORD dst_unused:UNUSED_PAD src0_sel:WORD_0 src1_sel:DWORD
	v_mul_u32_u24_sdwa v42, v42, s29 dst_sel:DWORD dst_unused:UNUSED_PAD src0_sel:WORD_1 src1_sel:DWORD
	s_waitcnt lgkmcnt(2)
	v_pk_fma_f16 v46, v60, v48, v46
	v_pk_fma_f16 v41, v60, v42, v41
	;; [unrolled: 1-line block ×4, first 2 shown]
	v_mul_u32_u24_sdwa v47, v43, s29 dst_sel:DWORD dst_unused:UNUSED_PAD src0_sel:WORD_0 src1_sel:DWORD
	v_mul_u32_u24_sdwa v43, v43, s29 dst_sel:DWORD dst_unused:UNUSED_PAD src0_sel:WORD_1 src1_sel:DWORD
	v_pk_fma_f16 v46, v62, v47, v46
	v_pk_fma_f16 v41, v62, v43, v41
	;; [unrolled: 1-line block ×4, first 2 shown]
	v_mul_u32_u24_sdwa v43, v44, s29 dst_sel:DWORD dst_unused:UNUSED_PAD src0_sel:WORD_0 src1_sel:DWORD
	v_mul_u32_u24_sdwa v44, v44, s29 dst_sel:DWORD dst_unused:UNUSED_PAD src0_sel:WORD_1 src1_sel:DWORD
	s_waitcnt lgkmcnt(1)
	v_pk_fma_f16 v46, v64, v43, v46
	v_pk_fma_f16 v41, v64, v44, v41
	;; [unrolled: 1-line block ×4, first 2 shown]
	v_mul_u32_u24_sdwa v55, v45, s29 dst_sel:DWORD dst_unused:UNUSED_PAD src0_sel:WORD_0 src1_sel:DWORD
	v_mul_u32_u24_sdwa v60, v45, s29 dst_sel:DWORD dst_unused:UNUSED_PAD src0_sel:WORD_1 src1_sel:DWORD
	ds_read2_b64 v[42:45], v68 offset0:128 offset1:160
	v_pk_fma_f16 v41, v66, v60, v41
	v_pk_fma_f16 v48, v67, v60, v48
	ds_read2_b64 v[60:63], v68 offset0:192 offset1:224
	v_pk_fma_f16 v46, v66, v55, v46
	v_pk_fma_f16 v47, v67, v55, v47
	s_waitcnt lgkmcnt(2)
	v_mul_u32_u24_sdwa v55, v56, s29 dst_sel:DWORD dst_unused:UNUSED_PAD src0_sel:WORD_0 src1_sel:DWORD
	v_mul_u32_u24_sdwa v56, v56, s29 dst_sel:DWORD dst_unused:UNUSED_PAD src0_sel:WORD_1 src1_sel:DWORD
	s_waitcnt lgkmcnt(1)
	v_pk_fma_f16 v46, v42, v55, v46
	v_pk_fma_f16 v41, v42, v56, v41
	;; [unrolled: 1-line block ×4, first 2 shown]
	v_mul_u32_u24_sdwa v47, v57, s29 dst_sel:DWORD dst_unused:UNUSED_PAD src0_sel:WORD_0 src1_sel:DWORD
	v_mul_u32_u24_sdwa v48, v57, s29 dst_sel:DWORD dst_unused:UNUSED_PAD src0_sel:WORD_1 src1_sel:DWORD
	v_pk_fma_f16 v46, v44, v47, v46
	v_pk_fma_f16 v41, v44, v48, v41
	;; [unrolled: 1-line block ×4, first 2 shown]
	v_mul_u32_u24_sdwa v44, v58, s29 dst_sel:DWORD dst_unused:UNUSED_PAD src0_sel:WORD_0 src1_sel:DWORD
	v_mul_u32_u24_sdwa v45, v58, s29 dst_sel:DWORD dst_unused:UNUSED_PAD src0_sel:WORD_1 src1_sel:DWORD
	s_waitcnt lgkmcnt(0)
	v_pk_fma_f16 v46, v60, v44, v46
	v_pk_fma_f16 v42, v61, v44, v42
	;; [unrolled: 1-line block ×3, first 2 shown]
	v_mul_u32_u24_sdwa v43, v59, s29 dst_sel:DWORD dst_unused:UNUSED_PAD src0_sel:WORD_0 src1_sel:DWORD
	v_pk_fma_f16 v41, v60, v45, v41
	v_pk_fma_f16 v46, v62, v43, v46
	;; [unrolled: 1-line block ×3, first 2 shown]
	ds_read_b128 v[42:45], v34 offset:224
	v_add_u32_e32 v68, 0x3800, v28
	v_mul_u32_u24_sdwa v48, v59, s29 dst_sel:DWORD dst_unused:UNUSED_PAD src0_sel:WORD_1 src1_sel:DWORD
	ds_read2_b64 v[56:59], v68 offset1:32
	ds_read2_b64 v[64:67], v68 offset0:64 offset1:96
	v_pk_fma_f16 v41, v62, v48, v41
	v_pk_fma_f16 v47, v63, v48, v47
	ds_read_b128 v[60:63], v34 offset:240
	s_waitcnt lgkmcnt(3)
	v_mul_u32_u24_sdwa v48, v42, s29 dst_sel:DWORD dst_unused:UNUSED_PAD src0_sel:WORD_0 src1_sel:DWORD
	v_mul_u32_u24_sdwa v42, v42, s29 dst_sel:DWORD dst_unused:UNUSED_PAD src0_sel:WORD_1 src1_sel:DWORD
	s_waitcnt lgkmcnt(2)
	v_pk_fma_f16 v46, v56, v48, v46
	v_pk_fma_f16 v41, v56, v42, v41
	;; [unrolled: 1-line block ×4, first 2 shown]
	v_mul_u32_u24_sdwa v47, v43, s29 dst_sel:DWORD dst_unused:UNUSED_PAD src0_sel:WORD_0 src1_sel:DWORD
	v_mul_u32_u24_sdwa v43, v43, s29 dst_sel:DWORD dst_unused:UNUSED_PAD src0_sel:WORD_1 src1_sel:DWORD
	v_pk_fma_f16 v46, v58, v47, v46
	v_pk_fma_f16 v41, v58, v43, v41
	v_pk_fma_f16 v47, v59, v47, v48
	v_pk_fma_f16 v42, v59, v43, v42
	v_mul_u32_u24_sdwa v43, v44, s29 dst_sel:DWORD dst_unused:UNUSED_PAD src0_sel:WORD_0 src1_sel:DWORD
	v_mul_u32_u24_sdwa v44, v44, s29 dst_sel:DWORD dst_unused:UNUSED_PAD src0_sel:WORD_1 src1_sel:DWORD
	s_waitcnt lgkmcnt(1)
	v_pk_fma_f16 v46, v64, v43, v46
	v_pk_fma_f16 v41, v64, v44, v41
	v_pk_fma_f16 v47, v65, v43, v47
	v_pk_fma_f16 v48, v65, v44, v42
	v_mul_u32_u24_sdwa v55, v45, s29 dst_sel:DWORD dst_unused:UNUSED_PAD src0_sel:WORD_0 src1_sel:DWORD
	v_mul_u32_u24_sdwa v56, v45, s29 dst_sel:DWORD dst_unused:UNUSED_PAD src0_sel:WORD_1 src1_sel:DWORD
	ds_read2_b64 v[42:45], v68 offset0:128 offset1:160
	v_pk_fma_f16 v46, v66, v55, v46
	v_pk_fma_f16 v41, v66, v56, v41
	;; [unrolled: 1-line block ×4, first 2 shown]
	s_waitcnt lgkmcnt(1)
	v_mul_u32_u24_sdwa v55, v60, s29 dst_sel:DWORD dst_unused:UNUSED_PAD src0_sel:WORD_0 src1_sel:DWORD
	v_mul_u32_u24_sdwa v56, v60, s29 dst_sel:DWORD dst_unused:UNUSED_PAD src0_sel:WORD_1 src1_sel:DWORD
	s_waitcnt lgkmcnt(0)
	v_pk_fma_f16 v46, v42, v55, v46
	v_pk_fma_f16 v41, v42, v56, v41
	;; [unrolled: 1-line block ×4, first 2 shown]
	ds_read2_b64 v[56:59], v68 offset0:192 offset1:224
	s_waitcnt lgkmcnt(0)
	s_barrier
	s_load_dword s6, s[4:5], 0x4
	v_mul_u32_u24_sdwa v47, v61, s29 dst_sel:DWORD dst_unused:UNUSED_PAD src0_sel:WORD_0 src1_sel:DWORD
	v_mul_u32_u24_sdwa v48, v61, s29 dst_sel:DWORD dst_unused:UNUSED_PAD src0_sel:WORD_1 src1_sel:DWORD
	v_pk_fma_f16 v46, v44, v47, v46
	v_pk_fma_f16 v41, v44, v48, v41
	;; [unrolled: 1-line block ×4, first 2 shown]
	v_mul_u32_u24_sdwa v44, v62, s29 dst_sel:DWORD dst_unused:UNUSED_PAD src0_sel:WORD_0 src1_sel:DWORD
	v_mul_u32_u24_sdwa v45, v62, s29 dst_sel:DWORD dst_unused:UNUSED_PAD src0_sel:WORD_1 src1_sel:DWORD
	s_waitcnt lgkmcnt(0)
	s_lshl_b32 s6, s6, 6
	v_pk_fma_f16 v46, v56, v44, v46
	v_pk_fma_f16 v41, v56, v45, v41
	v_pk_fma_f16 v42, v57, v44, v42
	v_pk_fma_f16 v45, v57, v45, v43
	v_mul_u32_u24_sdwa v44, v63, s29 dst_sel:DWORD dst_unused:UNUSED_PAD src0_sel:WORD_0 src1_sel:DWORD
	v_mul_u32_u24_sdwa v47, v63, s29 dst_sel:DWORD dst_unused:UNUSED_PAD src0_sel:WORD_1 src1_sel:DWORD
	s_add_i32 s2, s6, s2
	v_pk_fma_f16 v43, v58, v44, v46
	v_pk_fma_f16 v41, v58, v47, v41
	v_pk_fma_f16 v44, v59, v44, v42
	s_cmp_ge_i32 s2, s30
	v_pk_fma_f16 v42, v59, v47, v45
	s_cbranch_scc1 .LBB82_7
; %bb.38:                               ;   in Loop: Header=BB82_21 Depth=1
	v_mov_b32_e32 v46, v24
	v_mov_b32_e32 v45, v25
	s_branch .LBB82_21
	.section	.rodata,"a",@progbits
	.p2align	6, 0x0
	.amdhsa_kernel _ZL15flash_attn_tileILi128ELi128ELi8ELi2ELb1EEvPKcS1_S1_S1_S1_PKiPfP15HIP_vector_typeIfLj2EEffffjfiS5_IjLj3EEiiiiiiiiiiiliiliiiiil
		.amdhsa_group_segment_fixed_size 23552
		.amdhsa_private_segment_fixed_size 0
		.amdhsa_kernarg_size 464
		.amdhsa_user_sgpr_count 2
		.amdhsa_user_sgpr_dispatch_ptr 0
		.amdhsa_user_sgpr_queue_ptr 0
		.amdhsa_user_sgpr_kernarg_segment_ptr 1
		.amdhsa_user_sgpr_dispatch_id 0
		.amdhsa_user_sgpr_kernarg_preload_length 0
		.amdhsa_user_sgpr_kernarg_preload_offset 0
		.amdhsa_user_sgpr_private_segment_size 0
		.amdhsa_uses_dynamic_stack 0
		.amdhsa_enable_private_segment 0
		.amdhsa_system_sgpr_workgroup_id_x 1
		.amdhsa_system_sgpr_workgroup_id_y 1
		.amdhsa_system_sgpr_workgroup_id_z 1
		.amdhsa_system_sgpr_workgroup_info 0
		.amdhsa_system_vgpr_workitem_id 1
		.amdhsa_next_free_vgpr 84
		.amdhsa_next_free_sgpr 91
		.amdhsa_accum_offset 84
		.amdhsa_reserve_vcc 1
		.amdhsa_float_round_mode_32 0
		.amdhsa_float_round_mode_16_64 0
		.amdhsa_float_denorm_mode_32 3
		.amdhsa_float_denorm_mode_16_64 3
		.amdhsa_dx10_clamp 1
		.amdhsa_ieee_mode 1
		.amdhsa_fp16_overflow 0
		.amdhsa_tg_split 0
		.amdhsa_exception_fp_ieee_invalid_op 0
		.amdhsa_exception_fp_denorm_src 0
		.amdhsa_exception_fp_ieee_div_zero 0
		.amdhsa_exception_fp_ieee_overflow 0
		.amdhsa_exception_fp_ieee_underflow 0
		.amdhsa_exception_fp_ieee_inexact 0
		.amdhsa_exception_int_div_zero 0
	.end_amdhsa_kernel
	.section	.text._ZL15flash_attn_tileILi128ELi128ELi8ELi2ELb1EEvPKcS1_S1_S1_S1_PKiPfP15HIP_vector_typeIfLj2EEffffjfiS5_IjLj3EEiiiiiiiiiiiliiliiiiil,"axG",@progbits,_ZL15flash_attn_tileILi128ELi128ELi8ELi2ELb1EEvPKcS1_S1_S1_S1_PKiPfP15HIP_vector_typeIfLj2EEffffjfiS5_IjLj3EEiiiiiiiiiiiliiliiiiil,comdat
.Lfunc_end82:
	.size	_ZL15flash_attn_tileILi128ELi128ELi8ELi2ELb1EEvPKcS1_S1_S1_S1_PKiPfP15HIP_vector_typeIfLj2EEffffjfiS5_IjLj3EEiiiiiiiiiiiliiliiiiil, .Lfunc_end82-_ZL15flash_attn_tileILi128ELi128ELi8ELi2ELb1EEvPKcS1_S1_S1_S1_PKiPfP15HIP_vector_typeIfLj2EEffffjfiS5_IjLj3EEiiiiiiiiiiiliiliiiiil
                                        ; -- End function
	.set _ZL15flash_attn_tileILi128ELi128ELi8ELi2ELb1EEvPKcS1_S1_S1_S1_PKiPfP15HIP_vector_typeIfLj2EEffffjfiS5_IjLj3EEiiiiiiiiiiiliiliiiiil.num_vgpr, 84
	.set _ZL15flash_attn_tileILi128ELi128ELi8ELi2ELb1EEvPKcS1_S1_S1_S1_PKiPfP15HIP_vector_typeIfLj2EEffffjfiS5_IjLj3EEiiiiiiiiiiiliiliiiiil.num_agpr, 0
	.set _ZL15flash_attn_tileILi128ELi128ELi8ELi2ELb1EEvPKcS1_S1_S1_S1_PKiPfP15HIP_vector_typeIfLj2EEffffjfiS5_IjLj3EEiiiiiiiiiiiliiliiiiil.numbered_sgpr, 40
	.set _ZL15flash_attn_tileILi128ELi128ELi8ELi2ELb1EEvPKcS1_S1_S1_S1_PKiPfP15HIP_vector_typeIfLj2EEffffjfiS5_IjLj3EEiiiiiiiiiiiliiliiiiil.num_named_barrier, 0
	.set _ZL15flash_attn_tileILi128ELi128ELi8ELi2ELb1EEvPKcS1_S1_S1_S1_PKiPfP15HIP_vector_typeIfLj2EEffffjfiS5_IjLj3EEiiiiiiiiiiiliiliiiiil.private_seg_size, 0
	.set _ZL15flash_attn_tileILi128ELi128ELi8ELi2ELb1EEvPKcS1_S1_S1_S1_PKiPfP15HIP_vector_typeIfLj2EEffffjfiS5_IjLj3EEiiiiiiiiiiiliiliiiiil.uses_vcc, 1
	.set _ZL15flash_attn_tileILi128ELi128ELi8ELi2ELb1EEvPKcS1_S1_S1_S1_PKiPfP15HIP_vector_typeIfLj2EEffffjfiS5_IjLj3EEiiiiiiiiiiiliiliiiiil.uses_flat_scratch, 0
	.set _ZL15flash_attn_tileILi128ELi128ELi8ELi2ELb1EEvPKcS1_S1_S1_S1_PKiPfP15HIP_vector_typeIfLj2EEffffjfiS5_IjLj3EEiiiiiiiiiiiliiliiiiil.has_dyn_sized_stack, 0
	.set _ZL15flash_attn_tileILi128ELi128ELi8ELi2ELb1EEvPKcS1_S1_S1_S1_PKiPfP15HIP_vector_typeIfLj2EEffffjfiS5_IjLj3EEiiiiiiiiiiiliiliiiiil.has_recursion, 0
	.set _ZL15flash_attn_tileILi128ELi128ELi8ELi2ELb1EEvPKcS1_S1_S1_S1_PKiPfP15HIP_vector_typeIfLj2EEffffjfiS5_IjLj3EEiiiiiiiiiiiliiliiiiil.has_indirect_call, 0
	.section	.AMDGPU.csdata,"",@progbits
; Kernel info:
; codeLenInByte = 14088
; TotalNumSgprs: 46
; NumVgprs: 84
; NumAgprs: 0
; TotalNumVgprs: 84
; ScratchSize: 0
; MemoryBound: 0
; FloatMode: 240
; IeeeMode: 1
; LDSByteSize: 23552 bytes/workgroup (compile time only)
; SGPRBlocks: 12
; VGPRBlocks: 10
; NumSGPRsForWavesPerEU: 97
; NumVGPRsForWavesPerEU: 84
; AccumOffset: 84
; Occupancy: 5
; WaveLimiterHint : 1
; COMPUTE_PGM_RSRC2:SCRATCH_EN: 0
; COMPUTE_PGM_RSRC2:USER_SGPR: 2
; COMPUTE_PGM_RSRC2:TRAP_HANDLER: 0
; COMPUTE_PGM_RSRC2:TGID_X_EN: 1
; COMPUTE_PGM_RSRC2:TGID_Y_EN: 1
; COMPUTE_PGM_RSRC2:TGID_Z_EN: 1
; COMPUTE_PGM_RSRC2:TIDIG_COMP_CNT: 1
; COMPUTE_PGM_RSRC3_GFX90A:ACCUM_OFFSET: 20
; COMPUTE_PGM_RSRC3_GFX90A:TG_SPLIT: 0
	.section	.text._ZL15flash_attn_tileILi128ELi128ELi4ELi2ELb1EEvPKcS1_S1_S1_S1_PKiPfP15HIP_vector_typeIfLj2EEffffjfiS5_IjLj3EEiiiiiiiiiiiliiliiiiil,"axG",@progbits,_ZL15flash_attn_tileILi128ELi128ELi4ELi2ELb1EEvPKcS1_S1_S1_S1_PKiPfP15HIP_vector_typeIfLj2EEffffjfiS5_IjLj3EEiiiiiiiiiiiliiliiiiil,comdat
	.globl	_ZL15flash_attn_tileILi128ELi128ELi4ELi2ELb1EEvPKcS1_S1_S1_S1_PKiPfP15HIP_vector_typeIfLj2EEffffjfiS5_IjLj3EEiiiiiiiiiiiliiliiiiil ; -- Begin function _ZL15flash_attn_tileILi128ELi128ELi4ELi2ELb1EEvPKcS1_S1_S1_S1_PKiPfP15HIP_vector_typeIfLj2EEffffjfiS5_IjLj3EEiiiiiiiiiiiliiliiiiil
	.p2align	8
	.type	_ZL15flash_attn_tileILi128ELi128ELi4ELi2ELb1EEvPKcS1_S1_S1_S1_PKiPfP15HIP_vector_typeIfLj2EEffffjfiS5_IjLj3EEiiiiiiiiiiiliiliiiiil,@function
_ZL15flash_attn_tileILi128ELi128ELi4ELi2ELb1EEvPKcS1_S1_S1_S1_PKiPfP15HIP_vector_typeIfLj2EEffffjfiS5_IjLj3EEiiiiiiiiiiiliiliiiiil: ; @_ZL15flash_attn_tileILi128ELi128ELi4ELi2ELb1EEvPKcS1_S1_S1_S1_PKiPfP15HIP_vector_typeIfLj2EEffffjfiS5_IjLj3EEiiiiiiiiiiiliiliiiiil
; %bb.0:
	s_load_dwordx4 s[20:23], s[0:1], 0x5c
	s_load_dwordx2 s[24:25], s[0:1], 0x80
	s_load_dwordx2 s[28:29], s[0:1], 0xb8
	s_mov_b64 s[26:27], 0
	s_waitcnt lgkmcnt(0)
	s_lshr_b32 s5, s23, 31
	s_add_i32 s5, s23, s5
	s_ashr_i32 s5, s5, 1
	v_cvt_f32_u32_e32 v1, s5
	s_sub_i32 s6, 0, s5
	v_rcp_iflag_f32_e32 v1, v1
	s_nop 0
	v_mul_f32_e32 v1, 0x4f7ffffe, v1
	v_cvt_u32_f32_e32 v1, v1
	s_nop 0
	v_readfirstlane_b32 s7, v1
	s_mul_i32 s6, s6, s7
	s_mul_hi_u32 s6, s7, s6
	s_add_i32 s7, s7, s6
	s_mul_hi_u32 s6, s4, s7
	s_mul_i32 s7, s6, s5
	s_sub_i32 s7, s4, s7
	s_add_i32 s8, s6, 1
	s_sub_i32 s9, s7, s5
	s_cmp_ge_u32 s7, s5
	s_cselect_b32 s6, s8, s6
	s_cselect_b32 s7, s9, s7
	s_add_i32 s8, s6, 1
	s_cmp_ge_u32 s7, s5
	s_cselect_b32 s30, s8, s6
	s_abs_i32 s5, s25
	v_cvt_f32_u32_e32 v1, s5
	s_lshl_b32 s4, s4, 1
	s_mul_i32 s8, s30, s23
	s_xor_b32 s6, s23, s25
	v_rcp_iflag_f32_e32 v1, v1
	s_sub_i32 s9, 0, s5
	s_sub_i32 s25, s4, s8
	s_abs_i32 s7, s23
	v_mul_f32_e32 v1, 0x4f7ffffe, v1
	v_cvt_u32_f32_e32 v1, v1
	s_ashr_i32 s6, s6, 31
	v_readfirstlane_b32 s4, v1
	s_mul_i32 s9, s9, s4
	s_mul_hi_u32 s8, s4, s9
	s_add_i32 s4, s4, s8
	s_mul_hi_u32 s4, s7, s4
	s_mul_i32 s8, s4, s5
	s_sub_i32 s7, s7, s8
	s_add_i32 s9, s4, 1
	s_sub_i32 s8, s7, s5
	s_cmp_ge_u32 s7, s5
	s_cselect_b32 s4, s9, s4
	s_cselect_b32 s7, s8, s7
	s_add_i32 s8, s4, 1
	s_cmp_ge_u32 s7, s5
	s_cselect_b32 s4, s8, s4
	s_xor_b32 s4, s4, s6
	s_sub_i32 s33, s4, s6
	s_abs_i32 s31, s33
	v_cvt_f32_u32_e32 v1, s31
	s_load_dwordx16 s[4:19], s[0:1], 0x0
	v_rcp_iflag_f32_e32 v1, v1
	s_waitcnt lgkmcnt(0)
	s_cmp_eq_u64 s[10:11], 0
	v_mul_f32_e32 v1, 0x4f7ffffe, v1
	v_cvt_u32_f32_e32 v1, v1
	s_nop 0
	v_readfirstlane_b32 s34, v1
	s_cbranch_scc1 .LBB83_2
; %bb.1:
	s_abs_i32 s28, s28
	v_cvt_f32_u32_e32 v1, s28
	s_sub_i32 s37, 0, s28
	s_abs_i32 s36, s30
	s_ashr_i32 s35, s30, 31
	v_rcp_iflag_f32_e32 v1, v1
	s_load_dwordx2 s[26:27], s[0:1], 0xc8
	v_mul_f32_e32 v1, 0x4f7ffffe, v1
	v_cvt_u32_f32_e32 v1, v1
	s_nop 0
	v_readfirstlane_b32 s38, v1
	s_mul_i32 s37, s37, s38
	s_mul_hi_u32 s37, s38, s37
	s_add_i32 s38, s38, s37
	s_mul_hi_u32 s37, s36, s38
	s_mul_i32 s37, s37, s28
	s_sub_i32 s36, s36, s37
	s_sub_i32 s37, s36, s28
	s_cmp_ge_u32 s36, s28
	s_cselect_b32 s36, s37, s36
	s_sub_i32 s37, s36, s28
	s_cmp_ge_u32 s36, s28
	s_cselect_b32 s28, s37, s36
	s_xor_b32 s28, s28, s35
	s_sub_i32 s28, s28, s35
	s_ashr_i32 s35, s28, 31
	s_waitcnt lgkmcnt(0)
	s_mul_hi_u32 s36, s26, s28
	s_mul_i32 s35, s26, s35
	s_mul_i32 s27, s27, s28
	s_add_i32 s35, s36, s35
	s_add_i32 s35, s35, s27
	s_mul_i32 s26, s26, s28
	s_add_u32 s26, s10, s26
	s_addc_u32 s27, s11, s35
.LBB83_2:
	s_load_dwordx4 s[36:39], s[0:1], 0x70
	v_lshrrev_b32_e32 v1, 10, v0
	v_bfe_u32 v1, v1, 1, 9
	v_lshl_add_u32 v24, s2, 2, v1
	v_mul_hi_u32 v1, s20, v24
	s_waitcnt lgkmcnt(0)
	s_mul_i32 s10, s30, s38
	s_ashr_i32 s28, s10, 31
	s_mul_i32 s11, s25, s37
	s_add_u32 s4, s4, s10
	s_addc_u32 s5, s5, s28
	s_ashr_i32 s10, s11, 31
	s_add_u32 s4, s4, s11
	v_add_u32_e32 v1, v24, v1
	s_addc_u32 s5, s5, s10
	s_ashr_i32 s11, s37, 31
	s_mov_b32 s10, s37
	v_lshrrev_b32_e32 v1, s21, v1
	v_bfe_u32 v3, v0, 10, 1
	s_lshr_b64 s[38:39], s[10:11], 2
	s_lshr_b32 s10, s11, 2
	v_mul_lo_u32 v1, v1, s22
	s_ashr_i32 s37, s36, 31
	v_mul_lo_u32 v5, s10, v3
	v_sub_u32_e32 v12, v24, v1
	s_lshr_b64 s[10:11], s[36:37], 2
	v_mad_u64_u32 v[6:7], s[10:11], s10, v12, 0
	v_mov_b32_e32 v2, v7
	s_lshr_b32 s10, s37, 2
	v_mul_lo_u32 v4, s38, v3
	v_mad_u64_u32 v[8:9], s[10:11], s10, v12, v[2:3]
	v_mov_b32_e32 v7, v8
	v_and_b32_e32 v2, 0x3ff, v0
	v_lshl_add_u64 v[4:5], v[4:5], 2, s[4:5]
	v_lshl_add_u64 v[4:5], v[6:7], 2, v[4:5]
	v_lshlrev_b32_e32 v6, 4, v2
	v_mov_b32_e32 v7, 0
	v_lshl_add_u64 v[4:5], v[4:5], 0, v[6:7]
	global_load_dwordx4 v[4:7], v[4:5], off
	s_load_dword s4, s[0:1], 0x40
	v_bfe_u32 v0, v0, 10, 10
	v_mov_b32_e32 v1, 0x4400
	v_lshlrev_b32_e32 v26, 3, v2
	v_lshl_add_u32 v27, v0, 8, v1
	v_add_u32_e32 v1, v27, v26
	s_cmp_eq_u64 s[14:15], 0
	s_waitcnt vmcnt(0) lgkmcnt(0)
	v_fma_mixlo_f16 v8, s4, v4, 0
	v_mov_b32_e32 v4, v7
	v_pk_mul_f32 v[4:5], s[4:5], v[4:5] op_sel_hi:[0,1]
	v_cvt_pk_f16_f32 v4, v4, v5
	v_fma_mixlo_f16 v6, s4, v6, 0
	v_and_b32_e32 v7, 0xffff, v8
	v_lshlrev_b32_e32 v5, 16, v4
	v_and_b32_e32 v4, 0xffff0000, v4
	v_and_b32_e32 v6, 0xffff, v6
	v_or_b32_e32 v4, v4, v7
	v_or3_b32 v5, v5, v6, 0
	v_or3_b32 v4, 0, 0, v4
	ds_write_b64 v1, v[4:5]
	s_waitcnt lgkmcnt(0)
	s_barrier
	s_cbranch_scc1 .LBB83_4
; %bb.3:
	s_load_dword s4, s[0:1], 0xd0
	s_mov_b32 s5, 0
	s_waitcnt lgkmcnt(0)
	s_mul_i32 s4, s4, s30
	s_add_i32 s4, s4, s2
	s_lshl_b64 s[4:5], s[4:5], 2
	s_add_u32 s4, s14, s4
	s_addc_u32 s5, s15, s5
	s_load_dword s24, s[4:5], 0x0
.LBB83_4:
	s_lshl_b32 s2, s3, 6
	s_waitcnt lgkmcnt(0)
	s_cmp_lt_i32 s2, s24
	v_mbcnt_lo_u32_b32 v22, -1, 0
	s_cbranch_scc1 .LBB83_10
; %bb.5:
	v_mbcnt_hi_u32_b32 v13, -1, v22
	v_and_b32_e32 v1, 0x60, v13
	v_add_u32_e32 v45, 32, v1
	v_xor_b32_e32 v44, 16, v13
	v_xor_b32_e32 v43, 8, v13
	;; [unrolled: 1-line block ×5, first 2 shown]
	v_lshlrev_b32_e32 v25, 2, v2
	s_cbranch_execz .LBB83_11
; %bb.6:
	v_mov_b32_e32 v39, 0
	v_mov_b32_e32 v48, 0
	;; [unrolled: 1-line block ×4, first 2 shown]
.LBB83_7:
	v_cmp_lt_i32_e32 vcc, v44, v45
	s_cmp_lg_u64 s[12:13], 0
	s_cselect_b64 s[4:5], -1, 0
	v_cndmask_b32_e32 v0, v13, v44, vcc
	v_lshlrev_b32_e32 v0, 2, v0
	ds_bpermute_b32 v0, v0, v48
	v_cmp_lt_i32_e32 vcc, v43, v45
	s_cmp_eq_u32 s3, 0
	s_cselect_b64 s[6:7], -1, 0
	v_cndmask_b32_e32 v1, v13, v43, vcc
	v_lshlrev_b32_e32 v1, 2, v1
	s_waitcnt lgkmcnt(0)
	v_add_f32_e32 v0, v48, v0
	ds_bpermute_b32 v1, v1, v0
	v_cmp_lt_i32_e32 vcc, v23, v45
	s_and_b64 s[4:5], s[6:7], s[4:5]
	s_waitcnt lgkmcnt(0)
	v_add_f32_e32 v0, v0, v1
	v_cndmask_b32_e32 v4, v13, v23, vcc
	v_lshlrev_b32_e32 v4, 2, v4
	ds_bpermute_b32 v1, v4, v0
	v_cmp_lt_i32_e32 vcc, v46, v45
	s_waitcnt lgkmcnt(0)
	v_add_f32_e32 v0, v0, v1
	v_cndmask_b32_e32 v4, v13, v46, vcc
	v_lshlrev_b32_e32 v4, 2, v4
	ds_bpermute_b32 v1, v4, v0
	v_cmp_lt_i32_e32 vcc, v47, v45
	s_waitcnt lgkmcnt(0)
	v_add_f32_e32 v0, v0, v1
	v_cndmask_b32_e32 v4, v13, v47, vcc
	v_lshlrev_b32_e32 v4, 2, v4
	ds_bpermute_b32 v1, v4, v0
	s_and_b64 vcc, exec, s[4:5]
	s_waitcnt lgkmcnt(0)
	v_add_f32_e32 v23, v0, v1
	s_cbranch_vccz .LBB83_22
; %bb.8:
	v_add_u32_e32 v0, s25, v3
	v_ashrrev_i32_e32 v1, 31, v0
	v_lshl_add_u64 v[0:1], v[0:1], 2, s[12:13]
	global_load_dword v1, v[0:1], off
	v_max_f32_e32 v0, v22, v22
	s_mov_b32 s2, 0x3fb8aa3b
	s_mov_b32 s4, 0xc2ce8ed0
	s_waitcnt vmcnt(0)
	v_max_f32_e32 v4, v1, v1
	v_max_f32_e32 v0, v0, v4
	v_sub_f32_e32 v4, v22, v0
	v_sub_f32_e32 v1, v1, v0
	v_mul_f32_e32 v5, 0x3fb8aa3b, v4
	v_mul_f32_e32 v6, 0x3fb8aa3b, v1
	v_fma_f32 v7, v4, s2, -v5
	v_rndne_f32_e32 v8, v5
	v_fma_f32 v9, v1, s2, -v6
	v_rndne_f32_e32 v10, v6
	v_fmac_f32_e32 v7, 0x32a5705f, v4
	v_sub_f32_e32 v5, v5, v8
	v_fmac_f32_e32 v9, 0x32a5705f, v1
	v_sub_f32_e32 v6, v6, v10
	v_add_f32_e32 v5, v5, v7
	v_cvt_i32_f32_e32 v8, v8
	v_add_f32_e32 v6, v6, v9
	v_exp_f32_e32 v5, v5
	v_cvt_i32_f32_e32 v10, v10
	v_exp_f32_e32 v6, v6
	v_cmp_ngt_f32_e32 vcc, s4, v4
	v_ldexp_f32 v5, v5, v8
	s_mov_b32 s2, 0x42b17218
	v_ldexp_f32 v6, v6, v10
	v_cndmask_b32_e32 v5, 0, v5, vcc
	v_cmp_ngt_f32_e32 vcc, s4, v1
	v_mov_b32_e32 v7, 0x7f800000
	s_nop 0
	v_cndmask_b32_e32 v6, 0, v6, vcc
	v_cmp_nlt_f32_e32 vcc, s2, v4
	s_nop 1
	v_cndmask_b32_e32 v4, v7, v5, vcc
	v_cvt_f16_f32_e32 v5, v4
	v_cmp_nlt_f32_e32 vcc, s2, v1
	s_nop 1
	v_cndmask_b32_e32 v1, v7, v6, vcc
	v_fmac_f32_e32 v1, v23, v4
	v_mul_u32_u24_e32 v4, 0x10001, v5
	v_pk_mul_f16 v40, v40, v4
	v_pk_mul_f16 v39, v39, v4
	v_mov_b64_e32 v[22:23], v[0:1]
	v_cmp_gt_i32_e32 vcc, s22, v24
	s_and_saveexec_b64 s[4:5], vcc
	s_cbranch_execnz .LBB83_23
.LBB83_9:
	s_endpgm
.LBB83_10:
                                        ; implicit-def: $vgpr13
                                        ; implicit-def: $vgpr45
                                        ; implicit-def: $vgpr44
                                        ; implicit-def: $vgpr43
                                        ; implicit-def: $vgpr23
                                        ; implicit-def: $vgpr46
                                        ; implicit-def: $vgpr47
	v_lshlrev_b32_e32 v25, 2, v2
.LBB83_11:
	s_sub_i32 s4, 0, s31
	s_mul_i32 s4, s4, s34
	s_mul_hi_u32 s4, s34, s4
	s_add_i32 s34, s34, s4
	s_load_dwordx4 s[36:39], s[0:1], 0x98
	s_load_dword s10, s[0:1], 0x54
	s_load_dwordx2 s[4:5], s[0:1], 0x8c
	s_ashr_i32 s28, s33, 31
	s_abs_i32 s15, s25
	s_waitcnt lgkmcnt(0)
	s_ashr_i32 s11, s38, 2
	s_mul_hi_u32 s33, s36, s30
	s_ashr_i32 s14, s4, 2
	s_ashr_i32 s4, s30, 31
	s_mul_i32 s38, s36, s4
	s_add_i32 s33, s33, s38
	s_mul_i32 s37, s37, s30
	s_ashr_i32 s21, s25, 31
	s_ashr_i32 s29, s29, 1
	s_add_i32 s33, s33, s37
	s_mul_i32 s36, s36, s30
	s_mul_hi_u32 s20, s15, s34
	s_add_u32 s6, s6, s36
	s_addc_u32 s7, s7, s33
	s_xor_b32 s21, s21, s28
	s_mul_i32 s28, s20, s31
	s_sub_i32 s15, s15, s28
	s_add_i32 s28, s20, 1
	s_sub_i32 s33, s15, s31
	s_cmp_ge_u32 s15, s31
	s_cselect_b32 s20, s28, s20
	s_cselect_b32 s15, s33, s15
	s_add_i32 s28, s20, 1
	s_cmp_ge_u32 s15, s31
	s_load_dwordx2 s[34:35], s[0:1], 0xa8
	s_cselect_b32 s15, s28, s20
	s_xor_b32 s15, s15, s21
	s_sub_i32 s21, s15, s21
	s_mul_i32 s5, s21, s5
	s_ashr_i32 s20, s5, 31
	s_add_u32 s15, s6, s5
	s_waitcnt lgkmcnt(0)
	s_mul_hi_u32 s5, s34, s30
	s_mul_i32 s4, s34, s4
	s_addc_u32 s20, s7, s20
	s_add_i32 s4, s5, s4
	s_mul_i32 s5, s35, s30
	s_add_i32 s4, s4, s5
	s_mul_i32 s5, s34, s30
	s_add_u32 s5, s8, s5
	s_mul_i32 s21, s21, s39
	s_addc_u32 s4, s9, s4
	s_ashr_i32 s6, s21, 31
	s_add_u32 s8, s5, s21
	v_lshrrev_b32_e32 v1, 4, v2
	v_and_b32_e32 v38, 60, v25
	s_addc_u32 s9, s4, s6
	v_lshl_add_u32 v14, v0, 1, v1
	v_lshlrev_b32_e32 v15, 2, v38
	s_movk_i32 s4, 0x110
	v_mad_u32_u24 v28, v14, s4, v15
	v_mul_lo_u32 v4, s14, v14
	s_lshl_b32 s4, s14, 4
	v_add_u32_e32 v6, s4, v4
	v_add_u32_e32 v8, s4, v6
	;; [unrolled: 1-line block ×3, first 2 shown]
	v_mad_u64_u32 v[12:13], s[4:5], v12, s29, v[2:3]
	v_lshl_or_b32 v33, v14, 8, v15
	v_mul_lo_u32 v14, s11, v14
	s_lshl_b32 s4, s11, 4
	v_add_u32_e32 v16, s4, v14
	v_mov_b32_e32 v13, 0x4c00
	v_add_u32_e32 v18, s4, v16
	v_mov_b32_e32 v1, 0
	v_lshl_add_u32 v31, v0, 7, v13
	v_add_u32_e32 v20, s4, v18
	s_add_u32 s4, s0, 0xd0
                                        ; implicit-def: $vgpr13
                                        ; implicit-def: $vgpr13
                                        ; implicit-def: $vgpr13
	v_ashrrev_i32_e32 v5, 31, v4
	v_ashrrev_i32_e32 v7, 31, v6
	;; [unrolled: 1-line block ×3, first 2 shown]
	v_add_u32_e32 v29, 0x3300, v28
	v_ashrrev_i32_e32 v11, 31, v10
	v_mul_u32_u24_e32 v30, 0x110, v2
	v_lshl_add_u32 v32, v2, 1, v31
	v_ashrrev_i32_e32 v15, 31, v14
	v_add_u32_e32 v34, 0x1000, v33
	v_ashrrev_i32_e32 v17, 31, v16
	v_add_u32_e32 v35, 0x2000, v33
	;; [unrolled: 2-line block ×3, first 2 shown]
	v_ashrrev_i32_e32 v21, 31, v20
	s_addc_u32 s5, s1, 0
	v_mov_b32_e32 v42, 0xfeffffff
	v_lshlrev_b32_e32 v0, 2, v38
	s_mov_b32 s21, 0x3f200000
	s_mov_b32 s28, 0x3fb8aa3b
	;; [unrolled: 1-line block ×4, first 2 shown]
	v_mov_b32_e32 v37, 0x3ca908c9
	s_brev_b32 s33, -2
	s_mov_b32 s34, 0x10001
	v_mov_b32_e32 v38, 0x7f800000
	v_mbcnt_hi_u32_b32 v13, -1, v22
	v_mov_b32_e32 v40, v1
	v_mov_b32_e32 v39, v1
	;; [unrolled: 1-line block ×3, first 2 shown]
.LBB83_12:                              ; =>This Inner Loop Header: Depth=1
	s_mul_hi_i32 s7, s2, s14
	s_mul_i32 s6, s2, s14
	s_lshl_b64 s[6:7], s[6:7], 2
	s_add_u32 s6, s15, s6
	s_addc_u32 s7, s20, s7
	v_lshl_add_u64 v[22:23], v[4:5], 2, s[6:7]
	v_lshl_add_u64 v[22:23], v[22:23], 0, v[0:1]
	;; [unrolled: 1-line block ×4, first 2 shown]
	global_load_dwordx4 v[44:47], v[22:23], off
	global_load_dwordx4 v[48:51], v[52:53], off
	v_lshl_add_u64 v[22:23], v[8:9], 2, s[6:7]
	v_lshl_add_u64 v[22:23], v[22:23], 0, v[0:1]
	;; [unrolled: 1-line block ×4, first 2 shown]
	global_load_dwordx4 v[52:55], v[22:23], off
	global_load_dwordx4 v[56:59], v[60:61], off
	v_add_u32_e32 v22, 0x1100, v28
	v_add_u32_e32 v23, 0x2200, v28
	v_mov_b32_e32 v43, 0
	s_waitcnt vmcnt(3)
	ds_write_b128 v28, v[44:47]
	s_waitcnt vmcnt(2)
	ds_write_b128 v22, v[48:51]
	s_waitcnt vmcnt(1)
	ds_write_b128 v23, v[52:55]
	s_waitcnt vmcnt(0)
	ds_write_b128 v29, v[56:59]
	s_waitcnt lgkmcnt(0)
	s_barrier
	ds_read_b128 v[46:49], v30
	ds_read_b128 v[50:53], v27
	ds_read_b128 v[54:57], v30 offset:8704
	s_waitcnt lgkmcnt(1)
	;;#ASMSTART
	v_dot2_f32_f16 v43, v46, v50, v43
	;;#ASMEND
	s_nop 0
	;;#ASMSTART
	v_dot2_f32_f16 v43, v47, v51, v43
	;;#ASMEND
	v_mov_b32_e32 v45, 0
	;;#ASMSTART
	v_dot2_f32_f16 v43, v48, v52, v43
	;;#ASMEND
                                        ; implicit-def: $vgpr44
	s_nop 0
	;;#ASMSTART
	v_dot2_f32_f16 v43, v49, v53, v43
	;;#ASMEND
	s_waitcnt lgkmcnt(0)
	;;#ASMSTART
	v_dot2_f32_f16 v45, v54, v50, v45
	;;#ASMEND
	s_nop 0
	;;#ASMSTART
	v_dot2_f32_f16 v45, v55, v51, v45
	;;#ASMEND
	s_nop 0
	;;#ASMSTART
	v_dot2_f32_f16 v45, v56, v52, v45
	;;#ASMEND
	s_nop 0
	;;#ASMSTART
	v_dot2_f32_f16 v45, v57, v53, v45
	;;#ASMEND
	ds_read_b128 v[46:49], v30 offset:16
	ds_read_b128 v[50:53], v27 offset:16
	ds_read_b128 v[54:57], v30 offset:8720
	s_waitcnt lgkmcnt(1)
	;;#ASMSTART
	v_dot2_f32_f16 v43, v46, v50, v43
	;;#ASMEND
	s_nop 0
	;;#ASMSTART
	v_dot2_f32_f16 v43, v47, v51, v43
	;;#ASMEND
	s_nop 0
	;;#ASMSTART
	v_dot2_f32_f16 v43, v48, v52, v43
	;;#ASMEND
	s_nop 0
	;;#ASMSTART
	v_dot2_f32_f16 v43, v49, v53, v43
	;;#ASMEND
	s_waitcnt lgkmcnt(0)
	;;#ASMSTART
	v_dot2_f32_f16 v45, v54, v50, v45
	;;#ASMEND
	s_nop 0
	;;#ASMSTART
	v_dot2_f32_f16 v45, v55, v51, v45
	;;#ASMEND
	s_nop 0
	;;#ASMSTART
	v_dot2_f32_f16 v45, v56, v52, v45
	;;#ASMEND
	s_nop 0
	;;#ASMSTART
	v_dot2_f32_f16 v45, v57, v53, v45
	;;#ASMEND
	ds_read_b128 v[46:49], v30 offset:32
	ds_read_b128 v[50:53], v27 offset:32
	ds_read_b128 v[54:57], v30 offset:8736
	s_waitcnt lgkmcnt(1)
	;;#ASMSTART
	v_dot2_f32_f16 v43, v46, v50, v43
	;;#ASMEND
	s_nop 0
	;;#ASMSTART
	v_dot2_f32_f16 v43, v47, v51, v43
	;;#ASMEND
	s_nop 0
	;;#ASMSTART
	v_dot2_f32_f16 v43, v48, v52, v43
	;;#ASMEND
	;; [unrolled: 35-line block ×15, first 2 shown]
	s_nop 0
	;;#ASMSTART
	v_dot2_f32_f16 v43, v49, v53, v43
	;;#ASMEND
	s_waitcnt lgkmcnt(0)
	;;#ASMSTART
	v_dot2_f32_f16 v45, v54, v50, v45
	;;#ASMEND
	s_nop 0
	;;#ASMSTART
	v_dot2_f32_f16 v45, v55, v51, v45
	;;#ASMEND
	v_cmp_nlt_f32_e64 s[6:7], |v43|, s21
	;;#ASMSTART
	v_dot2_f32_f16 v45, v56, v52, v45
	;;#ASMEND
	s_nop 0
	;;#ASMSTART
	v_dot2_f32_f16 v45, v57, v53, v45
	;;#ASMEND
	s_and_saveexec_b64 s[36:37], s[6:7]
	s_xor_b64 s[6:7], exec, s[36:37]
	s_cbranch_execz .LBB83_14
; %bb.13:                               ;   in Loop: Header=BB83_12 Depth=1
	v_add_f32_e64 v22, |v43|, |v43|
	v_mul_f32_e32 v23, 0x3fb8aa3b, v22
	v_rndne_f32_e32 v44, v23
	v_sub_f32_e32 v46, v23, v44
	v_fma_f32 v23, v22, s28, -v23
	v_fmac_f32_e32 v23, 0x32a5705f, v22
	v_add_f32_e32 v23, v46, v23
	v_cvt_i32_f32_e32 v44, v44
	v_exp_f32_e32 v23, v23
	v_cmp_ngt_f32_e32 vcc, s29, v22
	v_ldexp_f32 v23, v23, v44
	s_nop 0
	v_cndmask_b32_e32 v23, 0, v23, vcc
	v_cmp_nlt_f32_e32 vcc, s31, v22
	s_nop 1
	v_cndmask_b32_e32 v22, v38, v23, vcc
	v_add_f32_e32 v22, 1.0, v22
	v_rcp_f32_e32 v22, v22
	s_nop 0
	v_fma_f32 v44, v22, -2.0, 1.0
.LBB83_14:                              ;   in Loop: Header=BB83_12 Depth=1
	s_andn2_saveexec_b64 s[6:7], s[6:7]
; %bb.15:                               ;   in Loop: Header=BB83_12 Depth=1
	v_mul_f32_e32 v22, v43, v43
	v_fmamk_f32 v23, v22, 0xbbbac73d, v37
	v_fmaak_f32 v23, v22, v23, 0xbd5c1c4e
	v_fmaak_f32 v23, v22, v23, 0x3e088382
	v_fmaak_f32 v23, v22, v23, 0xbeaaaa99
	v_mul_f32_e64 v23, |v43|, v23
	v_fma_f32 v44, v22, v23, |v43|
; %bb.16:                               ;   in Loop: Header=BB83_12 Depth=1
	s_or_b64 exec, exec, s[6:7]
	v_add_u32_e32 v22, s2, v12
	v_ashrrev_i32_e32 v23, 31, v22
	v_lshl_add_u64 v[22:23], v[22:23], 1, s[26:27]
	global_load_ushort v46, v[22:23], off
	v_cmp_nlt_f32_e64 s[6:7], |v45|, s21
                                        ; implicit-def: $vgpr47
	s_and_saveexec_b64 s[36:37], s[6:7]
	s_xor_b64 s[6:7], exec, s[36:37]
	s_cbranch_execz .LBB83_18
; %bb.17:                               ;   in Loop: Header=BB83_12 Depth=1
	v_add_f32_e64 v47, |v45|, |v45|
	v_mul_f32_e32 v48, 0x3fb8aa3b, v47
	v_rndne_f32_e32 v49, v48
	v_sub_f32_e32 v50, v48, v49
	v_fma_f32 v48, v47, s28, -v48
	v_fmac_f32_e32 v48, 0x32a5705f, v47
	v_add_f32_e32 v48, v50, v48
	v_cvt_i32_f32_e32 v49, v49
	v_exp_f32_e32 v48, v48
	v_cmp_ngt_f32_e32 vcc, s29, v47
	v_ldexp_f32 v48, v48, v49
	s_nop 0
	v_cndmask_b32_e32 v48, 0, v48, vcc
	v_cmp_nlt_f32_e32 vcc, s31, v47
	s_nop 1
	v_cndmask_b32_e32 v47, v38, v48, vcc
	v_add_f32_e32 v47, 1.0, v47
	v_rcp_f32_e32 v47, v47
	s_nop 0
	v_fma_f32 v47, v47, -2.0, 1.0
.LBB83_18:                              ;   in Loop: Header=BB83_12 Depth=1
	s_andn2_saveexec_b64 s[6:7], s[6:7]
; %bb.19:                               ;   in Loop: Header=BB83_12 Depth=1
	v_mul_f32_e32 v47, v45, v45
	v_fmamk_f32 v48, v47, 0xbbbac73d, v37
	v_fmaak_f32 v48, v47, v48, 0xbd5c1c4e
	v_fmaak_f32 v48, v47, v48, 0x3e088382
	;; [unrolled: 1-line block ×3, first 2 shown]
	v_mul_f32_e64 v48, |v45|, v48
	v_fma_f32 v47, v47, v48, |v45|
; %bb.20:                               ;   in Loop: Header=BB83_12 Depth=1
	s_or_b64 exec, exec, s[6:7]
	global_load_ushort v22, v[22:23], off offset:64
	v_and_b32_e32 v49, 0x60, v13
	v_bfi_b32 v48, s33, v44, v43
	v_xor_b32_e32 v43, 8, v13
	v_bfi_b32 v54, s33, v47, v45
	v_add_u32_e32 v45, 32, v49
	v_xor_b32_e32 v44, 16, v13
	v_cmp_lt_i32_e32 vcc, v43, v45
	s_waitcnt vmcnt(1)
	v_fma_mix_f32 v70, s10, v48, v46 op_sel_hi:[0,0,1]
	v_add_f32_e32 v55, 0x40051340, v70
	v_cndmask_b32_e32 v46, v13, v43, vcc
	v_cmp_lt_i32_e32 vcc, v44, v45
	s_mul_hi_i32 s7, s2, s11
	s_mul_i32 s6, s2, s11
	v_cndmask_b32_e32 v47, v13, v44, vcc
	v_lshlrev_b32_e32 v56, 2, v47
	s_lshl_b64 s[6:7], s[6:7], 2
	s_add_u32 s6, s8, s6
	s_addc_u32 s7, s9, s7
	v_lshlrev_b32_e32 v58, 2, v46
	v_lshl_add_u64 v[46:47], v[14:15], 2, s[6:7]
	v_lshl_add_u64 v[48:49], v[16:17], 2, s[6:7]
	;; [unrolled: 1-line block ×5, first 2 shown]
	s_barrier
	v_lshl_add_u64 v[48:49], v[48:49], 0, v[0:1]
	v_lshl_add_u64 v[66:67], v[50:51], 0, v[0:1]
	;; [unrolled: 1-line block ×3, first 2 shown]
	v_xor_b32_e32 v23, 4, v13
	v_cmp_lt_i32_e32 vcc, v23, v45
	s_waitcnt vmcnt(0)
	v_fma_mix_f32 v71, s10, v54, v22 op_sel_hi:[0,0,1]
	v_add_f32_e32 v22, 0x40051340, v71
	v_max3_f32 v22, v42, v55, v22
	ds_bpermute_b32 v59, v56, v22
	global_load_dwordx4 v[50:53], v[46:47], off
	global_load_dwordx4 v[54:57], v[48:49], off
	v_cndmask_b32_e32 v47, v13, v23, vcc
	v_lshlrev_b32_e32 v47, 2, v47
	s_waitcnt lgkmcnt(0)
	v_max_f32_e32 v46, v59, v59
	v_max_f32_e32 v22, v22, v46
	ds_bpermute_b32 v46, v58, v22
	global_load_dwordx4 v[58:61], v[66:67], off
	global_load_dwordx4 v[62:65], v[68:69], off
	s_waitcnt lgkmcnt(0)
	v_max_f32_e32 v46, v46, v46
	v_max_f32_e32 v22, v22, v46
	ds_bpermute_b32 v47, v47, v22
	v_xor_b32_e32 v46, 2, v13
	v_cmp_lt_i32_e32 vcc, v46, v45
	s_waitcnt lgkmcnt(0)
	v_max_f32_e32 v47, v47, v47
	v_cndmask_b32_e32 v48, v13, v46, vcc
	v_lshlrev_b32_e32 v48, 2, v48
	v_max_f32_e32 v22, v22, v47
	ds_bpermute_b32 v48, v48, v22
	v_xor_b32_e32 v47, 1, v13
	v_cmp_lt_i32_e32 vcc, v47, v45
	s_waitcnt lgkmcnt(0)
	v_max_f32_e32 v48, v48, v48
	v_cndmask_b32_e32 v49, v13, v47, vcc
	v_lshlrev_b32_e32 v49, 2, v49
	v_max_f32_e32 v22, v22, v48
	ds_bpermute_b32 v48, v49, v22
	s_waitcnt lgkmcnt(0)
	v_max_f32_e32 v48, v48, v48
	v_max_f32_e32 v22, v22, v48
	v_sub_f32_e32 v48, v70, v22
	v_sub_f32_e32 v49, v71, v22
	v_mul_f32_e32 v66, 0x3fb8aa3b, v48
	v_sub_f32_e32 v42, v42, v22
	v_mul_f32_e32 v67, 0x3fb8aa3b, v49
	v_fma_f32 v69, v48, s28, -v66
	v_rndne_f32_e32 v70, v66
	v_mul_f32_e32 v68, 0x3fb8aa3b, v42
	v_fma_f32 v71, v49, s28, -v67
	v_rndne_f32_e32 v72, v67
	v_fmac_f32_e32 v69, 0x32a5705f, v48
	v_sub_f32_e32 v66, v66, v70
	v_fma_f32 v73, v42, s28, -v68
	v_rndne_f32_e32 v74, v68
	v_fmac_f32_e32 v71, 0x32a5705f, v49
	v_sub_f32_e32 v67, v67, v72
	v_add_f32_e32 v66, v66, v69
	v_cvt_i32_f32_e32 v70, v70
	v_fmac_f32_e32 v73, 0x32a5705f, v42
	v_sub_f32_e32 v68, v68, v74
	v_add_f32_e32 v67, v67, v71
	v_exp_f32_e32 v66, v66
	v_cvt_i32_f32_e32 v72, v72
	v_add_f32_e32 v68, v68, v73
	v_exp_f32_e32 v67, v67
	v_cvt_i32_f32_e32 v74, v74
	v_exp_f32_e32 v68, v68
	v_ldexp_f32 v66, v66, v70
	v_cmp_ngt_f32_e32 vcc, s29, v48
	v_ldexp_f32 v67, v67, v72
	v_ldexp_f32 v68, v68, v74
	v_cndmask_b32_e32 v66, 0, v66, vcc
	v_cmp_ngt_f32_e32 vcc, s29, v49
	s_nop 1
	v_cndmask_b32_e32 v67, 0, v67, vcc
	v_cmp_ngt_f32_e32 vcc, s29, v42
	s_nop 1
	v_cndmask_b32_e32 v68, 0, v68, vcc
	v_cmp_nlt_f32_e32 vcc, s31, v48
	s_nop 1
	v_cndmask_b32_e32 v48, v38, v66, vcc
	v_cmp_nlt_f32_e32 vcc, s31, v49
	v_cvt_f16_f32_e32 v66, v48
	s_nop 0
	v_cndmask_b32_e32 v49, v38, v67, vcc
	v_cmp_nlt_f32_e32 vcc, s31, v42
	v_add_f32_e32 v48, v48, v49
	v_cvt_f16_f32_e32 v49, v49
	v_cndmask_b32_e32 v42, v38, v68, vcc
	v_cvt_f16_f32_e32 v67, v42
	v_fmac_f32_e32 v48, v41, v42
	ds_write_b16 v32, v66
	ds_write_b16 v32, v49 offset:64
	s_waitcnt vmcnt(3)
	ds_write_b128 v33, v[50:53]
	s_waitcnt vmcnt(2)
	ds_write_b128 v34, v[54:57]
	;; [unrolled: 2-line block ×4, first 2 shown]
	s_waitcnt lgkmcnt(0)
	v_mul_u32_u24_e32 v41, 0x10001, v67
	s_barrier
	ds_read2_b64 v[50:53], v26 offset1:32
	ds_read_b128 v[54:57], v31
	ds_read_b128 v[58:61], v31 offset:16
	ds_read_b128 v[62:65], v31 offset:32
	;; [unrolled: 1-line block ×3, first 2 shown]
	ds_read2_b64 v[70:73], v26 offset0:64 offset1:96
	s_waitcnt lgkmcnt(4)
	v_mul_u32_u24_sdwa v42, v54, s34 dst_sel:DWORD dst_unused:UNUSED_PAD src0_sel:WORD_0 src1_sel:DWORD
	v_pk_mul_f16 v49, v50, v42
	ds_read2_b64 v[74:77], v26 offset0:128 offset1:160
	v_pk_mul_f16 v42, v51, v42
	v_pk_fma_f16 v40, v40, v41, v49
	v_pk_fma_f16 v39, v39, v41, v42
	v_mul_u32_u24_sdwa v41, v54, s34 dst_sel:DWORD dst_unused:UNUSED_PAD src0_sel:WORD_1 src1_sel:DWORD
	v_mul_u32_u24_sdwa v42, v55, s34 dst_sel:DWORD dst_unused:UNUSED_PAD src0_sel:WORD_0 src1_sel:DWORD
	v_pk_fma_f16 v40, v52, v41, v40
	v_pk_fma_f16 v39, v53, v41, v39
	ds_read2_b64 v[50:53], v26 offset0:192 offset1:224
	v_mul_u32_u24_sdwa v41, v55, s34 dst_sel:DWORD dst_unused:UNUSED_PAD src0_sel:WORD_1 src1_sel:DWORD
	s_waitcnt lgkmcnt(2)
	v_pk_fma_f16 v40, v70, v42, v40
	v_pk_fma_f16 v39, v71, v42, v39
	v_mul_u32_u24_sdwa v49, v56, s34 dst_sel:DWORD dst_unused:UNUSED_PAD src0_sel:WORD_0 src1_sel:DWORD
	v_pk_fma_f16 v40, v72, v41, v40
	v_pk_fma_f16 v39, v73, v41, v39
	s_waitcnt lgkmcnt(1)
	v_pk_fma_f16 v40, v74, v49, v40
	v_pk_fma_f16 v39, v75, v49, v39
	v_mul_u32_u24_sdwa v41, v56, s34 dst_sel:DWORD dst_unused:UNUSED_PAD src0_sel:WORD_1 src1_sel:DWORD
	v_pk_fma_f16 v40, v76, v41, v40
	v_pk_fma_f16 v39, v77, v41, v39
	v_mul_u32_u24_sdwa v41, v57, s34 dst_sel:DWORD dst_unused:UNUSED_PAD src0_sel:WORD_0 src1_sel:DWORD
	s_waitcnt lgkmcnt(0)
	v_pk_fma_f16 v40, v50, v41, v40
	v_pk_fma_f16 v39, v51, v41, v39
	v_add_u32_e32 v41, 0x800, v26
	ds_read2_b64 v[70:73], v41 offset1:32
	v_mul_u32_u24_sdwa v42, v57, s34 dst_sel:DWORD dst_unused:UNUSED_PAD src0_sel:WORD_1 src1_sel:DWORD
	v_pk_fma_f16 v40, v52, v42, v40
	v_pk_fma_f16 v39, v53, v42, v39
	ds_read2_b64 v[50:53], v41 offset0:64 offset1:96
	v_mul_u32_u24_sdwa v42, v58, s34 dst_sel:DWORD dst_unused:UNUSED_PAD src0_sel:WORD_0 src1_sel:DWORD
	s_waitcnt lgkmcnt(1)
	v_pk_fma_f16 v40, v70, v42, v40
	v_pk_fma_f16 v39, v71, v42, v39
	v_mul_u32_u24_sdwa v42, v58, s34 dst_sel:DWORD dst_unused:UNUSED_PAD src0_sel:WORD_1 src1_sel:DWORD
	v_pk_fma_f16 v40, v72, v42, v40
	v_pk_fma_f16 v39, v73, v42, v39
	v_mul_u32_u24_sdwa v42, v59, s34 dst_sel:DWORD dst_unused:UNUSED_PAD src0_sel:WORD_0 src1_sel:DWORD
	ds_read2_b64 v[54:57], v41 offset0:128 offset1:160
	s_waitcnt lgkmcnt(1)
	v_pk_fma_f16 v40, v50, v42, v40
	v_pk_fma_f16 v39, v51, v42, v39
	v_mul_u32_u24_sdwa v42, v59, s34 dst_sel:DWORD dst_unused:UNUSED_PAD src0_sel:WORD_1 src1_sel:DWORD
	v_pk_fma_f16 v40, v52, v42, v40
	v_pk_fma_f16 v39, v53, v42, v39
	ds_read2_b64 v[50:53], v41 offset0:192 offset1:224
	v_mul_u32_u24_sdwa v42, v60, s34 dst_sel:DWORD dst_unused:UNUSED_PAD src0_sel:WORD_0 src1_sel:DWORD
	s_waitcnt lgkmcnt(1)
	v_pk_fma_f16 v40, v54, v42, v40
	v_pk_fma_f16 v39, v55, v42, v39
	v_mul_u32_u24_sdwa v41, v60, s34 dst_sel:DWORD dst_unused:UNUSED_PAD src0_sel:WORD_1 src1_sel:DWORD
	v_pk_fma_f16 v40, v56, v41, v40
	v_pk_fma_f16 v39, v57, v41, v39
	v_mul_u32_u24_sdwa v41, v61, s34 dst_sel:DWORD dst_unused:UNUSED_PAD src0_sel:WORD_0 src1_sel:DWORD
	s_waitcnt lgkmcnt(0)
	v_pk_fma_f16 v40, v50, v41, v40
	v_pk_fma_f16 v39, v51, v41, v39
	v_add_u32_e32 v41, 0x1000, v26
	ds_read2_b64 v[54:57], v41 offset1:32
	v_mul_u32_u24_sdwa v42, v61, s34 dst_sel:DWORD dst_unused:UNUSED_PAD src0_sel:WORD_1 src1_sel:DWORD
	v_pk_fma_f16 v40, v52, v42, v40
	v_pk_fma_f16 v39, v53, v42, v39
	ds_read2_b64 v[50:53], v41 offset0:64 offset1:96
	v_mul_u32_u24_sdwa v42, v62, s34 dst_sel:DWORD dst_unused:UNUSED_PAD src0_sel:WORD_0 src1_sel:DWORD
	s_waitcnt lgkmcnt(1)
	v_pk_fma_f16 v40, v54, v42, v40
	v_pk_fma_f16 v39, v55, v42, v39
	v_mul_u32_u24_sdwa v42, v62, s34 dst_sel:DWORD dst_unused:UNUSED_PAD src0_sel:WORD_1 src1_sel:DWORD
	v_pk_fma_f16 v40, v56, v42, v40
	v_pk_fma_f16 v39, v57, v42, v39
	v_mul_u32_u24_sdwa v42, v63, s34 dst_sel:DWORD dst_unused:UNUSED_PAD src0_sel:WORD_0 src1_sel:DWORD
	ds_read2_b64 v[54:57], v41 offset0:128 offset1:160
	s_waitcnt lgkmcnt(1)
	v_pk_fma_f16 v40, v50, v42, v40
	v_pk_fma_f16 v39, v51, v42, v39
	v_mul_u32_u24_sdwa v42, v63, s34 dst_sel:DWORD dst_unused:UNUSED_PAD src0_sel:WORD_1 src1_sel:DWORD
	v_pk_fma_f16 v40, v52, v42, v40
	v_pk_fma_f16 v39, v53, v42, v39
	ds_read2_b64 v[50:53], v41 offset0:192 offset1:224
	v_mul_u32_u24_sdwa v42, v64, s34 dst_sel:DWORD dst_unused:UNUSED_PAD src0_sel:WORD_0 src1_sel:DWORD
	s_waitcnt lgkmcnt(1)
	v_pk_fma_f16 v40, v54, v42, v40
	v_pk_fma_f16 v39, v55, v42, v39
	v_mul_u32_u24_sdwa v41, v64, s34 dst_sel:DWORD dst_unused:UNUSED_PAD src0_sel:WORD_1 src1_sel:DWORD
	v_pk_fma_f16 v40, v56, v41, v40
	v_pk_fma_f16 v39, v57, v41, v39
	v_mul_u32_u24_sdwa v41, v65, s34 dst_sel:DWORD dst_unused:UNUSED_PAD src0_sel:WORD_0 src1_sel:DWORD
	s_waitcnt lgkmcnt(0)
	v_pk_fma_f16 v40, v50, v41, v40
	v_pk_fma_f16 v39, v51, v41, v39
	v_add_u32_e32 v41, 0x1800, v26
	ds_read2_b64 v[54:57], v41 offset1:32
	v_mul_u32_u24_sdwa v42, v65, s34 dst_sel:DWORD dst_unused:UNUSED_PAD src0_sel:WORD_1 src1_sel:DWORD
	v_pk_fma_f16 v40, v52, v42, v40
	v_pk_fma_f16 v39, v53, v42, v39
	v_mul_u32_u24_sdwa v42, v66, s34 dst_sel:DWORD dst_unused:UNUSED_PAD src0_sel:WORD_0 src1_sel:DWORD
	ds_read2_b64 v[50:53], v41 offset0:64 offset1:96
	s_waitcnt lgkmcnt(1)
	v_pk_fma_f16 v40, v54, v42, v40
	v_pk_fma_f16 v39, v55, v42, v39
	v_mul_u32_u24_sdwa v42, v66, s34 dst_sel:DWORD dst_unused:UNUSED_PAD src0_sel:WORD_1 src1_sel:DWORD
	v_pk_fma_f16 v40, v56, v42, v40
	v_pk_fma_f16 v39, v57, v42, v39
	ds_read2_b64 v[54:57], v41 offset0:128 offset1:160
	v_mul_u32_u24_sdwa v42, v67, s34 dst_sel:DWORD dst_unused:UNUSED_PAD src0_sel:WORD_0 src1_sel:DWORD
	s_waitcnt lgkmcnt(1)
	v_pk_fma_f16 v40, v50, v42, v40
	v_pk_fma_f16 v39, v51, v42, v39
	v_mul_u32_u24_sdwa v42, v67, s34 dst_sel:DWORD dst_unused:UNUSED_PAD src0_sel:WORD_1 src1_sel:DWORD
	v_pk_fma_f16 v40, v52, v42, v40
	v_pk_fma_f16 v39, v53, v42, v39
	v_mul_u32_u24_sdwa v42, v68, s34 dst_sel:DWORD dst_unused:UNUSED_PAD src0_sel:WORD_0 src1_sel:DWORD
	ds_read2_b64 v[50:53], v41 offset0:192 offset1:224
	s_waitcnt lgkmcnt(1)
	v_pk_fma_f16 v40, v54, v42, v40
	v_pk_fma_f16 v39, v55, v42, v39
	v_mul_u32_u24_sdwa v41, v68, s34 dst_sel:DWORD dst_unused:UNUSED_PAD src0_sel:WORD_1 src1_sel:DWORD
	v_pk_fma_f16 v40, v56, v41, v40
	v_pk_fma_f16 v39, v57, v41, v39
	v_add_u32_e32 v42, 0x2000, v26
	ds_read_b128 v[54:57], v31 offset:64
	ds_read2_b64 v[58:61], v42 offset1:32
	v_mul_u32_u24_sdwa v41, v69, s34 dst_sel:DWORD dst_unused:UNUSED_PAD src0_sel:WORD_0 src1_sel:DWORD
	ds_read2_b64 v[62:65], v42 offset0:64 offset1:96
	s_waitcnt lgkmcnt(3)
	v_pk_fma_f16 v40, v50, v41, v40
	v_pk_fma_f16 v39, v51, v41, v39
	v_mul_u32_u24_sdwa v41, v69, s34 dst_sel:DWORD dst_unused:UNUSED_PAD src0_sel:WORD_1 src1_sel:DWORD
	v_pk_fma_f16 v40, v52, v41, v40
	v_pk_fma_f16 v39, v53, v41, v39
	s_waitcnt lgkmcnt(2)
	v_mul_u32_u24_sdwa v41, v54, s34 dst_sel:DWORD dst_unused:UNUSED_PAD src0_sel:WORD_0 src1_sel:DWORD
	s_waitcnt lgkmcnt(1)
	v_pk_fma_f16 v40, v58, v41, v40
	v_pk_fma_f16 v39, v59, v41, v39
	v_mul_u32_u24_sdwa v41, v54, s34 dst_sel:DWORD dst_unused:UNUSED_PAD src0_sel:WORD_1 src1_sel:DWORD
	v_pk_fma_f16 v40, v60, v41, v40
	v_pk_fma_f16 v39, v61, v41, v39
	v_mul_u32_u24_sdwa v41, v55, s34 dst_sel:DWORD dst_unused:UNUSED_PAD src0_sel:WORD_0 src1_sel:DWORD
	ds_read2_b64 v[58:61], v42 offset0:128 offset1:160
	s_waitcnt lgkmcnt(1)
	v_pk_fma_f16 v40, v62, v41, v40
	v_pk_fma_f16 v39, v63, v41, v39
	v_mul_u32_u24_sdwa v41, v55, s34 dst_sel:DWORD dst_unused:UNUSED_PAD src0_sel:WORD_1 src1_sel:DWORD
	v_pk_fma_f16 v40, v64, v41, v40
	v_pk_fma_f16 v39, v65, v41, v39
	ds_read2_b64 v[62:65], v42 offset0:192 offset1:224
	v_mul_u32_u24_sdwa v41, v56, s34 dst_sel:DWORD dst_unused:UNUSED_PAD src0_sel:WORD_0 src1_sel:DWORD
	s_waitcnt lgkmcnt(1)
	v_pk_fma_f16 v40, v58, v41, v40
	v_pk_fma_f16 v39, v59, v41, v39
	v_mul_u32_u24_sdwa v41, v56, s34 dst_sel:DWORD dst_unused:UNUSED_PAD src0_sel:WORD_1 src1_sel:DWORD
	v_pk_fma_f16 v40, v60, v41, v40
	v_pk_fma_f16 v39, v61, v41, v39
	v_mul_u32_u24_sdwa v41, v57, s34 dst_sel:DWORD dst_unused:UNUSED_PAD src0_sel:WORD_0 src1_sel:DWORD
	ds_read_b128 v[50:53], v31 offset:80
	s_waitcnt lgkmcnt(1)
	v_pk_fma_f16 v40, v62, v41, v40
	v_pk_fma_f16 v39, v63, v41, v39
	v_add_u32_e32 v41, 0x2800, v26
	ds_read2_b64 v[58:61], v41 offset1:32
	v_mul_u32_u24_sdwa v42, v57, s34 dst_sel:DWORD dst_unused:UNUSED_PAD src0_sel:WORD_1 src1_sel:DWORD
	ds_read2_b64 v[54:57], v41 offset0:64 offset1:96
	v_pk_fma_f16 v40, v64, v42, v40
	v_pk_fma_f16 v39, v65, v42, v39
	s_waitcnt lgkmcnt(2)
	v_mul_u32_u24_sdwa v42, v50, s34 dst_sel:DWORD dst_unused:UNUSED_PAD src0_sel:WORD_0 src1_sel:DWORD
	s_waitcnt lgkmcnt(1)
	v_pk_fma_f16 v40, v58, v42, v40
	v_pk_fma_f16 v39, v59, v42, v39
	v_mul_u32_u24_sdwa v42, v50, s34 dst_sel:DWORD dst_unused:UNUSED_PAD src0_sel:WORD_1 src1_sel:DWORD
	v_pk_fma_f16 v40, v60, v42, v40
	v_pk_fma_f16 v39, v61, v42, v39
	v_mul_u32_u24_sdwa v42, v51, s34 dst_sel:DWORD dst_unused:UNUSED_PAD src0_sel:WORD_0 src1_sel:DWORD
	ds_read2_b64 v[58:61], v41 offset0:128 offset1:160
	s_waitcnt lgkmcnt(1)
	v_pk_fma_f16 v40, v54, v42, v40
	v_pk_fma_f16 v39, v55, v42, v39
	v_mul_u32_u24_sdwa v42, v51, s34 dst_sel:DWORD dst_unused:UNUSED_PAD src0_sel:WORD_1 src1_sel:DWORD
	v_pk_fma_f16 v40, v56, v42, v40
	v_pk_fma_f16 v39, v57, v42, v39
	ds_read2_b64 v[54:57], v41 offset0:192 offset1:224
	v_mul_u32_u24_sdwa v42, v52, s34 dst_sel:DWORD dst_unused:UNUSED_PAD src0_sel:WORD_0 src1_sel:DWORD
	s_waitcnt lgkmcnt(1)
	v_pk_fma_f16 v40, v58, v42, v40
	v_pk_fma_f16 v39, v59, v42, v39
	v_mul_u32_u24_sdwa v41, v52, s34 dst_sel:DWORD dst_unused:UNUSED_PAD src0_sel:WORD_1 src1_sel:DWORD
	v_pk_fma_f16 v40, v60, v41, v40
	v_pk_fma_f16 v39, v61, v41, v39
	v_mul_u32_u24_sdwa v41, v53, s34 dst_sel:DWORD dst_unused:UNUSED_PAD src0_sel:WORD_0 src1_sel:DWORD
	s_waitcnt lgkmcnt(0)
	v_pk_fma_f16 v40, v54, v41, v40
	v_pk_fma_f16 v39, v55, v41, v39
	v_mul_u32_u24_sdwa v41, v53, s34 dst_sel:DWORD dst_unused:UNUSED_PAD src0_sel:WORD_1 src1_sel:DWORD
	v_add_u32_e32 v42, 0x3000, v26
	ds_read_b128 v[50:53], v31 offset:96
	ds_read2_b64 v[58:61], v42 offset1:32
	ds_read2_b64 v[62:65], v42 offset0:64 offset1:96
	v_pk_fma_f16 v40, v56, v41, v40
	v_pk_fma_f16 v39, v57, v41, v39
	s_waitcnt lgkmcnt(2)
	v_mul_u32_u24_sdwa v41, v50, s34 dst_sel:DWORD dst_unused:UNUSED_PAD src0_sel:WORD_0 src1_sel:DWORD
	s_waitcnt lgkmcnt(1)
	v_pk_fma_f16 v40, v58, v41, v40
	v_pk_fma_f16 v39, v59, v41, v39
	v_mul_u32_u24_sdwa v41, v50, s34 dst_sel:DWORD dst_unused:UNUSED_PAD src0_sel:WORD_1 src1_sel:DWORD
	v_pk_fma_f16 v40, v60, v41, v40
	v_pk_fma_f16 v39, v61, v41, v39
	v_mul_u32_u24_sdwa v41, v51, s34 dst_sel:DWORD dst_unused:UNUSED_PAD src0_sel:WORD_0 src1_sel:DWORD
	ds_read2_b64 v[58:61], v42 offset0:128 offset1:160
	s_waitcnt lgkmcnt(1)
	v_pk_fma_f16 v40, v62, v41, v40
	v_pk_fma_f16 v39, v63, v41, v39
	v_mul_u32_u24_sdwa v41, v51, s34 dst_sel:DWORD dst_unused:UNUSED_PAD src0_sel:WORD_1 src1_sel:DWORD
	v_pk_fma_f16 v40, v64, v41, v40
	v_pk_fma_f16 v39, v65, v41, v39
	ds_read2_b64 v[62:65], v42 offset0:192 offset1:224
	v_mul_u32_u24_sdwa v41, v52, s34 dst_sel:DWORD dst_unused:UNUSED_PAD src0_sel:WORD_0 src1_sel:DWORD
	s_waitcnt lgkmcnt(1)
	v_pk_fma_f16 v40, v58, v41, v40
	v_pk_fma_f16 v39, v59, v41, v39
	v_mul_u32_u24_sdwa v41, v52, s34 dst_sel:DWORD dst_unused:UNUSED_PAD src0_sel:WORD_1 src1_sel:DWORD
	v_pk_fma_f16 v40, v60, v41, v40
	v_pk_fma_f16 v39, v61, v41, v39
	v_mul_u32_u24_sdwa v41, v53, s34 dst_sel:DWORD dst_unused:UNUSED_PAD src0_sel:WORD_0 src1_sel:DWORD
	ds_read_b128 v[54:57], v31 offset:112
	s_waitcnt lgkmcnt(1)
	v_pk_fma_f16 v40, v62, v41, v40
	v_pk_fma_f16 v39, v63, v41, v39
	v_add_u32_e32 v41, 0x3800, v26
	ds_read2_b64 v[58:61], v41 offset1:32
	v_mul_u32_u24_sdwa v42, v53, s34 dst_sel:DWORD dst_unused:UNUSED_PAD src0_sel:WORD_1 src1_sel:DWORD
	ds_read2_b64 v[50:53], v41 offset0:64 offset1:96
	v_pk_fma_f16 v40, v64, v42, v40
	v_pk_fma_f16 v39, v65, v42, v39
	s_waitcnt lgkmcnt(2)
	v_mul_u32_u24_sdwa v42, v54, s34 dst_sel:DWORD dst_unused:UNUSED_PAD src0_sel:WORD_0 src1_sel:DWORD
	s_waitcnt lgkmcnt(1)
	v_pk_fma_f16 v40, v58, v42, v40
	v_pk_fma_f16 v39, v59, v42, v39
	v_mul_u32_u24_sdwa v42, v54, s34 dst_sel:DWORD dst_unused:UNUSED_PAD src0_sel:WORD_1 src1_sel:DWORD
	v_pk_fma_f16 v40, v60, v42, v40
	v_pk_fma_f16 v39, v61, v42, v39
	v_mul_u32_u24_sdwa v42, v55, s34 dst_sel:DWORD dst_unused:UNUSED_PAD src0_sel:WORD_0 src1_sel:DWORD
	s_waitcnt lgkmcnt(0)
	v_pk_fma_f16 v40, v50, v42, v40
	v_pk_fma_f16 v39, v51, v42, v39
	ds_read2_b64 v[58:61], v41 offset0:128 offset1:160
	v_mul_u32_u24_sdwa v42, v55, s34 dst_sel:DWORD dst_unused:UNUSED_PAD src0_sel:WORD_1 src1_sel:DWORD
	v_pk_fma_f16 v40, v52, v42, v40
	v_pk_fma_f16 v39, v53, v42, v39
	ds_read2_b64 v[50:53], v41 offset0:192 offset1:224
	s_waitcnt lgkmcnt(0)
	s_barrier
	s_load_dword s6, s[4:5], 0x4
	v_mul_u32_u24_sdwa v42, v56, s34 dst_sel:DWORD dst_unused:UNUSED_PAD src0_sel:WORD_0 src1_sel:DWORD
	v_pk_fma_f16 v40, v58, v42, v40
	v_pk_fma_f16 v39, v59, v42, v39
	v_mul_u32_u24_sdwa v42, v56, s34 dst_sel:DWORD dst_unused:UNUSED_PAD src0_sel:WORD_1 src1_sel:DWORD
	v_pk_fma_f16 v40, v60, v42, v40
	v_pk_fma_f16 v39, v61, v42, v39
	v_mul_u32_u24_sdwa v41, v57, s34 dst_sel:DWORD dst_unused:UNUSED_PAD src0_sel:WORD_0 src1_sel:DWORD
	s_waitcnt lgkmcnt(0)
	s_lshl_b32 s6, s6, 6
	v_pk_fma_f16 v40, v50, v41, v40
	v_pk_fma_f16 v39, v51, v41, v39
	v_mul_u32_u24_sdwa v41, v57, s34 dst_sel:DWORD dst_unused:UNUSED_PAD src0_sel:WORD_1 src1_sel:DWORD
	s_add_i32 s2, s6, s2
	v_pk_fma_f16 v40, v52, v41, v40
	s_cmp_ge_i32 s2, s24
	v_pk_fma_f16 v39, v53, v41, v39
	s_cbranch_scc1 .LBB83_7
; %bb.21:                               ;   in Loop: Header=BB83_12 Depth=1
	v_mov_b32_e32 v42, v22
	v_mov_b32_e32 v41, v48
	s_branch .LBB83_12
.LBB83_22:
	v_mov_b32_e32 v1, v23
	v_cmp_gt_i32_e32 vcc, s22, v24
	s_and_saveexec_b64 s[4:5], vcc
	s_cbranch_execz .LBB83_9
.LBB83_23:
	s_load_dword s2, s[0:1], 0xd4
	v_div_scale_f32 v0, s[0:1], v1, v1, 1.0
	v_rcp_f32_e32 v6, v0
	s_mul_i32 s30, s30, s22
	s_waitcnt lgkmcnt(0)
	s_cmp_lg_u32 s2, 1
	s_cselect_b64 s[0:1], -1, 0
	v_fma_f32 v7, -v0, v6, 1.0
	v_fmac_f32_e32 v6, v7, v6
	v_div_scale_f32 v7, vcc, 1.0, v1, 1.0
	v_mul_f32_e32 v8, v7, v6
	v_fma_f32 v9, -v0, v8, v7
	v_fmac_f32_e32 v8, v9, v6
	v_fma_f32 v0, -v0, v8, v7
	v_div_fmas_f32 v0, v0, v6, v8
	v_div_fixup_f32 v0, v0, v1, 1.0
	v_cndmask_b32_e64 v6, v0, 1.0, s[0:1]
	v_add_u32_e32 v0, s30, v24
	v_mul_lo_u32 v0, v0, s23
	v_add3_u32 v0, s25, v3, v0
	v_mul_lo_u32 v0, s2, v0
	v_add_u32_e32 v0, s3, v0
	v_mov_b32_e32 v4, s16
	v_mov_b32_e32 v5, s17
	v_lshl_add_u32 v8, v0, 7, v25
	v_mov_b32_e32 v9, 0
	v_lshl_add_u64 v[8:9], v[8:9], 2, v[4:5]
	v_cvt_f32_f16_sdwa v5, v40 dst_sel:DWORD dst_unused:UNUSED_PAD src0_sel:WORD_1
	v_cvt_f32_f16_e32 v4, v40
	v_cvt_f32_f16_sdwa v11, v39 dst_sel:DWORD dst_unused:UNUSED_PAD src0_sel:WORD_1
	v_cvt_f32_f16_e32 v10, v39
	v_cmp_eq_u32_e32 vcc, 0, v2
	s_and_b64 s[0:1], vcc, s[0:1]
	v_pk_mul_f32 v[2:3], v[6:7], v[4:5] op_sel_hi:[0,1]
	v_pk_mul_f32 v[4:5], v[6:7], v[10:11] op_sel_hi:[0,1]
	global_store_dwordx4 v[8:9], v[2:5], off
	s_and_b64 exec, exec, s[0:1]
	s_cbranch_execz .LBB83_9
; %bb.24:
	v_mov_b32_e32 v2, s18
	v_mov_b32_e32 v3, s19
	v_ashrrev_i32_e32 v1, 31, v0
	v_lshl_add_u64 v[0:1], v[0:1], 3, v[2:3]
	global_store_dwordx2 v[0:1], v[22:23], off
	s_endpgm
	.section	.rodata,"a",@progbits
	.p2align	6, 0x0
	.amdhsa_kernel _ZL15flash_attn_tileILi128ELi128ELi4ELi2ELb1EEvPKcS1_S1_S1_S1_PKiPfP15HIP_vector_typeIfLj2EEffffjfiS5_IjLj3EEiiiiiiiiiiiliiliiiiil
		.amdhsa_group_segment_fixed_size 20480
		.amdhsa_private_segment_fixed_size 0
		.amdhsa_kernarg_size 464
		.amdhsa_user_sgpr_count 2
		.amdhsa_user_sgpr_dispatch_ptr 0
		.amdhsa_user_sgpr_queue_ptr 0
		.amdhsa_user_sgpr_kernarg_segment_ptr 1
		.amdhsa_user_sgpr_dispatch_id 0
		.amdhsa_user_sgpr_kernarg_preload_length 0
		.amdhsa_user_sgpr_kernarg_preload_offset 0
		.amdhsa_user_sgpr_private_segment_size 0
		.amdhsa_uses_dynamic_stack 0
		.amdhsa_enable_private_segment 0
		.amdhsa_system_sgpr_workgroup_id_x 1
		.amdhsa_system_sgpr_workgroup_id_y 1
		.amdhsa_system_sgpr_workgroup_id_z 1
		.amdhsa_system_sgpr_workgroup_info 0
		.amdhsa_system_vgpr_workitem_id 1
		.amdhsa_next_free_vgpr 78
		.amdhsa_next_free_sgpr 40
		.amdhsa_accum_offset 80
		.amdhsa_reserve_vcc 1
		.amdhsa_float_round_mode_32 0
		.amdhsa_float_round_mode_16_64 0
		.amdhsa_float_denorm_mode_32 3
		.amdhsa_float_denorm_mode_16_64 3
		.amdhsa_dx10_clamp 1
		.amdhsa_ieee_mode 1
		.amdhsa_fp16_overflow 0
		.amdhsa_tg_split 0
		.amdhsa_exception_fp_ieee_invalid_op 0
		.amdhsa_exception_fp_denorm_src 0
		.amdhsa_exception_fp_ieee_div_zero 0
		.amdhsa_exception_fp_ieee_overflow 0
		.amdhsa_exception_fp_ieee_underflow 0
		.amdhsa_exception_fp_ieee_inexact 0
		.amdhsa_exception_int_div_zero 0
	.end_amdhsa_kernel
	.section	.text._ZL15flash_attn_tileILi128ELi128ELi4ELi2ELb1EEvPKcS1_S1_S1_S1_PKiPfP15HIP_vector_typeIfLj2EEffffjfiS5_IjLj3EEiiiiiiiiiiiliiliiiiil,"axG",@progbits,_ZL15flash_attn_tileILi128ELi128ELi4ELi2ELb1EEvPKcS1_S1_S1_S1_PKiPfP15HIP_vector_typeIfLj2EEffffjfiS5_IjLj3EEiiiiiiiiiiiliiliiiiil,comdat
.Lfunc_end83:
	.size	_ZL15flash_attn_tileILi128ELi128ELi4ELi2ELb1EEvPKcS1_S1_S1_S1_PKiPfP15HIP_vector_typeIfLj2EEffffjfiS5_IjLj3EEiiiiiiiiiiiliiliiiiil, .Lfunc_end83-_ZL15flash_attn_tileILi128ELi128ELi4ELi2ELb1EEvPKcS1_S1_S1_S1_PKiPfP15HIP_vector_typeIfLj2EEffffjfiS5_IjLj3EEiiiiiiiiiiiliiliiiiil
                                        ; -- End function
	.set _ZL15flash_attn_tileILi128ELi128ELi4ELi2ELb1EEvPKcS1_S1_S1_S1_PKiPfP15HIP_vector_typeIfLj2EEffffjfiS5_IjLj3EEiiiiiiiiiiiliiliiiiil.num_vgpr, 78
	.set _ZL15flash_attn_tileILi128ELi128ELi4ELi2ELb1EEvPKcS1_S1_S1_S1_PKiPfP15HIP_vector_typeIfLj2EEffffjfiS5_IjLj3EEiiiiiiiiiiiliiliiiiil.num_agpr, 0
	.set _ZL15flash_attn_tileILi128ELi128ELi4ELi2ELb1EEvPKcS1_S1_S1_S1_PKiPfP15HIP_vector_typeIfLj2EEffffjfiS5_IjLj3EEiiiiiiiiiiiliiliiiiil.numbered_sgpr, 40
	.set _ZL15flash_attn_tileILi128ELi128ELi4ELi2ELb1EEvPKcS1_S1_S1_S1_PKiPfP15HIP_vector_typeIfLj2EEffffjfiS5_IjLj3EEiiiiiiiiiiiliiliiiiil.num_named_barrier, 0
	.set _ZL15flash_attn_tileILi128ELi128ELi4ELi2ELb1EEvPKcS1_S1_S1_S1_PKiPfP15HIP_vector_typeIfLj2EEffffjfiS5_IjLj3EEiiiiiiiiiiiliiliiiiil.private_seg_size, 0
	.set _ZL15flash_attn_tileILi128ELi128ELi4ELi2ELb1EEvPKcS1_S1_S1_S1_PKiPfP15HIP_vector_typeIfLj2EEffffjfiS5_IjLj3EEiiiiiiiiiiiliiliiiiil.uses_vcc, 1
	.set _ZL15flash_attn_tileILi128ELi128ELi4ELi2ELb1EEvPKcS1_S1_S1_S1_PKiPfP15HIP_vector_typeIfLj2EEffffjfiS5_IjLj3EEiiiiiiiiiiiliiliiiiil.uses_flat_scratch, 0
	.set _ZL15flash_attn_tileILi128ELi128ELi4ELi2ELb1EEvPKcS1_S1_S1_S1_PKiPfP15HIP_vector_typeIfLj2EEffffjfiS5_IjLj3EEiiiiiiiiiiiliiliiiiil.has_dyn_sized_stack, 0
	.set _ZL15flash_attn_tileILi128ELi128ELi4ELi2ELb1EEvPKcS1_S1_S1_S1_PKiPfP15HIP_vector_typeIfLj2EEffffjfiS5_IjLj3EEiiiiiiiiiiiliiliiiiil.has_recursion, 0
	.set _ZL15flash_attn_tileILi128ELi128ELi4ELi2ELb1EEvPKcS1_S1_S1_S1_PKiPfP15HIP_vector_typeIfLj2EEffffjfiS5_IjLj3EEiiiiiiiiiiiliiliiiiil.has_indirect_call, 0
	.section	.AMDGPU.csdata,"",@progbits
; Kernel info:
; codeLenInByte = 8576
; TotalNumSgprs: 46
; NumVgprs: 78
; NumAgprs: 0
; TotalNumVgprs: 78
; ScratchSize: 0
; MemoryBound: 0
; FloatMode: 240
; IeeeMode: 1
; LDSByteSize: 20480 bytes/workgroup (compile time only)
; SGPRBlocks: 5
; VGPRBlocks: 9
; NumSGPRsForWavesPerEU: 46
; NumVGPRsForWavesPerEU: 78
; AccumOffset: 80
; Occupancy: 6
; WaveLimiterHint : 1
; COMPUTE_PGM_RSRC2:SCRATCH_EN: 0
; COMPUTE_PGM_RSRC2:USER_SGPR: 2
; COMPUTE_PGM_RSRC2:TRAP_HANDLER: 0
; COMPUTE_PGM_RSRC2:TGID_X_EN: 1
; COMPUTE_PGM_RSRC2:TGID_Y_EN: 1
; COMPUTE_PGM_RSRC2:TGID_Z_EN: 1
; COMPUTE_PGM_RSRC2:TIDIG_COMP_CNT: 1
; COMPUTE_PGM_RSRC3_GFX90A:ACCUM_OFFSET: 19
; COMPUTE_PGM_RSRC3_GFX90A:TG_SPLIT: 0
	.section	.text._ZL15flash_attn_tileILi128ELi128ELi2ELi2ELb1EEvPKcS1_S1_S1_S1_PKiPfP15HIP_vector_typeIfLj2EEffffjfiS5_IjLj3EEiiiiiiiiiiiliiliiiiil,"axG",@progbits,_ZL15flash_attn_tileILi128ELi128ELi2ELi2ELb1EEvPKcS1_S1_S1_S1_PKiPfP15HIP_vector_typeIfLj2EEffffjfiS5_IjLj3EEiiiiiiiiiiiliiliiiiil,comdat
	.globl	_ZL15flash_attn_tileILi128ELi128ELi2ELi2ELb1EEvPKcS1_S1_S1_S1_PKiPfP15HIP_vector_typeIfLj2EEffffjfiS5_IjLj3EEiiiiiiiiiiiliiliiiiil ; -- Begin function _ZL15flash_attn_tileILi128ELi128ELi2ELi2ELb1EEvPKcS1_S1_S1_S1_PKiPfP15HIP_vector_typeIfLj2EEffffjfiS5_IjLj3EEiiiiiiiiiiiliiliiiiil
	.p2align	8
	.type	_ZL15flash_attn_tileILi128ELi128ELi2ELi2ELb1EEvPKcS1_S1_S1_S1_PKiPfP15HIP_vector_typeIfLj2EEffffjfiS5_IjLj3EEiiiiiiiiiiiliiliiiiil,@function
_ZL15flash_attn_tileILi128ELi128ELi2ELi2ELb1EEvPKcS1_S1_S1_S1_PKiPfP15HIP_vector_typeIfLj2EEffffjfiS5_IjLj3EEiiiiiiiiiiiliiliiiiil: ; @_ZL15flash_attn_tileILi128ELi128ELi2ELi2ELb1EEvPKcS1_S1_S1_S1_PKiPfP15HIP_vector_typeIfLj2EEffffjfiS5_IjLj3EEiiiiiiiiiiiliiliiiiil
; %bb.0:
	s_load_dwordx4 s[20:23], s[0:1], 0x5c
	s_load_dwordx2 s[24:25], s[0:1], 0x80
	s_load_dwordx2 s[28:29], s[0:1], 0xb8
	s_mov_b64 s[26:27], 0
	s_waitcnt lgkmcnt(0)
	s_lshr_b32 s5, s23, 31
	s_add_i32 s5, s23, s5
	s_ashr_i32 s5, s5, 1
	v_cvt_f32_u32_e32 v1, s5
	s_sub_i32 s6, 0, s5
	v_rcp_iflag_f32_e32 v1, v1
	s_nop 0
	v_mul_f32_e32 v1, 0x4f7ffffe, v1
	v_cvt_u32_f32_e32 v1, v1
	s_nop 0
	v_readfirstlane_b32 s7, v1
	s_mul_i32 s6, s6, s7
	s_mul_hi_u32 s6, s7, s6
	s_add_i32 s7, s7, s6
	s_mul_hi_u32 s6, s4, s7
	s_mul_i32 s7, s6, s5
	s_sub_i32 s7, s4, s7
	s_add_i32 s8, s6, 1
	s_sub_i32 s9, s7, s5
	s_cmp_ge_u32 s7, s5
	s_cselect_b32 s6, s8, s6
	s_cselect_b32 s7, s9, s7
	s_add_i32 s8, s6, 1
	s_cmp_ge_u32 s7, s5
	s_cselect_b32 s30, s8, s6
	s_abs_i32 s5, s25
	v_cvt_f32_u32_e32 v1, s5
	s_lshl_b32 s4, s4, 1
	s_mul_i32 s8, s30, s23
	s_xor_b32 s6, s23, s25
	v_rcp_iflag_f32_e32 v1, v1
	s_sub_i32 s9, 0, s5
	s_sub_i32 s25, s4, s8
	s_abs_i32 s7, s23
	v_mul_f32_e32 v1, 0x4f7ffffe, v1
	v_cvt_u32_f32_e32 v1, v1
	s_ashr_i32 s6, s6, 31
	v_readfirstlane_b32 s4, v1
	s_mul_i32 s9, s9, s4
	s_mul_hi_u32 s8, s4, s9
	s_add_i32 s4, s4, s8
	s_mul_hi_u32 s4, s7, s4
	s_mul_i32 s8, s4, s5
	s_sub_i32 s7, s7, s8
	s_add_i32 s9, s4, 1
	s_sub_i32 s8, s7, s5
	s_cmp_ge_u32 s7, s5
	s_cselect_b32 s4, s9, s4
	s_cselect_b32 s7, s8, s7
	s_add_i32 s8, s4, 1
	s_cmp_ge_u32 s7, s5
	s_cselect_b32 s4, s8, s4
	s_xor_b32 s4, s4, s6
	s_sub_i32 s33, s4, s6
	s_abs_i32 s31, s33
	v_cvt_f32_u32_e32 v1, s31
	s_load_dwordx16 s[4:19], s[0:1], 0x0
	v_rcp_iflag_f32_e32 v1, v1
	s_waitcnt lgkmcnt(0)
	s_cmp_eq_u64 s[10:11], 0
	v_mul_f32_e32 v1, 0x4f7ffffe, v1
	v_cvt_u32_f32_e32 v1, v1
	s_nop 0
	v_readfirstlane_b32 s34, v1
	s_cbranch_scc1 .LBB84_2
; %bb.1:
	s_abs_i32 s28, s28
	v_cvt_f32_u32_e32 v1, s28
	s_sub_i32 s37, 0, s28
	s_abs_i32 s36, s30
	s_ashr_i32 s35, s30, 31
	v_rcp_iflag_f32_e32 v1, v1
	s_load_dwordx2 s[26:27], s[0:1], 0xc8
	v_mul_f32_e32 v1, 0x4f7ffffe, v1
	v_cvt_u32_f32_e32 v1, v1
	s_nop 0
	v_readfirstlane_b32 s38, v1
	s_mul_i32 s37, s37, s38
	s_mul_hi_u32 s37, s38, s37
	s_add_i32 s38, s38, s37
	s_mul_hi_u32 s37, s36, s38
	s_mul_i32 s37, s37, s28
	s_sub_i32 s36, s36, s37
	s_sub_i32 s37, s36, s28
	s_cmp_ge_u32 s36, s28
	s_cselect_b32 s36, s37, s36
	s_sub_i32 s37, s36, s28
	s_cmp_ge_u32 s36, s28
	s_cselect_b32 s28, s37, s36
	s_xor_b32 s28, s28, s35
	s_sub_i32 s28, s28, s35
	s_ashr_i32 s35, s28, 31
	s_waitcnt lgkmcnt(0)
	s_mul_hi_u32 s36, s26, s28
	s_mul_i32 s35, s26, s35
	s_mul_i32 s27, s27, s28
	s_add_i32 s35, s36, s35
	s_add_i32 s35, s35, s27
	s_mul_i32 s26, s26, s28
	s_add_u32 s26, s10, s26
	s_addc_u32 s27, s11, s35
.LBB84_2:
	s_load_dwordx4 s[36:39], s[0:1], 0x70
	v_lshrrev_b32_e32 v1, 10, v0
	v_bfe_u32 v1, v1, 1, 9
	v_lshl_add_u32 v40, s2, 1, v1
	v_mul_hi_u32 v1, s20, v40
	s_waitcnt lgkmcnt(0)
	s_mul_i32 s10, s30, s38
	s_ashr_i32 s28, s10, 31
	s_mul_i32 s11, s25, s37
	s_add_u32 s4, s4, s10
	s_addc_u32 s5, s5, s28
	s_ashr_i32 s10, s11, 31
	s_add_u32 s4, s4, s11
	v_add_u32_e32 v1, v40, v1
	s_addc_u32 s5, s5, s10
	s_ashr_i32 s11, s37, 31
	s_mov_b32 s10, s37
	v_lshrrev_b32_e32 v1, s21, v1
	v_bfe_u32 v3, v0, 10, 1
	s_lshr_b64 s[38:39], s[10:11], 2
	s_lshr_b32 s10, s11, 2
	v_mul_lo_u32 v1, v1, s22
	s_ashr_i32 s37, s36, 31
	v_mul_lo_u32 v5, s10, v3
	v_sub_u32_e32 v20, v40, v1
	s_lshr_b64 s[10:11], s[36:37], 2
	v_mad_u64_u32 v[6:7], s[10:11], s10, v20, 0
	v_mov_b32_e32 v2, v7
	s_lshr_b32 s10, s37, 2
	v_mul_lo_u32 v4, s38, v3
	v_mad_u64_u32 v[8:9], s[10:11], s10, v20, v[2:3]
	v_mov_b32_e32 v7, v8
	v_and_b32_e32 v2, 0x3ff, v0
	v_lshl_add_u64 v[4:5], v[4:5], 2, s[4:5]
	v_lshl_add_u64 v[4:5], v[6:7], 2, v[4:5]
	v_lshlrev_b32_e32 v6, 4, v2
	v_mov_b32_e32 v7, 0
	v_lshl_add_u64 v[4:5], v[4:5], 0, v[6:7]
	global_load_dwordx4 v[4:7], v[4:5], off
	s_load_dword s4, s[0:1], 0x40
	v_bfe_u32 v0, v0, 10, 10
	v_mov_b32_e32 v1, 0x4400
	v_lshlrev_b32_e32 v42, 3, v2
	v_lshl_add_u32 v43, v0, 8, v1
	v_add_u32_e32 v1, v43, v42
	s_cmp_eq_u64 s[14:15], 0
	s_waitcnt vmcnt(0) lgkmcnt(0)
	v_fma_mixlo_f16 v8, s4, v4, 0
	v_mov_b32_e32 v4, v7
	v_pk_mul_f32 v[4:5], s[4:5], v[4:5] op_sel_hi:[0,1]
	v_cvt_pk_f16_f32 v4, v4, v5
	v_fma_mixlo_f16 v6, s4, v6, 0
	v_and_b32_e32 v7, 0xffff, v8
	v_lshlrev_b32_e32 v5, 16, v4
	v_and_b32_e32 v4, 0xffff0000, v4
	v_and_b32_e32 v6, 0xffff, v6
	v_or_b32_e32 v4, v4, v7
	v_or3_b32 v5, v5, v6, 0
	v_or3_b32 v4, 0, 0, v4
	ds_write_b64 v1, v[4:5]
	s_waitcnt lgkmcnt(0)
	s_barrier
	s_cbranch_scc1 .LBB84_4
; %bb.3:
	s_load_dword s4, s[0:1], 0xd0
	s_mov_b32 s5, 0
	s_waitcnt lgkmcnt(0)
	s_mul_i32 s4, s4, s30
	s_add_i32 s4, s4, s2
	s_lshl_b64 s[4:5], s[4:5], 2
	s_add_u32 s4, s14, s4
	s_addc_u32 s5, s15, s5
	s_load_dword s24, s[4:5], 0x0
.LBB84_4:
	s_lshl_b32 s2, s3, 6
	s_waitcnt lgkmcnt(0)
	s_cmp_lt_i32 s2, s24
	v_mbcnt_lo_u32_b32 v38, -1, 0
	s_cbranch_scc1 .LBB84_10
; %bb.5:
	v_mbcnt_hi_u32_b32 v21, -1, v38
	v_and_b32_e32 v1, 0x60, v21
	v_add_u32_e32 v71, 32, v1
	v_xor_b32_e32 v70, 16, v21
	v_xor_b32_e32 v69, 8, v21
	;; [unrolled: 1-line block ×5, first 2 shown]
	v_lshlrev_b32_e32 v41, 2, v2
	s_cbranch_execz .LBB84_11
; %bb.6:
	v_mov_b32_e32 v65, 0
	v_mov_b32_e32 v74, 0
	;; [unrolled: 1-line block ×4, first 2 shown]
.LBB84_7:
	v_cmp_lt_i32_e32 vcc, v70, v71
	s_cmp_lg_u64 s[12:13], 0
	s_cselect_b64 s[4:5], -1, 0
	v_cndmask_b32_e32 v0, v21, v70, vcc
	v_lshlrev_b32_e32 v0, 2, v0
	ds_bpermute_b32 v0, v0, v74
	v_cmp_lt_i32_e32 vcc, v69, v71
	s_cmp_eq_u32 s3, 0
	s_cselect_b64 s[6:7], -1, 0
	v_cndmask_b32_e32 v1, v21, v69, vcc
	v_lshlrev_b32_e32 v1, 2, v1
	s_waitcnt lgkmcnt(0)
	v_add_f32_e32 v0, v74, v0
	ds_bpermute_b32 v1, v1, v0
	v_cmp_lt_i32_e32 vcc, v39, v71
	s_and_b64 s[4:5], s[6:7], s[4:5]
	s_waitcnt lgkmcnt(0)
	v_add_f32_e32 v0, v0, v1
	v_cndmask_b32_e32 v4, v21, v39, vcc
	v_lshlrev_b32_e32 v4, 2, v4
	ds_bpermute_b32 v1, v4, v0
	v_cmp_lt_i32_e32 vcc, v72, v71
	s_waitcnt lgkmcnt(0)
	v_add_f32_e32 v0, v0, v1
	v_cndmask_b32_e32 v4, v21, v72, vcc
	v_lshlrev_b32_e32 v4, 2, v4
	ds_bpermute_b32 v1, v4, v0
	v_cmp_lt_i32_e32 vcc, v73, v71
	s_waitcnt lgkmcnt(0)
	v_add_f32_e32 v0, v0, v1
	v_cndmask_b32_e32 v4, v21, v73, vcc
	v_lshlrev_b32_e32 v4, 2, v4
	ds_bpermute_b32 v1, v4, v0
	s_and_b64 vcc, exec, s[4:5]
	s_waitcnt lgkmcnt(0)
	v_add_f32_e32 v39, v0, v1
	s_cbranch_vccz .LBB84_22
; %bb.8:
	v_add_u32_e32 v0, s25, v3
	v_ashrrev_i32_e32 v1, 31, v0
	v_lshl_add_u64 v[0:1], v[0:1], 2, s[12:13]
	global_load_dword v1, v[0:1], off
	v_max_f32_e32 v0, v38, v38
	s_mov_b32 s2, 0x3fb8aa3b
	s_mov_b32 s4, 0xc2ce8ed0
	s_waitcnt vmcnt(0)
	v_max_f32_e32 v4, v1, v1
	v_max_f32_e32 v0, v0, v4
	v_sub_f32_e32 v4, v38, v0
	v_sub_f32_e32 v1, v1, v0
	v_mul_f32_e32 v5, 0x3fb8aa3b, v4
	v_mul_f32_e32 v6, 0x3fb8aa3b, v1
	v_fma_f32 v7, v4, s2, -v5
	v_rndne_f32_e32 v8, v5
	v_fma_f32 v9, v1, s2, -v6
	v_rndne_f32_e32 v10, v6
	v_fmac_f32_e32 v7, 0x32a5705f, v4
	v_sub_f32_e32 v5, v5, v8
	v_fmac_f32_e32 v9, 0x32a5705f, v1
	v_sub_f32_e32 v6, v6, v10
	v_add_f32_e32 v5, v5, v7
	v_cvt_i32_f32_e32 v8, v8
	v_add_f32_e32 v6, v6, v9
	v_exp_f32_e32 v5, v5
	v_cvt_i32_f32_e32 v10, v10
	v_exp_f32_e32 v6, v6
	v_cmp_ngt_f32_e32 vcc, s4, v4
	v_ldexp_f32 v5, v5, v8
	s_mov_b32 s2, 0x42b17218
	v_ldexp_f32 v6, v6, v10
	v_cndmask_b32_e32 v5, 0, v5, vcc
	v_cmp_ngt_f32_e32 vcc, s4, v1
	v_mov_b32_e32 v7, 0x7f800000
	s_nop 0
	v_cndmask_b32_e32 v6, 0, v6, vcc
	v_cmp_nlt_f32_e32 vcc, s2, v4
	s_nop 1
	v_cndmask_b32_e32 v4, v7, v5, vcc
	v_cvt_f16_f32_e32 v5, v4
	v_cmp_nlt_f32_e32 vcc, s2, v1
	s_nop 1
	v_cndmask_b32_e32 v1, v7, v6, vcc
	v_fmac_f32_e32 v1, v39, v4
	v_mul_u32_u24_e32 v4, 0x10001, v5
	v_pk_mul_f16 v66, v66, v4
	v_pk_mul_f16 v65, v65, v4
	v_mov_b64_e32 v[38:39], v[0:1]
	v_cmp_gt_i32_e32 vcc, s22, v40
	s_and_saveexec_b64 s[4:5], vcc
	s_cbranch_execnz .LBB84_23
.LBB84_9:
	s_endpgm
.LBB84_10:
                                        ; implicit-def: $vgpr21
                                        ; implicit-def: $vgpr71
                                        ; implicit-def: $vgpr70
                                        ; implicit-def: $vgpr69
                                        ; implicit-def: $vgpr39
                                        ; implicit-def: $vgpr72
                                        ; implicit-def: $vgpr73
	v_lshlrev_b32_e32 v41, 2, v2
.LBB84_11:
	s_sub_i32 s4, 0, s31
	s_mul_i32 s4, s4, s34
	s_mul_hi_u32 s4, s34, s4
	s_add_i32 s34, s34, s4
	s_load_dwordx4 s[36:39], s[0:1], 0x98
	s_load_dword s10, s[0:1], 0x54
	s_load_dwordx2 s[4:5], s[0:1], 0x8c
	s_ashr_i32 s28, s33, 31
	s_abs_i32 s15, s25
	s_waitcnt lgkmcnt(0)
	s_ashr_i32 s11, s38, 2
	s_mul_hi_u32 s33, s36, s30
	s_ashr_i32 s14, s4, 2
	s_ashr_i32 s4, s30, 31
	s_mul_i32 s38, s36, s4
	s_add_i32 s33, s33, s38
	s_mul_i32 s37, s37, s30
	s_ashr_i32 s21, s25, 31
	s_ashr_i32 s29, s29, 1
	s_add_i32 s33, s33, s37
	s_mul_i32 s36, s36, s30
	s_mul_hi_u32 s20, s15, s34
	s_add_u32 s6, s6, s36
	s_addc_u32 s7, s7, s33
	s_xor_b32 s21, s21, s28
	s_mul_i32 s28, s20, s31
	s_sub_i32 s15, s15, s28
	s_add_i32 s28, s20, 1
	s_sub_i32 s33, s15, s31
	s_cmp_ge_u32 s15, s31
	s_cselect_b32 s20, s28, s20
	s_cselect_b32 s15, s33, s15
	s_add_i32 s28, s20, 1
	s_cmp_ge_u32 s15, s31
	s_load_dwordx2 s[34:35], s[0:1], 0xa8
	s_cselect_b32 s15, s28, s20
	s_xor_b32 s15, s15, s21
	s_sub_i32 s21, s15, s21
	s_mul_i32 s5, s21, s5
	s_ashr_i32 s20, s5, 31
	s_add_u32 s15, s6, s5
	s_waitcnt lgkmcnt(0)
	s_mul_hi_u32 s5, s34, s30
	s_mul_i32 s4, s34, s4
	s_addc_u32 s20, s7, s20
	s_add_i32 s4, s5, s4
	s_mul_i32 s5, s35, s30
	s_add_i32 s4, s4, s5
	s_mul_i32 s5, s34, s30
	s_add_u32 s5, s8, s5
	s_mul_i32 s21, s21, s39
	s_addc_u32 s4, s9, s4
	s_ashr_i32 s6, s21, 31
	s_add_u32 s8, s5, s21
	v_lshrrev_b32_e32 v1, 4, v2
	v_and_b32_e32 v64, 60, v41
	s_addc_u32 s9, s4, s6
	v_lshl_add_u32 v22, v0, 1, v1
	v_lshlrev_b32_e32 v23, 2, v64
	s_movk_i32 s4, 0x110
	v_mad_u32_u24 v44, v22, s4, v23
	v_mul_lo_u32 v4, s14, v22
	s_lshl_b32 s4, s14, 3
	v_add_u32_e32 v6, s4, v4
	v_add_u32_e32 v8, s4, v6
	;; [unrolled: 1-line block ×7, first 2 shown]
	v_mad_u64_u32 v[20:21], s[4:5], v20, s29, v[2:3]
	v_lshl_or_b32 v55, v22, 8, v23
	v_mul_lo_u32 v22, s11, v22
	s_lshl_b32 s4, s11, 3
	v_add_u32_e32 v24, s4, v22
	v_add_u32_e32 v26, s4, v24
	;; [unrolled: 1-line block ×5, first 2 shown]
	v_mov_b32_e32 v21, 0x4800
	v_add_u32_e32 v34, s4, v32
	v_mov_b32_e32 v1, 0
	v_lshl_add_u32 v53, v0, 7, v21
	v_add_u32_e32 v36, s4, v34
	s_add_u32 s4, s0, 0xd0
                                        ; implicit-def: $vgpr21
                                        ; implicit-def: $vgpr21
                                        ; implicit-def: $vgpr21
	v_ashrrev_i32_e32 v5, 31, v4
	v_add_u32_e32 v45, 0x880, v44
	v_ashrrev_i32_e32 v7, 31, v6
	v_add_u32_e32 v46, 0x1100, v44
	;; [unrolled: 2-line block ×7, first 2 shown]
	v_ashrrev_i32_e32 v19, 31, v18
	v_mul_u32_u24_e32 v52, 0x110, v2
	v_lshl_add_u32 v54, v2, 1, v53
	v_ashrrev_i32_e32 v23, 31, v22
	v_add_u32_e32 v56, 0x800, v55
	v_ashrrev_i32_e32 v25, 31, v24
	v_add_u32_e32 v57, 0x1000, v55
	;; [unrolled: 2-line block ×7, first 2 shown]
	v_ashrrev_i32_e32 v37, 31, v36
	s_addc_u32 s5, s1, 0
	v_mov_b32_e32 v68, 0xfeffffff
	v_lshlrev_b32_e32 v0, 2, v64
	s_mov_b32 s21, 0x3f200000
	s_mov_b32 s28, 0x3fb8aa3b
	;; [unrolled: 1-line block ×4, first 2 shown]
	v_mov_b32_e32 v63, 0x3ca908c9
	s_brev_b32 s33, -2
	s_mov_b32 s34, 0x10001
	v_mov_b32_e32 v64, 0x7f800000
	v_mbcnt_hi_u32_b32 v21, -1, v38
	v_mov_b32_e32 v66, v1
	v_mov_b32_e32 v65, v1
	;; [unrolled: 1-line block ×3, first 2 shown]
.LBB84_12:                              ; =>This Inner Loop Header: Depth=1
	s_mul_hi_i32 s7, s2, s14
	s_mul_i32 s6, s2, s14
	s_lshl_b64 s[6:7], s[6:7], 2
	s_add_u32 s6, s15, s6
	s_addc_u32 s7, s20, s7
	v_lshl_add_u64 v[38:39], v[4:5], 2, s[6:7]
	v_lshl_add_u64 v[38:39], v[38:39], 0, v[0:1]
	v_lshl_add_u64 v[70:71], v[6:7], 2, s[6:7]
	v_lshl_add_u64 v[78:79], v[70:71], 0, v[0:1]
	global_load_dwordx4 v[70:73], v[38:39], off
	global_load_dwordx4 v[74:77], v[78:79], off
	v_lshl_add_u64 v[38:39], v[8:9], 2, s[6:7]
	v_lshl_add_u64 v[38:39], v[38:39], 0, v[0:1]
	v_lshl_add_u64 v[78:79], v[10:11], 2, s[6:7]
	v_lshl_add_u64 v[86:87], v[78:79], 0, v[0:1]
	global_load_dwordx4 v[78:81], v[38:39], off
	global_load_dwordx4 v[82:85], v[86:87], off
	;; [unrolled: 6-line block ×4, first 2 shown]
	v_mov_b32_e32 v69, 0
	s_waitcnt vmcnt(7)
	ds_write_b128 v44, v[70:73]
	s_waitcnt vmcnt(6)
	ds_write_b128 v45, v[74:77]
	;; [unrolled: 2-line block ×8, first 2 shown]
	s_waitcnt lgkmcnt(0)
	s_barrier
	ds_read_b128 v[72:75], v52
	ds_read_b128 v[76:79], v43
	ds_read_b128 v[80:83], v52 offset:8704
	s_waitcnt lgkmcnt(1)
	;;#ASMSTART
	v_dot2_f32_f16 v69, v72, v76, v69
	;;#ASMEND
	s_nop 0
	;;#ASMSTART
	v_dot2_f32_f16 v69, v73, v77, v69
	;;#ASMEND
	v_mov_b32_e32 v71, 0
	;;#ASMSTART
	v_dot2_f32_f16 v69, v74, v78, v69
	;;#ASMEND
                                        ; implicit-def: $vgpr70
	s_nop 0
	;;#ASMSTART
	v_dot2_f32_f16 v69, v75, v79, v69
	;;#ASMEND
	s_waitcnt lgkmcnt(0)
	;;#ASMSTART
	v_dot2_f32_f16 v71, v80, v76, v71
	;;#ASMEND
	s_nop 0
	;;#ASMSTART
	v_dot2_f32_f16 v71, v81, v77, v71
	;;#ASMEND
	s_nop 0
	;;#ASMSTART
	v_dot2_f32_f16 v71, v82, v78, v71
	;;#ASMEND
	s_nop 0
	;;#ASMSTART
	v_dot2_f32_f16 v71, v83, v79, v71
	;;#ASMEND
	ds_read_b128 v[72:75], v52 offset:16
	ds_read_b128 v[76:79], v43 offset:16
	ds_read_b128 v[80:83], v52 offset:8720
	s_waitcnt lgkmcnt(1)
	;;#ASMSTART
	v_dot2_f32_f16 v69, v72, v76, v69
	;;#ASMEND
	s_nop 0
	;;#ASMSTART
	v_dot2_f32_f16 v69, v73, v77, v69
	;;#ASMEND
	s_nop 0
	;;#ASMSTART
	v_dot2_f32_f16 v69, v74, v78, v69
	;;#ASMEND
	s_nop 0
	;;#ASMSTART
	v_dot2_f32_f16 v69, v75, v79, v69
	;;#ASMEND
	s_waitcnt lgkmcnt(0)
	;;#ASMSTART
	v_dot2_f32_f16 v71, v80, v76, v71
	;;#ASMEND
	s_nop 0
	;;#ASMSTART
	v_dot2_f32_f16 v71, v81, v77, v71
	;;#ASMEND
	s_nop 0
	;;#ASMSTART
	v_dot2_f32_f16 v71, v82, v78, v71
	;;#ASMEND
	s_nop 0
	;;#ASMSTART
	v_dot2_f32_f16 v71, v83, v79, v71
	;;#ASMEND
	ds_read_b128 v[72:75], v52 offset:32
	ds_read_b128 v[76:79], v43 offset:32
	ds_read_b128 v[80:83], v52 offset:8736
	s_waitcnt lgkmcnt(1)
	;;#ASMSTART
	v_dot2_f32_f16 v69, v72, v76, v69
	;;#ASMEND
	s_nop 0
	;;#ASMSTART
	v_dot2_f32_f16 v69, v73, v77, v69
	;;#ASMEND
	s_nop 0
	;;#ASMSTART
	v_dot2_f32_f16 v69, v74, v78, v69
	;;#ASMEND
	;; [unrolled: 35-line block ×15, first 2 shown]
	s_nop 0
	;;#ASMSTART
	v_dot2_f32_f16 v69, v75, v79, v69
	;;#ASMEND
	s_waitcnt lgkmcnt(0)
	;;#ASMSTART
	v_dot2_f32_f16 v71, v80, v76, v71
	;;#ASMEND
	s_nop 0
	;;#ASMSTART
	v_dot2_f32_f16 v71, v81, v77, v71
	;;#ASMEND
	v_cmp_nlt_f32_e64 s[6:7], |v69|, s21
	;;#ASMSTART
	v_dot2_f32_f16 v71, v82, v78, v71
	;;#ASMEND
	s_nop 0
	;;#ASMSTART
	v_dot2_f32_f16 v71, v83, v79, v71
	;;#ASMEND
	s_and_saveexec_b64 s[36:37], s[6:7]
	s_xor_b64 s[6:7], exec, s[36:37]
	s_cbranch_execz .LBB84_14
; %bb.13:                               ;   in Loop: Header=BB84_12 Depth=1
	v_add_f32_e64 v38, |v69|, |v69|
	v_mul_f32_e32 v39, 0x3fb8aa3b, v38
	v_rndne_f32_e32 v70, v39
	v_sub_f32_e32 v72, v39, v70
	v_fma_f32 v39, v38, s28, -v39
	v_fmac_f32_e32 v39, 0x32a5705f, v38
	v_add_f32_e32 v39, v72, v39
	v_cvt_i32_f32_e32 v70, v70
	v_exp_f32_e32 v39, v39
	v_cmp_ngt_f32_e32 vcc, s29, v38
	v_ldexp_f32 v39, v39, v70
	s_nop 0
	v_cndmask_b32_e32 v39, 0, v39, vcc
	v_cmp_nlt_f32_e32 vcc, s31, v38
	s_nop 1
	v_cndmask_b32_e32 v38, v64, v39, vcc
	v_add_f32_e32 v38, 1.0, v38
	v_rcp_f32_e32 v38, v38
	s_nop 0
	v_fma_f32 v70, v38, -2.0, 1.0
.LBB84_14:                              ;   in Loop: Header=BB84_12 Depth=1
	s_andn2_saveexec_b64 s[6:7], s[6:7]
; %bb.15:                               ;   in Loop: Header=BB84_12 Depth=1
	v_mul_f32_e32 v38, v69, v69
	v_fmamk_f32 v39, v38, 0xbbbac73d, v63
	v_fmaak_f32 v39, v38, v39, 0xbd5c1c4e
	v_fmaak_f32 v39, v38, v39, 0x3e088382
	;; [unrolled: 1-line block ×3, first 2 shown]
	v_mul_f32_e64 v39, |v69|, v39
	v_fma_f32 v70, v38, v39, |v69|
; %bb.16:                               ;   in Loop: Header=BB84_12 Depth=1
	s_or_b64 exec, exec, s[6:7]
	v_add_u32_e32 v38, s2, v20
	v_ashrrev_i32_e32 v39, 31, v38
	v_lshl_add_u64 v[38:39], v[38:39], 1, s[26:27]
	global_load_ushort v72, v[38:39], off
	v_cmp_nlt_f32_e64 s[6:7], |v71|, s21
                                        ; implicit-def: $vgpr73
	s_and_saveexec_b64 s[36:37], s[6:7]
	s_xor_b64 s[6:7], exec, s[36:37]
	s_cbranch_execz .LBB84_18
; %bb.17:                               ;   in Loop: Header=BB84_12 Depth=1
	v_add_f32_e64 v73, |v71|, |v71|
	v_mul_f32_e32 v74, 0x3fb8aa3b, v73
	v_rndne_f32_e32 v75, v74
	v_sub_f32_e32 v76, v74, v75
	v_fma_f32 v74, v73, s28, -v74
	v_fmac_f32_e32 v74, 0x32a5705f, v73
	v_add_f32_e32 v74, v76, v74
	v_cvt_i32_f32_e32 v75, v75
	v_exp_f32_e32 v74, v74
	v_cmp_ngt_f32_e32 vcc, s29, v73
	v_ldexp_f32 v74, v74, v75
	s_nop 0
	v_cndmask_b32_e32 v74, 0, v74, vcc
	v_cmp_nlt_f32_e32 vcc, s31, v73
	s_nop 1
	v_cndmask_b32_e32 v73, v64, v74, vcc
	v_add_f32_e32 v73, 1.0, v73
	v_rcp_f32_e32 v73, v73
	s_nop 0
	v_fma_f32 v73, v73, -2.0, 1.0
.LBB84_18:                              ;   in Loop: Header=BB84_12 Depth=1
	s_andn2_saveexec_b64 s[6:7], s[6:7]
; %bb.19:                               ;   in Loop: Header=BB84_12 Depth=1
	v_mul_f32_e32 v73, v71, v71
	v_fmamk_f32 v74, v73, 0xbbbac73d, v63
	v_fmaak_f32 v74, v73, v74, 0xbd5c1c4e
	v_fmaak_f32 v74, v73, v74, 0x3e088382
	;; [unrolled: 1-line block ×3, first 2 shown]
	v_mul_f32_e64 v74, |v71|, v74
	v_fma_f32 v73, v73, v74, |v71|
; %bb.20:                               ;   in Loop: Header=BB84_12 Depth=1
	s_or_b64 exec, exec, s[6:7]
	global_load_ushort v38, v[38:39], off offset:64
	v_and_b32_e32 v75, 0x60, v21
	v_xor_b32_e32 v39, 4, v21
	v_bfi_b32 v88, s33, v73, v71
	v_add_u32_e32 v71, 32, v75
	v_bfi_b32 v74, s33, v70, v69
	v_xor_b32_e32 v69, 8, v21
	v_cmp_lt_i32_e32 vcc, v39, v71
	v_xor_b32_e32 v70, 16, v21
	s_waitcnt vmcnt(1)
	v_fma_mix_f32 v116, s10, v74, v72 op_sel_hi:[0,0,1]
	v_cndmask_b32_e32 v72, v21, v39, vcc
	v_cmp_lt_i32_e32 vcc, v69, v71
	v_add_f32_e32 v89, 0x40051340, v116
	s_mul_hi_i32 s7, s2, s11
	v_cndmask_b32_e32 v73, v21, v69, vcc
	v_cmp_lt_i32_e32 vcc, v70, v71
	s_mul_i32 s6, s2, s11
	s_lshl_b64 s[6:7], s[6:7], 2
	v_cndmask_b32_e32 v74, v21, v70, vcc
	v_lshlrev_b32_e32 v90, 2, v74
	s_add_u32 s6, s8, s6
	s_addc_u32 s7, s9, s7
	v_lshlrev_b32_e32 v96, 2, v73
	v_lshlrev_b32_e32 v117, 2, v72
	v_lshl_add_u64 v[72:73], v[22:23], 2, s[6:7]
	v_lshl_add_u64 v[74:75], v[24:25], 2, s[6:7]
	;; [unrolled: 1-line block ×9, first 2 shown]
	s_barrier
	v_lshl_add_u64 v[74:75], v[74:75], 0, v[0:1]
	v_lshl_add_u64 v[92:93], v[76:77], 0, v[0:1]
	;; [unrolled: 1-line block ×7, first 2 shown]
	s_waitcnt vmcnt(0)
	v_fma_mix_f32 v118, s10, v88, v38 op_sel_hi:[0,0,1]
	v_add_f32_e32 v38, 0x40051340, v118
	v_max3_f32 v38, v68, v89, v38
	ds_bpermute_b32 v97, v90, v38
	global_load_dwordx4 v[76:79], v[72:73], off
	global_load_dwordx4 v[80:83], v[74:75], off
	;; [unrolled: 1-line block ×4, first 2 shown]
	s_waitcnt lgkmcnt(0)
	v_max_f32_e32 v72, v97, v97
	v_max_f32_e32 v38, v38, v72
	ds_bpermute_b32 v72, v96, v38
	global_load_dwordx4 v[92:95], v[108:109], off
	global_load_dwordx4 v[96:99], v[110:111], off
	;; [unrolled: 1-line block ×4, first 2 shown]
	s_waitcnt lgkmcnt(0)
	v_max_f32_e32 v72, v72, v72
	v_max_f32_e32 v38, v38, v72
	ds_bpermute_b32 v73, v117, v38
	v_xor_b32_e32 v72, 2, v21
	v_cmp_lt_i32_e32 vcc, v72, v71
	s_waitcnt lgkmcnt(0)
	v_max_f32_e32 v73, v73, v73
	v_cndmask_b32_e32 v74, v21, v72, vcc
	v_lshlrev_b32_e32 v74, 2, v74
	v_max_f32_e32 v38, v38, v73
	ds_bpermute_b32 v74, v74, v38
	v_xor_b32_e32 v73, 1, v21
	v_cmp_lt_i32_e32 vcc, v73, v71
	s_waitcnt lgkmcnt(0)
	v_max_f32_e32 v74, v74, v74
	v_cndmask_b32_e32 v75, v21, v73, vcc
	v_lshlrev_b32_e32 v75, 2, v75
	v_max_f32_e32 v38, v38, v74
	ds_bpermute_b32 v74, v75, v38
	s_waitcnt lgkmcnt(0)
	v_max_f32_e32 v74, v74, v74
	v_max_f32_e32 v38, v38, v74
	v_sub_f32_e32 v74, v116, v38
	v_sub_f32_e32 v75, v118, v38
	v_mul_f32_e32 v108, 0x3fb8aa3b, v74
	v_sub_f32_e32 v68, v68, v38
	v_mul_f32_e32 v109, 0x3fb8aa3b, v75
	v_fma_f32 v111, v74, s28, -v108
	v_rndne_f32_e32 v112, v108
	v_mul_f32_e32 v110, 0x3fb8aa3b, v68
	v_fma_f32 v113, v75, s28, -v109
	v_rndne_f32_e32 v114, v109
	v_fmac_f32_e32 v111, 0x32a5705f, v74
	v_sub_f32_e32 v108, v108, v112
	v_fma_f32 v115, v68, s28, -v110
	v_rndne_f32_e32 v116, v110
	v_fmac_f32_e32 v113, 0x32a5705f, v75
	v_sub_f32_e32 v109, v109, v114
	v_add_f32_e32 v108, v108, v111
	v_cvt_i32_f32_e32 v112, v112
	v_fmac_f32_e32 v115, 0x32a5705f, v68
	v_sub_f32_e32 v110, v110, v116
	v_add_f32_e32 v109, v109, v113
	v_exp_f32_e32 v108, v108
	v_cvt_i32_f32_e32 v114, v114
	v_add_f32_e32 v110, v110, v115
	v_exp_f32_e32 v109, v109
	v_cvt_i32_f32_e32 v116, v116
	v_exp_f32_e32 v110, v110
	v_ldexp_f32 v108, v108, v112
	v_cmp_ngt_f32_e32 vcc, s29, v74
	v_ldexp_f32 v109, v109, v114
	v_ldexp_f32 v110, v110, v116
	v_cndmask_b32_e32 v108, 0, v108, vcc
	v_cmp_ngt_f32_e32 vcc, s29, v75
	s_nop 1
	v_cndmask_b32_e32 v109, 0, v109, vcc
	v_cmp_ngt_f32_e32 vcc, s29, v68
	s_nop 1
	v_cndmask_b32_e32 v110, 0, v110, vcc
	v_cmp_nlt_f32_e32 vcc, s31, v74
	s_nop 1
	v_cndmask_b32_e32 v74, v64, v108, vcc
	v_cmp_nlt_f32_e32 vcc, s31, v75
	v_cvt_f16_f32_e32 v108, v74
	s_nop 0
	v_cndmask_b32_e32 v75, v64, v109, vcc
	v_cmp_nlt_f32_e32 vcc, s31, v68
	v_add_f32_e32 v74, v74, v75
	v_cvt_f16_f32_e32 v75, v75
	v_cndmask_b32_e32 v68, v64, v110, vcc
	v_cvt_f16_f32_e32 v109, v68
	ds_write_b16 v54, v108
	ds_write_b16 v54, v75 offset:64
	s_waitcnt vmcnt(7)
	ds_write_b128 v55, v[76:79]
	s_waitcnt vmcnt(6)
	ds_write_b128 v56, v[80:83]
	;; [unrolled: 2-line block ×8, first 2 shown]
	s_waitcnt lgkmcnt(0)
	s_barrier
	ds_read_b128 v[76:79], v53
	ds_read2_b64 v[80:83], v42 offset1:32
	ds_read_b128 v[84:87], v53 offset:16
	ds_read_b128 v[88:91], v53 offset:32
	ds_read_b128 v[92:95], v53 offset:48
	ds_read2_b64 v[96:99], v42 offset0:64 offset1:96
	v_fmac_f32_e32 v74, v67, v68
	s_waitcnt lgkmcnt(5)
	v_mul_u32_u24_sdwa v68, v76, s34 dst_sel:DWORD dst_unused:UNUSED_PAD src0_sel:WORD_0 src1_sel:DWORD
	v_mul_u32_u24_e32 v67, 0x10001, v109
	s_waitcnt lgkmcnt(4)
	v_pk_mul_f16 v75, v80, v68
	v_pk_mul_f16 v68, v81, v68
	v_pk_fma_f16 v66, v66, v67, v75
	v_pk_fma_f16 v65, v65, v67, v68
	v_mul_u32_u24_sdwa v67, v76, s34 dst_sel:DWORD dst_unused:UNUSED_PAD src0_sel:WORD_1 src1_sel:DWORD
	v_pk_fma_f16 v66, v82, v67, v66
	v_pk_fma_f16 v65, v83, v67, v65
	v_mul_u32_u24_sdwa v67, v77, s34 dst_sel:DWORD dst_unused:UNUSED_PAD src0_sel:WORD_0 src1_sel:DWORD
	ds_read2_b64 v[80:83], v42 offset0:128 offset1:160
	s_waitcnt lgkmcnt(1)
	v_pk_fma_f16 v66, v96, v67, v66
	v_pk_fma_f16 v65, v97, v67, v65
	v_mul_u32_u24_sdwa v67, v77, s34 dst_sel:DWORD dst_unused:UNUSED_PAD src0_sel:WORD_1 src1_sel:DWORD
	v_pk_fma_f16 v66, v98, v67, v66
	v_pk_fma_f16 v65, v99, v67, v65
	ds_read2_b64 v[96:99], v42 offset0:192 offset1:224
	v_mul_u32_u24_sdwa v67, v78, s34 dst_sel:DWORD dst_unused:UNUSED_PAD src0_sel:WORD_0 src1_sel:DWORD
	s_waitcnt lgkmcnt(1)
	v_pk_fma_f16 v66, v80, v67, v66
	v_pk_fma_f16 v65, v81, v67, v65
	v_mul_u32_u24_sdwa v67, v78, s34 dst_sel:DWORD dst_unused:UNUSED_PAD src0_sel:WORD_1 src1_sel:DWORD
	v_pk_fma_f16 v66, v82, v67, v66
	v_pk_fma_f16 v65, v83, v67, v65
	v_mul_u32_u24_sdwa v67, v79, s34 dst_sel:DWORD dst_unused:UNUSED_PAD src0_sel:WORD_0 src1_sel:DWORD
	s_waitcnt lgkmcnt(0)
	v_pk_fma_f16 v66, v96, v67, v66
	v_pk_fma_f16 v65, v97, v67, v65
	v_add_u32_e32 v67, 0x800, v42
	ds_read2_b64 v[80:83], v67 offset1:32
	v_mul_u32_u24_sdwa v68, v79, s34 dst_sel:DWORD dst_unused:UNUSED_PAD src0_sel:WORD_1 src1_sel:DWORD
	ds_read2_b64 v[76:79], v67 offset0:64 offset1:96
	v_pk_fma_f16 v66, v98, v68, v66
	v_pk_fma_f16 v65, v99, v68, v65
	v_mul_u32_u24_sdwa v68, v84, s34 dst_sel:DWORD dst_unused:UNUSED_PAD src0_sel:WORD_0 src1_sel:DWORD
	s_waitcnt lgkmcnt(1)
	v_pk_fma_f16 v66, v80, v68, v66
	v_pk_fma_f16 v65, v81, v68, v65
	v_mul_u32_u24_sdwa v68, v84, s34 dst_sel:DWORD dst_unused:UNUSED_PAD src0_sel:WORD_1 src1_sel:DWORD
	v_pk_fma_f16 v66, v82, v68, v66
	v_pk_fma_f16 v65, v83, v68, v65
	v_mul_u32_u24_sdwa v68, v85, s34 dst_sel:DWORD dst_unused:UNUSED_PAD src0_sel:WORD_0 src1_sel:DWORD
	ds_read2_b64 v[80:83], v67 offset0:128 offset1:160
	s_waitcnt lgkmcnt(1)
	v_pk_fma_f16 v66, v76, v68, v66
	v_pk_fma_f16 v65, v77, v68, v65
	v_mul_u32_u24_sdwa v68, v85, s34 dst_sel:DWORD dst_unused:UNUSED_PAD src0_sel:WORD_1 src1_sel:DWORD
	v_pk_fma_f16 v66, v78, v68, v66
	v_pk_fma_f16 v65, v79, v68, v65
	ds_read2_b64 v[76:79], v67 offset0:192 offset1:224
	v_mul_u32_u24_sdwa v68, v86, s34 dst_sel:DWORD dst_unused:UNUSED_PAD src0_sel:WORD_0 src1_sel:DWORD
	s_waitcnt lgkmcnt(1)
	v_pk_fma_f16 v66, v80, v68, v66
	v_pk_fma_f16 v65, v81, v68, v65
	v_mul_u32_u24_sdwa v67, v86, s34 dst_sel:DWORD dst_unused:UNUSED_PAD src0_sel:WORD_1 src1_sel:DWORD
	v_pk_fma_f16 v66, v82, v67, v66
	v_pk_fma_f16 v65, v83, v67, v65
	v_mul_u32_u24_sdwa v67, v87, s34 dst_sel:DWORD dst_unused:UNUSED_PAD src0_sel:WORD_0 src1_sel:DWORD
	s_waitcnt lgkmcnt(0)
	v_pk_fma_f16 v66, v76, v67, v66
	v_pk_fma_f16 v65, v77, v67, v65
	v_add_u32_e32 v67, 0x1000, v42
	ds_read2_b64 v[80:83], v67 offset1:32
	v_mul_u32_u24_sdwa v68, v87, s34 dst_sel:DWORD dst_unused:UNUSED_PAD src0_sel:WORD_1 src1_sel:DWORD
	v_pk_fma_f16 v66, v78, v68, v66
	v_pk_fma_f16 v65, v79, v68, v65
	ds_read2_b64 v[76:79], v67 offset0:64 offset1:96
	v_mul_u32_u24_sdwa v68, v88, s34 dst_sel:DWORD dst_unused:UNUSED_PAD src0_sel:WORD_0 src1_sel:DWORD
	s_waitcnt lgkmcnt(1)
	v_pk_fma_f16 v66, v80, v68, v66
	v_pk_fma_f16 v65, v81, v68, v65
	v_mul_u32_u24_sdwa v68, v88, s34 dst_sel:DWORD dst_unused:UNUSED_PAD src0_sel:WORD_1 src1_sel:DWORD
	v_pk_fma_f16 v66, v82, v68, v66
	v_pk_fma_f16 v65, v83, v68, v65
	v_mul_u32_u24_sdwa v68, v89, s34 dst_sel:DWORD dst_unused:UNUSED_PAD src0_sel:WORD_0 src1_sel:DWORD
	ds_read2_b64 v[80:83], v67 offset0:128 offset1:160
	s_waitcnt lgkmcnt(1)
	v_pk_fma_f16 v66, v76, v68, v66
	v_pk_fma_f16 v65, v77, v68, v65
	v_mul_u32_u24_sdwa v68, v89, s34 dst_sel:DWORD dst_unused:UNUSED_PAD src0_sel:WORD_1 src1_sel:DWORD
	v_pk_fma_f16 v66, v78, v68, v66
	v_pk_fma_f16 v65, v79, v68, v65
	ds_read2_b64 v[76:79], v67 offset0:192 offset1:224
	v_mul_u32_u24_sdwa v68, v90, s34 dst_sel:DWORD dst_unused:UNUSED_PAD src0_sel:WORD_0 src1_sel:DWORD
	s_waitcnt lgkmcnt(1)
	v_pk_fma_f16 v66, v80, v68, v66
	v_pk_fma_f16 v65, v81, v68, v65
	v_mul_u32_u24_sdwa v67, v90, s34 dst_sel:DWORD dst_unused:UNUSED_PAD src0_sel:WORD_1 src1_sel:DWORD
	v_pk_fma_f16 v66, v82, v67, v66
	v_pk_fma_f16 v65, v83, v67, v65
	v_mul_u32_u24_sdwa v67, v91, s34 dst_sel:DWORD dst_unused:UNUSED_PAD src0_sel:WORD_0 src1_sel:DWORD
	s_waitcnt lgkmcnt(0)
	v_pk_fma_f16 v66, v76, v67, v66
	v_pk_fma_f16 v65, v77, v67, v65
	v_add_u32_e32 v67, 0x1800, v42
	ds_read2_b64 v[80:83], v67 offset1:32
	v_mul_u32_u24_sdwa v68, v91, s34 dst_sel:DWORD dst_unused:UNUSED_PAD src0_sel:WORD_1 src1_sel:DWORD
	v_pk_fma_f16 v66, v78, v68, v66
	v_pk_fma_f16 v65, v79, v68, v65
	v_mul_u32_u24_sdwa v68, v92, s34 dst_sel:DWORD dst_unused:UNUSED_PAD src0_sel:WORD_0 src1_sel:DWORD
	ds_read2_b64 v[76:79], v67 offset0:64 offset1:96
	s_waitcnt lgkmcnt(1)
	v_pk_fma_f16 v66, v80, v68, v66
	v_pk_fma_f16 v65, v81, v68, v65
	v_mul_u32_u24_sdwa v68, v92, s34 dst_sel:DWORD dst_unused:UNUSED_PAD src0_sel:WORD_1 src1_sel:DWORD
	v_pk_fma_f16 v66, v82, v68, v66
	v_pk_fma_f16 v65, v83, v68, v65
	ds_read2_b64 v[80:83], v67 offset0:128 offset1:160
	v_mul_u32_u24_sdwa v68, v93, s34 dst_sel:DWORD dst_unused:UNUSED_PAD src0_sel:WORD_0 src1_sel:DWORD
	s_waitcnt lgkmcnt(1)
	v_pk_fma_f16 v66, v76, v68, v66
	v_pk_fma_f16 v65, v77, v68, v65
	v_mul_u32_u24_sdwa v68, v93, s34 dst_sel:DWORD dst_unused:UNUSED_PAD src0_sel:WORD_1 src1_sel:DWORD
	v_pk_fma_f16 v66, v78, v68, v66
	v_pk_fma_f16 v65, v79, v68, v65
	v_mul_u32_u24_sdwa v68, v94, s34 dst_sel:DWORD dst_unused:UNUSED_PAD src0_sel:WORD_0 src1_sel:DWORD
	ds_read2_b64 v[76:79], v67 offset0:192 offset1:224
	s_waitcnt lgkmcnt(1)
	v_pk_fma_f16 v66, v80, v68, v66
	v_pk_fma_f16 v65, v81, v68, v65
	v_mul_u32_u24_sdwa v67, v94, s34 dst_sel:DWORD dst_unused:UNUSED_PAD src0_sel:WORD_1 src1_sel:DWORD
	v_pk_fma_f16 v66, v82, v67, v66
	v_pk_fma_f16 v65, v83, v67, v65
	v_add_u32_e32 v68, 0x2000, v42
	ds_read_b128 v[80:83], v53 offset:64
	ds_read2_b64 v[84:87], v68 offset1:32
	v_mul_u32_u24_sdwa v67, v95, s34 dst_sel:DWORD dst_unused:UNUSED_PAD src0_sel:WORD_0 src1_sel:DWORD
	ds_read2_b64 v[88:91], v68 offset0:64 offset1:96
	s_waitcnt lgkmcnt(3)
	v_pk_fma_f16 v66, v76, v67, v66
	v_pk_fma_f16 v65, v77, v67, v65
	v_mul_u32_u24_sdwa v67, v95, s34 dst_sel:DWORD dst_unused:UNUSED_PAD src0_sel:WORD_1 src1_sel:DWORD
	v_pk_fma_f16 v66, v78, v67, v66
	v_pk_fma_f16 v65, v79, v67, v65
	s_waitcnt lgkmcnt(2)
	v_mul_u32_u24_sdwa v67, v80, s34 dst_sel:DWORD dst_unused:UNUSED_PAD src0_sel:WORD_0 src1_sel:DWORD
	s_waitcnt lgkmcnt(1)
	v_pk_fma_f16 v66, v84, v67, v66
	v_pk_fma_f16 v65, v85, v67, v65
	v_mul_u32_u24_sdwa v67, v80, s34 dst_sel:DWORD dst_unused:UNUSED_PAD src0_sel:WORD_1 src1_sel:DWORD
	v_pk_fma_f16 v66, v86, v67, v66
	v_pk_fma_f16 v65, v87, v67, v65
	v_mul_u32_u24_sdwa v67, v81, s34 dst_sel:DWORD dst_unused:UNUSED_PAD src0_sel:WORD_0 src1_sel:DWORD
	ds_read2_b64 v[84:87], v68 offset0:128 offset1:160
	s_waitcnt lgkmcnt(1)
	v_pk_fma_f16 v66, v88, v67, v66
	v_pk_fma_f16 v65, v89, v67, v65
	v_mul_u32_u24_sdwa v67, v81, s34 dst_sel:DWORD dst_unused:UNUSED_PAD src0_sel:WORD_1 src1_sel:DWORD
	v_pk_fma_f16 v66, v90, v67, v66
	v_pk_fma_f16 v65, v91, v67, v65
	ds_read2_b64 v[88:91], v68 offset0:192 offset1:224
	v_mul_u32_u24_sdwa v67, v82, s34 dst_sel:DWORD dst_unused:UNUSED_PAD src0_sel:WORD_0 src1_sel:DWORD
	s_waitcnt lgkmcnt(1)
	v_pk_fma_f16 v66, v84, v67, v66
	v_pk_fma_f16 v65, v85, v67, v65
	v_mul_u32_u24_sdwa v67, v82, s34 dst_sel:DWORD dst_unused:UNUSED_PAD src0_sel:WORD_1 src1_sel:DWORD
	v_pk_fma_f16 v66, v86, v67, v66
	v_pk_fma_f16 v65, v87, v67, v65
	v_mul_u32_u24_sdwa v67, v83, s34 dst_sel:DWORD dst_unused:UNUSED_PAD src0_sel:WORD_0 src1_sel:DWORD
	ds_read_b128 v[76:79], v53 offset:80
	s_waitcnt lgkmcnt(1)
	v_pk_fma_f16 v66, v88, v67, v66
	v_pk_fma_f16 v65, v89, v67, v65
	v_add_u32_e32 v67, 0x2800, v42
	ds_read2_b64 v[84:87], v67 offset1:32
	v_mul_u32_u24_sdwa v68, v83, s34 dst_sel:DWORD dst_unused:UNUSED_PAD src0_sel:WORD_1 src1_sel:DWORD
	ds_read2_b64 v[80:83], v67 offset0:64 offset1:96
	v_pk_fma_f16 v66, v90, v68, v66
	v_pk_fma_f16 v65, v91, v68, v65
	s_waitcnt lgkmcnt(2)
	v_mul_u32_u24_sdwa v68, v76, s34 dst_sel:DWORD dst_unused:UNUSED_PAD src0_sel:WORD_0 src1_sel:DWORD
	s_waitcnt lgkmcnt(1)
	v_pk_fma_f16 v66, v84, v68, v66
	v_pk_fma_f16 v65, v85, v68, v65
	v_mul_u32_u24_sdwa v68, v76, s34 dst_sel:DWORD dst_unused:UNUSED_PAD src0_sel:WORD_1 src1_sel:DWORD
	v_pk_fma_f16 v66, v86, v68, v66
	v_pk_fma_f16 v65, v87, v68, v65
	v_mul_u32_u24_sdwa v68, v77, s34 dst_sel:DWORD dst_unused:UNUSED_PAD src0_sel:WORD_0 src1_sel:DWORD
	ds_read2_b64 v[84:87], v67 offset0:128 offset1:160
	s_waitcnt lgkmcnt(1)
	v_pk_fma_f16 v66, v80, v68, v66
	v_pk_fma_f16 v65, v81, v68, v65
	v_mul_u32_u24_sdwa v68, v77, s34 dst_sel:DWORD dst_unused:UNUSED_PAD src0_sel:WORD_1 src1_sel:DWORD
	v_pk_fma_f16 v66, v82, v68, v66
	v_pk_fma_f16 v65, v83, v68, v65
	ds_read2_b64 v[80:83], v67 offset0:192 offset1:224
	v_mul_u32_u24_sdwa v68, v78, s34 dst_sel:DWORD dst_unused:UNUSED_PAD src0_sel:WORD_0 src1_sel:DWORD
	s_waitcnt lgkmcnt(1)
	v_pk_fma_f16 v66, v84, v68, v66
	v_pk_fma_f16 v65, v85, v68, v65
	v_mul_u32_u24_sdwa v67, v78, s34 dst_sel:DWORD dst_unused:UNUSED_PAD src0_sel:WORD_1 src1_sel:DWORD
	v_pk_fma_f16 v66, v86, v67, v66
	v_pk_fma_f16 v65, v87, v67, v65
	v_mul_u32_u24_sdwa v67, v79, s34 dst_sel:DWORD dst_unused:UNUSED_PAD src0_sel:WORD_0 src1_sel:DWORD
	s_waitcnt lgkmcnt(0)
	v_pk_fma_f16 v66, v80, v67, v66
	v_pk_fma_f16 v65, v81, v67, v65
	v_mul_u32_u24_sdwa v67, v79, s34 dst_sel:DWORD dst_unused:UNUSED_PAD src0_sel:WORD_1 src1_sel:DWORD
	v_add_u32_e32 v68, 0x3000, v42
	ds_read_b128 v[76:79], v53 offset:96
	ds_read2_b64 v[84:87], v68 offset1:32
	ds_read2_b64 v[88:91], v68 offset0:64 offset1:96
	v_pk_fma_f16 v66, v82, v67, v66
	v_pk_fma_f16 v65, v83, v67, v65
	s_waitcnt lgkmcnt(2)
	v_mul_u32_u24_sdwa v67, v76, s34 dst_sel:DWORD dst_unused:UNUSED_PAD src0_sel:WORD_0 src1_sel:DWORD
	s_waitcnt lgkmcnt(1)
	v_pk_fma_f16 v66, v84, v67, v66
	v_pk_fma_f16 v65, v85, v67, v65
	v_mul_u32_u24_sdwa v67, v76, s34 dst_sel:DWORD dst_unused:UNUSED_PAD src0_sel:WORD_1 src1_sel:DWORD
	v_pk_fma_f16 v66, v86, v67, v66
	v_pk_fma_f16 v65, v87, v67, v65
	v_mul_u32_u24_sdwa v67, v77, s34 dst_sel:DWORD dst_unused:UNUSED_PAD src0_sel:WORD_0 src1_sel:DWORD
	ds_read2_b64 v[84:87], v68 offset0:128 offset1:160
	s_waitcnt lgkmcnt(1)
	v_pk_fma_f16 v66, v88, v67, v66
	v_pk_fma_f16 v65, v89, v67, v65
	v_mul_u32_u24_sdwa v67, v77, s34 dst_sel:DWORD dst_unused:UNUSED_PAD src0_sel:WORD_1 src1_sel:DWORD
	v_pk_fma_f16 v66, v90, v67, v66
	v_pk_fma_f16 v65, v91, v67, v65
	ds_read2_b64 v[88:91], v68 offset0:192 offset1:224
	v_mul_u32_u24_sdwa v67, v78, s34 dst_sel:DWORD dst_unused:UNUSED_PAD src0_sel:WORD_0 src1_sel:DWORD
	s_waitcnt lgkmcnt(1)
	v_pk_fma_f16 v66, v84, v67, v66
	v_pk_fma_f16 v65, v85, v67, v65
	v_mul_u32_u24_sdwa v67, v78, s34 dst_sel:DWORD dst_unused:UNUSED_PAD src0_sel:WORD_1 src1_sel:DWORD
	v_pk_fma_f16 v66, v86, v67, v66
	v_pk_fma_f16 v65, v87, v67, v65
	v_mul_u32_u24_sdwa v67, v79, s34 dst_sel:DWORD dst_unused:UNUSED_PAD src0_sel:WORD_0 src1_sel:DWORD
	ds_read_b128 v[80:83], v53 offset:112
	s_waitcnt lgkmcnt(1)
	v_pk_fma_f16 v66, v88, v67, v66
	v_pk_fma_f16 v65, v89, v67, v65
	v_add_u32_e32 v67, 0x3800, v42
	ds_read2_b64 v[84:87], v67 offset1:32
	v_mul_u32_u24_sdwa v68, v79, s34 dst_sel:DWORD dst_unused:UNUSED_PAD src0_sel:WORD_1 src1_sel:DWORD
	ds_read2_b64 v[76:79], v67 offset0:64 offset1:96
	v_pk_fma_f16 v66, v90, v68, v66
	v_pk_fma_f16 v65, v91, v68, v65
	s_waitcnt lgkmcnt(2)
	v_mul_u32_u24_sdwa v68, v80, s34 dst_sel:DWORD dst_unused:UNUSED_PAD src0_sel:WORD_0 src1_sel:DWORD
	s_waitcnt lgkmcnt(1)
	v_pk_fma_f16 v66, v84, v68, v66
	v_pk_fma_f16 v65, v85, v68, v65
	v_mul_u32_u24_sdwa v68, v80, s34 dst_sel:DWORD dst_unused:UNUSED_PAD src0_sel:WORD_1 src1_sel:DWORD
	v_pk_fma_f16 v66, v86, v68, v66
	v_pk_fma_f16 v65, v87, v68, v65
	v_mul_u32_u24_sdwa v68, v81, s34 dst_sel:DWORD dst_unused:UNUSED_PAD src0_sel:WORD_0 src1_sel:DWORD
	s_waitcnt lgkmcnt(0)
	v_pk_fma_f16 v66, v76, v68, v66
	v_pk_fma_f16 v65, v77, v68, v65
	ds_read2_b64 v[84:87], v67 offset0:128 offset1:160
	v_mul_u32_u24_sdwa v68, v81, s34 dst_sel:DWORD dst_unused:UNUSED_PAD src0_sel:WORD_1 src1_sel:DWORD
	v_pk_fma_f16 v66, v78, v68, v66
	v_pk_fma_f16 v65, v79, v68, v65
	ds_read2_b64 v[76:79], v67 offset0:192 offset1:224
	s_waitcnt lgkmcnt(0)
	s_barrier
	s_load_dword s6, s[4:5], 0x4
	v_mul_u32_u24_sdwa v68, v82, s34 dst_sel:DWORD dst_unused:UNUSED_PAD src0_sel:WORD_0 src1_sel:DWORD
	v_pk_fma_f16 v66, v84, v68, v66
	v_pk_fma_f16 v65, v85, v68, v65
	v_mul_u32_u24_sdwa v68, v82, s34 dst_sel:DWORD dst_unused:UNUSED_PAD src0_sel:WORD_1 src1_sel:DWORD
	v_pk_fma_f16 v66, v86, v68, v66
	v_pk_fma_f16 v65, v87, v68, v65
	v_mul_u32_u24_sdwa v67, v83, s34 dst_sel:DWORD dst_unused:UNUSED_PAD src0_sel:WORD_0 src1_sel:DWORD
	s_waitcnt lgkmcnt(0)
	s_lshl_b32 s6, s6, 6
	v_pk_fma_f16 v66, v76, v67, v66
	v_pk_fma_f16 v65, v77, v67, v65
	v_mul_u32_u24_sdwa v67, v83, s34 dst_sel:DWORD dst_unused:UNUSED_PAD src0_sel:WORD_1 src1_sel:DWORD
	s_add_i32 s2, s6, s2
	v_pk_fma_f16 v66, v78, v67, v66
	s_cmp_ge_i32 s2, s24
	v_pk_fma_f16 v65, v79, v67, v65
	s_cbranch_scc1 .LBB84_7
; %bb.21:                               ;   in Loop: Header=BB84_12 Depth=1
	v_mov_b32_e32 v68, v38
	v_mov_b32_e32 v67, v74
	s_branch .LBB84_12
.LBB84_22:
	v_mov_b32_e32 v1, v39
	v_cmp_gt_i32_e32 vcc, s22, v40
	s_and_saveexec_b64 s[4:5], vcc
	s_cbranch_execz .LBB84_9
.LBB84_23:
	s_load_dword s2, s[0:1], 0xd4
	v_div_scale_f32 v0, s[0:1], v1, v1, 1.0
	v_rcp_f32_e32 v6, v0
	s_mul_i32 s30, s30, s22
	s_waitcnt lgkmcnt(0)
	s_cmp_lg_u32 s2, 1
	s_cselect_b64 s[0:1], -1, 0
	v_fma_f32 v7, -v0, v6, 1.0
	v_fmac_f32_e32 v6, v7, v6
	v_div_scale_f32 v7, vcc, 1.0, v1, 1.0
	v_mul_f32_e32 v8, v7, v6
	v_fma_f32 v9, -v0, v8, v7
	v_fmac_f32_e32 v8, v9, v6
	v_fma_f32 v0, -v0, v8, v7
	v_div_fmas_f32 v0, v0, v6, v8
	v_div_fixup_f32 v0, v0, v1, 1.0
	v_cndmask_b32_e64 v6, v0, 1.0, s[0:1]
	v_add_u32_e32 v0, s30, v40
	v_mul_lo_u32 v0, v0, s23
	v_add3_u32 v0, s25, v3, v0
	v_mul_lo_u32 v0, s2, v0
	v_add_u32_e32 v0, s3, v0
	v_mov_b32_e32 v4, s16
	v_mov_b32_e32 v5, s17
	v_lshl_add_u32 v8, v0, 7, v41
	v_mov_b32_e32 v9, 0
	v_lshl_add_u64 v[8:9], v[8:9], 2, v[4:5]
	v_cvt_f32_f16_sdwa v5, v66 dst_sel:DWORD dst_unused:UNUSED_PAD src0_sel:WORD_1
	v_cvt_f32_f16_e32 v4, v66
	v_cvt_f32_f16_sdwa v11, v65 dst_sel:DWORD dst_unused:UNUSED_PAD src0_sel:WORD_1
	v_cvt_f32_f16_e32 v10, v65
	v_cmp_eq_u32_e32 vcc, 0, v2
	s_and_b64 s[0:1], vcc, s[0:1]
	v_pk_mul_f32 v[2:3], v[6:7], v[4:5] op_sel_hi:[0,1]
	v_pk_mul_f32 v[4:5], v[6:7], v[10:11] op_sel_hi:[0,1]
	global_store_dwordx4 v[8:9], v[2:5], off
	s_and_b64 exec, exec, s[0:1]
	s_cbranch_execz .LBB84_9
; %bb.24:
	v_mov_b32_e32 v2, s18
	v_mov_b32_e32 v3, s19
	v_ashrrev_i32_e32 v1, 31, v0
	v_lshl_add_u64 v[0:1], v[0:1], 3, v[2:3]
	global_store_dwordx2 v[0:1], v[38:39], off
	s_endpgm
	.section	.rodata,"a",@progbits
	.p2align	6, 0x0
	.amdhsa_kernel _ZL15flash_attn_tileILi128ELi128ELi2ELi2ELb1EEvPKcS1_S1_S1_S1_PKiPfP15HIP_vector_typeIfLj2EEffffjfiS5_IjLj3EEiiiiiiiiiiiliiliiiiil
		.amdhsa_group_segment_fixed_size 18944
		.amdhsa_private_segment_fixed_size 0
		.amdhsa_kernarg_size 464
		.amdhsa_user_sgpr_count 2
		.amdhsa_user_sgpr_dispatch_ptr 0
		.amdhsa_user_sgpr_queue_ptr 0
		.amdhsa_user_sgpr_kernarg_segment_ptr 1
		.amdhsa_user_sgpr_dispatch_id 0
		.amdhsa_user_sgpr_kernarg_preload_length 0
		.amdhsa_user_sgpr_kernarg_preload_offset 0
		.amdhsa_user_sgpr_private_segment_size 0
		.amdhsa_uses_dynamic_stack 0
		.amdhsa_enable_private_segment 0
		.amdhsa_system_sgpr_workgroup_id_x 1
		.amdhsa_system_sgpr_workgroup_id_y 1
		.amdhsa_system_sgpr_workgroup_id_z 1
		.amdhsa_system_sgpr_workgroup_info 0
		.amdhsa_system_vgpr_workitem_id 1
		.amdhsa_next_free_vgpr 119
		.amdhsa_next_free_sgpr 96
		.amdhsa_accum_offset 120
		.amdhsa_reserve_vcc 1
		.amdhsa_float_round_mode_32 0
		.amdhsa_float_round_mode_16_64 0
		.amdhsa_float_denorm_mode_32 3
		.amdhsa_float_denorm_mode_16_64 3
		.amdhsa_dx10_clamp 1
		.amdhsa_ieee_mode 1
		.amdhsa_fp16_overflow 0
		.amdhsa_tg_split 0
		.amdhsa_exception_fp_ieee_invalid_op 0
		.amdhsa_exception_fp_denorm_src 0
		.amdhsa_exception_fp_ieee_div_zero 0
		.amdhsa_exception_fp_ieee_overflow 0
		.amdhsa_exception_fp_ieee_underflow 0
		.amdhsa_exception_fp_ieee_inexact 0
		.amdhsa_exception_int_div_zero 0
	.end_amdhsa_kernel
	.section	.text._ZL15flash_attn_tileILi128ELi128ELi2ELi2ELb1EEvPKcS1_S1_S1_S1_PKiPfP15HIP_vector_typeIfLj2EEffffjfiS5_IjLj3EEiiiiiiiiiiiliiliiiiil,"axG",@progbits,_ZL15flash_attn_tileILi128ELi128ELi2ELi2ELb1EEvPKcS1_S1_S1_S1_PKiPfP15HIP_vector_typeIfLj2EEffffjfiS5_IjLj3EEiiiiiiiiiiiliiliiiiil,comdat
.Lfunc_end84:
	.size	_ZL15flash_attn_tileILi128ELi128ELi2ELi2ELb1EEvPKcS1_S1_S1_S1_PKiPfP15HIP_vector_typeIfLj2EEffffjfiS5_IjLj3EEiiiiiiiiiiiliiliiiiil, .Lfunc_end84-_ZL15flash_attn_tileILi128ELi128ELi2ELi2ELb1EEvPKcS1_S1_S1_S1_PKiPfP15HIP_vector_typeIfLj2EEffffjfiS5_IjLj3EEiiiiiiiiiiiliiliiiiil
                                        ; -- End function
	.set _ZL15flash_attn_tileILi128ELi128ELi2ELi2ELb1EEvPKcS1_S1_S1_S1_PKiPfP15HIP_vector_typeIfLj2EEffffjfiS5_IjLj3EEiiiiiiiiiiiliiliiiiil.num_vgpr, 119
	.set _ZL15flash_attn_tileILi128ELi128ELi2ELi2ELb1EEvPKcS1_S1_S1_S1_PKiPfP15HIP_vector_typeIfLj2EEffffjfiS5_IjLj3EEiiiiiiiiiiiliiliiiiil.num_agpr, 0
	.set _ZL15flash_attn_tileILi128ELi128ELi2ELi2ELb1EEvPKcS1_S1_S1_S1_PKiPfP15HIP_vector_typeIfLj2EEffffjfiS5_IjLj3EEiiiiiiiiiiiliiliiiiil.numbered_sgpr, 40
	.set _ZL15flash_attn_tileILi128ELi128ELi2ELi2ELb1EEvPKcS1_S1_S1_S1_PKiPfP15HIP_vector_typeIfLj2EEffffjfiS5_IjLj3EEiiiiiiiiiiiliiliiiiil.num_named_barrier, 0
	.set _ZL15flash_attn_tileILi128ELi128ELi2ELi2ELb1EEvPKcS1_S1_S1_S1_PKiPfP15HIP_vector_typeIfLj2EEffffjfiS5_IjLj3EEiiiiiiiiiiiliiliiiiil.private_seg_size, 0
	.set _ZL15flash_attn_tileILi128ELi128ELi2ELi2ELb1EEvPKcS1_S1_S1_S1_PKiPfP15HIP_vector_typeIfLj2EEffffjfiS5_IjLj3EEiiiiiiiiiiiliiliiiiil.uses_vcc, 1
	.set _ZL15flash_attn_tileILi128ELi128ELi2ELi2ELb1EEvPKcS1_S1_S1_S1_PKiPfP15HIP_vector_typeIfLj2EEffffjfiS5_IjLj3EEiiiiiiiiiiiliiliiiiil.uses_flat_scratch, 0
	.set _ZL15flash_attn_tileILi128ELi128ELi2ELi2ELb1EEvPKcS1_S1_S1_S1_PKiPfP15HIP_vector_typeIfLj2EEffffjfiS5_IjLj3EEiiiiiiiiiiiliiliiiiil.has_dyn_sized_stack, 0
	.set _ZL15flash_attn_tileILi128ELi128ELi2ELi2ELb1EEvPKcS1_S1_S1_S1_PKiPfP15HIP_vector_typeIfLj2EEffffjfiS5_IjLj3EEiiiiiiiiiiiliiliiiiil.has_recursion, 0
	.set _ZL15flash_attn_tileILi128ELi128ELi2ELi2ELb1EEvPKcS1_S1_S1_S1_PKiPfP15HIP_vector_typeIfLj2EEffffjfiS5_IjLj3EEiiiiiiiiiiiliiliiiiil.has_indirect_call, 0
	.section	.AMDGPU.csdata,"",@progbits
; Kernel info:
; codeLenInByte = 8996
; TotalNumSgprs: 46
; NumVgprs: 119
; NumAgprs: 0
; TotalNumVgprs: 119
; ScratchSize: 0
; MemoryBound: 0
; FloatMode: 240
; IeeeMode: 1
; LDSByteSize: 18944 bytes/workgroup (compile time only)
; SGPRBlocks: 12
; VGPRBlocks: 14
; NumSGPRsForWavesPerEU: 102
; NumVGPRsForWavesPerEU: 119
; AccumOffset: 120
; Occupancy: 4
; WaveLimiterHint : 1
; COMPUTE_PGM_RSRC2:SCRATCH_EN: 0
; COMPUTE_PGM_RSRC2:USER_SGPR: 2
; COMPUTE_PGM_RSRC2:TRAP_HANDLER: 0
; COMPUTE_PGM_RSRC2:TGID_X_EN: 1
; COMPUTE_PGM_RSRC2:TGID_Y_EN: 1
; COMPUTE_PGM_RSRC2:TGID_Z_EN: 1
; COMPUTE_PGM_RSRC2:TIDIG_COMP_CNT: 1
; COMPUTE_PGM_RSRC3_GFX90A:ACCUM_OFFSET: 29
; COMPUTE_PGM_RSRC3_GFX90A:TG_SPLIT: 0
	.section	.text._ZL15flash_attn_tileILi128ELi128ELi1ELi2ELb1EEvPKcS1_S1_S1_S1_PKiPfP15HIP_vector_typeIfLj2EEffffjfiS5_IjLj3EEiiiiiiiiiiiliiliiiiil,"axG",@progbits,_ZL15flash_attn_tileILi128ELi128ELi1ELi2ELb1EEvPKcS1_S1_S1_S1_PKiPfP15HIP_vector_typeIfLj2EEffffjfiS5_IjLj3EEiiiiiiiiiiiliiliiiiil,comdat
	.globl	_ZL15flash_attn_tileILi128ELi128ELi1ELi2ELb1EEvPKcS1_S1_S1_S1_PKiPfP15HIP_vector_typeIfLj2EEffffjfiS5_IjLj3EEiiiiiiiiiiiliiliiiiil ; -- Begin function _ZL15flash_attn_tileILi128ELi128ELi1ELi2ELb1EEvPKcS1_S1_S1_S1_PKiPfP15HIP_vector_typeIfLj2EEffffjfiS5_IjLj3EEiiiiiiiiiiiliiliiiiil
	.p2align	8
	.type	_ZL15flash_attn_tileILi128ELi128ELi1ELi2ELb1EEvPKcS1_S1_S1_S1_PKiPfP15HIP_vector_typeIfLj2EEffffjfiS5_IjLj3EEiiiiiiiiiiiliiliiiiil,@function
_ZL15flash_attn_tileILi128ELi128ELi1ELi2ELb1EEvPKcS1_S1_S1_S1_PKiPfP15HIP_vector_typeIfLj2EEffffjfiS5_IjLj3EEiiiiiiiiiiiliiliiiiil: ; @_ZL15flash_attn_tileILi128ELi128ELi1ELi2ELb1EEvPKcS1_S1_S1_S1_PKiPfP15HIP_vector_typeIfLj2EEffffjfiS5_IjLj3EEiiiiiiiiiiiliiliiiiil
; %bb.0:
	s_load_dwordx4 s[20:23], s[0:1], 0x5c
	s_load_dwordx2 s[24:25], s[0:1], 0x80
	s_load_dwordx2 s[28:29], s[0:1], 0xb8
	s_mov_b64 s[26:27], 0
	s_waitcnt lgkmcnt(0)
	s_lshr_b32 s5, s23, 31
	s_add_i32 s5, s23, s5
	s_ashr_i32 s5, s5, 1
	v_cvt_f32_u32_e32 v1, s5
	s_sub_i32 s6, 0, s5
	v_rcp_iflag_f32_e32 v1, v1
	s_nop 0
	v_mul_f32_e32 v1, 0x4f7ffffe, v1
	v_cvt_u32_f32_e32 v1, v1
	s_nop 0
	v_readfirstlane_b32 s7, v1
	s_mul_i32 s6, s6, s7
	s_mul_hi_u32 s6, s7, s6
	s_add_i32 s7, s7, s6
	s_mul_hi_u32 s6, s4, s7
	s_mul_i32 s7, s6, s5
	s_sub_i32 s7, s4, s7
	s_add_i32 s8, s6, 1
	s_sub_i32 s9, s7, s5
	s_cmp_ge_u32 s7, s5
	s_cselect_b32 s6, s8, s6
	s_cselect_b32 s7, s9, s7
	s_add_i32 s8, s6, 1
	s_cmp_ge_u32 s7, s5
	s_cselect_b32 s30, s8, s6
	s_abs_i32 s5, s25
	v_cvt_f32_u32_e32 v1, s5
	s_sub_i32 s7, 0, s5
	s_abs_i32 s6, s23
	s_lshl_b32 s35, s4, 1
	v_rcp_iflag_f32_e32 v1, v1
	s_xor_b32 s4, s23, s25
	s_ashr_i32 s4, s4, 31
	s_mul_i32 s25, s30, s23
	v_mul_f32_e32 v1, 0x4f7ffffe, v1
	v_cvt_u32_f32_e32 v1, v1
	s_nop 0
	v_readfirstlane_b32 s8, v1
	s_mul_i32 s7, s7, s8
	s_mul_hi_u32 s7, s8, s7
	s_add_i32 s8, s8, s7
	s_mul_hi_u32 s7, s6, s8
	s_mul_i32 s8, s7, s5
	s_sub_i32 s6, s6, s8
	s_add_i32 s9, s7, 1
	s_sub_i32 s8, s6, s5
	s_cmp_ge_u32 s6, s5
	s_cselect_b32 s7, s9, s7
	s_cselect_b32 s6, s8, s6
	s_add_i32 s8, s7, 1
	s_cmp_ge_u32 s6, s5
	s_cselect_b32 s5, s8, s7
	s_xor_b32 s5, s5, s4
	s_sub_i32 s33, s5, s4
	s_abs_i32 s31, s33
	v_cvt_f32_u32_e32 v1, s31
	s_load_dwordx16 s[4:19], s[0:1], 0x0
	v_rcp_iflag_f32_e32 v1, v1
	s_waitcnt lgkmcnt(0)
	s_cmp_eq_u64 s[10:11], 0
	v_mul_f32_e32 v1, 0x4f7ffffe, v1
	v_cvt_u32_f32_e32 v1, v1
	s_nop 0
	v_readfirstlane_b32 s34, v1
	s_cbranch_scc1 .LBB85_2
; %bb.1:
	s_abs_i32 s28, s28
	v_cvt_f32_u32_e32 v1, s28
	s_sub_i32 s38, 0, s28
	s_abs_i32 s37, s30
	s_ashr_i32 s36, s30, 31
	v_rcp_iflag_f32_e32 v1, v1
	s_load_dwordx2 s[26:27], s[0:1], 0xc8
	v_mul_f32_e32 v1, 0x4f7ffffe, v1
	v_cvt_u32_f32_e32 v1, v1
	s_nop 0
	v_readfirstlane_b32 s39, v1
	s_mul_i32 s38, s38, s39
	s_mul_hi_u32 s38, s39, s38
	s_add_i32 s39, s39, s38
	s_mul_hi_u32 s38, s37, s39
	s_mul_i32 s38, s38, s28
	s_sub_i32 s37, s37, s38
	s_sub_i32 s38, s37, s28
	s_cmp_ge_u32 s37, s28
	s_cselect_b32 s37, s38, s37
	s_sub_i32 s38, s37, s28
	s_cmp_ge_u32 s37, s28
	s_cselect_b32 s28, s38, s37
	s_xor_b32 s28, s28, s36
	s_sub_i32 s28, s28, s36
	s_ashr_i32 s36, s28, 31
	s_waitcnt lgkmcnt(0)
	s_mul_hi_u32 s37, s26, s28
	s_mul_i32 s36, s26, s36
	s_mul_i32 s27, s27, s28
	s_add_i32 s36, s37, s36
	s_add_i32 s36, s36, s27
	s_mul_i32 s26, s26, s28
	s_add_u32 s26, s10, s26
	s_addc_u32 s27, s11, s36
.LBB85_2:
	v_bfe_u32 v30, v0, 10, 10
	v_lshlrev_b32_e32 v1, 7, v30
	v_and_b32_e32 v26, 0x3ff, v0
	v_and_b32_e32 v1, 0x180, v1
	v_lshlrev_b32_e32 v27, 2, v26
	v_add_u32_e32 v2, v1, v27
	s_movk_i32 s10, 0x80
	s_sub_i32 s25, s35, s25
	v_cmp_gt_u32_e32 vcc, s10, v2
	v_bfe_u32 v25, v0, 10, 2
	v_lshlrev_b32_e32 v31, 3, v26
	v_bfe_u32 v29, v30, 2, 1
	v_lshrrev_b32_e32 v28, 3, v30
	s_and_saveexec_b64 s[10:11], vcc
	s_cbranch_execz .LBB85_4
; %bb.3:
	s_load_dwordx4 s[36:39], s[0:1], 0x70
	v_add_u32_e32 v0, s2, v28
	v_mul_hi_u32 v4, s20, v0
	v_add_u32_e32 v4, v0, v4
	v_lshrrev_b32_e32 v4, s21, v4
	s_waitcnt lgkmcnt(0)
	s_mul_i32 s28, s30, s38
	s_ashr_i32 s39, s28, 31
	s_mul_i32 s35, s25, s37
	s_add_u32 s4, s4, s28
	s_addc_u32 s5, s5, s39
	s_ashr_i32 s28, s35, 31
	s_add_u32 s4, s4, s35
	s_mov_b32 s38, s37
	s_addc_u32 s5, s5, s28
	s_ashr_i32 s39, s37, 31
	s_lshr_b64 s[40:41], s[38:39], 2
	s_lshr_b32 s28, s39, 2
	v_mul_lo_u32 v3, s28, v29
	v_mul_lo_u32 v2, s40, v29
	s_ashr_i32 s37, s36, 31
	v_mul_lo_u32 v4, v4, s22
	v_lshl_add_u64 v[2:3], v[2:3], 2, s[4:5]
	s_lshr_b64 s[4:5], s[36:37], 2
	v_sub_u32_e32 v6, v0, v4
	v_mad_u64_u32 v[4:5], s[4:5], s4, v6, 0
	v_mov_b32_e32 v0, v5
	s_lshr_b32 s4, s37, 2
	v_mad_u64_u32 v[6:7], s[4:5], s4, v6, v[0:1]
	v_mov_b32_e32 v5, v6
	v_lshl_add_u64 v[2:3], v[4:5], 2, v[2:3]
	v_lshlrev_b32_e32 v0, 2, v1
	v_mov_b32_e32 v1, 0
	v_lshl_add_u64 v[2:3], v[2:3], 0, v[0:1]
	v_lshlrev_b32_e32 v0, 2, v27
	v_lshl_add_u64 v[0:1], v[2:3], 0, v[0:1]
	global_load_dwordx4 v[0:3], v[0:1], off
	s_load_dword s4, s[0:1], 0x40
	v_lshrrev_b32_e32 v4, 2, v30
	v_add_u32_e32 v4, v4, v25
	v_lshl_add_u32 v4, v4, 8, v31
	s_waitcnt vmcnt(0) lgkmcnt(0)
	v_fma_mixlo_f16 v5, s4, v0, 0
	v_mov_b32_e32 v0, v3
	v_pk_mul_f32 v[0:1], s[4:5], v[0:1] op_sel_hi:[0,1]
	v_cvt_pk_f16_f32 v0, v0, v1
	v_fma_mixlo_f16 v2, s4, v2, 0
	v_and_b32_e32 v3, 0xffff, v5
	v_lshlrev_b32_e32 v1, 16, v0
	v_and_b32_e32 v0, 0xffff0000, v0
	v_and_b32_e32 v2, 0xffff, v2
	v_or_b32_e32 v0, v0, v3
	v_or3_b32 v1, v1, v2, 0
	v_or3_b32 v0, 0, 0, v0
	ds_write_b64 v4, v[0:1] offset:18944
.LBB85_4:
	s_or_b64 exec, exec, s[10:11]
	s_cmp_eq_u64 s[14:15], 0
	s_waitcnt lgkmcnt(0)
	s_barrier
	s_cbranch_scc1 .LBB85_6
; %bb.5:
	s_load_dword s4, s[0:1], 0xd0
	s_mov_b32 s5, 0
	s_waitcnt lgkmcnt(0)
	s_mul_i32 s4, s4, s30
	s_add_i32 s4, s4, s2
	s_lshl_b64 s[4:5], s[4:5], 2
	s_add_u32 s4, s14, s4
	s_addc_u32 s5, s15, s5
	s_load_dword s24, s[4:5], 0x0
.LBB85_6:
	s_lshl_b32 s10, s3, 7
	s_waitcnt lgkmcnt(0)
	s_cmp_lt_i32 s10, s24
	v_mbcnt_lo_u32_b32 v0, -1, 0
	s_cbranch_scc1 .LBB85_13
; %bb.7:
	v_mbcnt_hi_u32_b32 v13, -1, v0
	v_and_b32_e32 v1, 0x60, v13
	v_add_u32_e32 v52, 32, v1
	v_xor_b32_e32 v53, 16, v13
	v_xor_b32_e32 v54, 8, v13
	;; [unrolled: 1-line block ×5, first 2 shown]
	v_lshlrev_b32_e32 v32, 2, v30
	v_cmp_eq_u32_e64 s[4:5], 0, v26
	s_cbranch_execz .LBB85_14
; %bb.8:
	v_mov_b32_e32 v1, 0
	v_mov_b32_e32 v41, 0
	;; [unrolled: 1-line block ×4, first 2 shown]
.LBB85_9:
	v_cmp_lt_i32_e32 vcc, v53, v52
	v_cmp_ne_u32_e64 s[4:5], 0, v25
	s_nop 0
	v_cndmask_b32_e32 v2, v13, v53, vcc
	v_lshlrev_b32_e32 v2, 2, v2
	ds_bpermute_b32 v2, v2, v41
	v_cmp_lt_i32_e32 vcc, v54, v52
	s_waitcnt lgkmcnt(0)
	v_add_f32_e32 v2, v41, v2
	v_cndmask_b32_e32 v3, v13, v54, vcc
	v_lshlrev_b32_e32 v3, 2, v3
	ds_bpermute_b32 v3, v3, v2
	v_cmp_lt_i32_e32 vcc, v55, v52
	s_waitcnt lgkmcnt(0)
	v_add_f32_e32 v2, v2, v3
	;; [unrolled: 6-line block ×4, first 2 shown]
	v_cndmask_b32_e32 v4, v13, v57, vcc
	v_lshlrev_b32_e32 v4, 2, v4
	ds_bpermute_b32 v3, v4, v2
	v_cmp_eq_u32_e32 vcc, 0, v25
	s_waitcnt lgkmcnt(0)
	v_add_f32_e32 v25, v2, v3
	v_lshl_add_u32 v2, v30, 8, v31
	s_and_saveexec_b64 s[6:7], s[4:5]
	s_xor_b64 s[6:7], exec, s[6:7]
	s_cbranch_execnz .LBB85_23
; %bb.10:
	s_andn2_saveexec_b64 s[4:5], s[6:7]
	s_cbranch_execnz .LBB85_26
.LBB85_11:
	s_or_b64 exec, exec, s[4:5]
	s_and_saveexec_b64 s[4:5], vcc
	s_cbranch_execnz .LBB85_27
.LBB85_12:
	s_endpgm
.LBB85_13:
                                        ; implicit-def: $vgpr13
                                        ; implicit-def: $vgpr52
                                        ; implicit-def: $vgpr53
                                        ; implicit-def: $vgpr54
                                        ; implicit-def: $vgpr55
                                        ; implicit-def: $vgpr56
                                        ; implicit-def: $vgpr57
	v_lshlrev_b32_e32 v32, 2, v30
	v_cmp_eq_u32_e64 s[4:5], 0, v26
.LBB85_14:
	s_sub_i32 s11, 0, s31
	s_mul_i32 s11, s11, s34
	s_mul_hi_u32 s11, s34, s11
	s_abs_i32 s28, s25
	s_add_i32 s34, s34, s11
	s_mul_hi_u32 s42, s28, s34
	s_load_dwordx4 s[36:39], s[0:1], 0x98
	s_load_dword s11, s[0:1], 0x54
	s_load_dwordx2 s[34:35], s[0:1], 0x8c
	s_ashr_i32 s43, s25, 31
	s_ashr_i32 s33, s33, 31
	s_waitcnt lgkmcnt(0)
	s_ashr_i32 s14, s38, 2
	s_ashr_i32 s38, s29, 1
	;; [unrolled: 1-line block ×4, first 2 shown]
	s_mul_hi_u32 s29, s36, s30
	s_mul_i32 s44, s36, s34
	s_add_i32 s29, s29, s44
	s_mul_i32 s37, s37, s30
	s_add_i32 s29, s29, s37
	s_mul_i32 s36, s36, s30
	s_add_u32 s6, s6, s36
	s_addc_u32 s7, s7, s29
	s_xor_b32 s29, s43, s33
	s_mul_i32 s33, s42, s31
	s_sub_i32 s28, s28, s33
	s_add_i32 s33, s42, 1
	s_sub_i32 s36, s28, s31
	s_cmp_ge_u32 s28, s31
	s_cselect_b32 s33, s33, s42
	s_cselect_b32 s28, s36, s28
	s_add_i32 s36, s33, 1
	s_cmp_ge_u32 s28, s31
	s_cselect_b32 s28, s36, s33
	s_load_dwordx2 s[40:41], s[0:1], 0xa8
	s_xor_b32 s28, s28, s29
	s_sub_i32 s31, s28, s29
	s_mul_i32 s28, s31, s35
	s_ashr_i32 s29, s28, 31
	s_add_u32 s28, s6, s28
	s_addc_u32 s29, s7, s29
	s_waitcnt lgkmcnt(0)
	s_mul_hi_u32 s6, s40, s30
	s_mul_i32 s7, s40, s34
	s_add_i32 s6, s6, s7
	s_mul_i32 s7, s41, s30
	s_add_i32 s6, s6, s7
	s_mul_i32 s7, s40, s30
	s_add_u32 s7, s8, s7
	s_mul_i32 s31, s31, s39
	v_lshlrev_b32_e32 v13, 6, v30
	s_addc_u32 s6, s9, s6
	s_ashr_i32 s8, s31, 31
	v_and_b32_e32 v14, 0xff00, v13
	v_add_u32_e32 v13, s2, v28
	s_add_u32 s31, s7, s31
	v_lshrrev_b32_e32 v1, 3, v26
	v_and_b32_e32 v2, 28, v27
	v_mul_hi_u32 v15, s20, v13
	s_addc_u32 s33, s6, s8
	v_add_u32_e32 v1, v1, v32
	v_lshlrev_b32_e32 v4, 2, v2
	s_movk_i32 s6, 0x90
	v_add_u32_e32 v15, v13, v15
	v_mad_u32_u24 v33, v1, s6, v4
	v_mul_lo_u32 v4, s15, v1
	s_lshl_b32 s6, s15, 5
	v_lshlrev_b32_e32 v1, 5, v30
	v_lshrrev_b32_e32 v15, s21, v15
	v_add_u32_e32 v6, s6, v4
	v_and_b32_e32 v1, 0x60, v1
	v_mul_lo_u32 v15, v15, s22
	v_add_u32_e32 v8, s6, v6
	v_add_u32_e32 v12, v1, v26
	v_sub_u32_e32 v13, v13, v15
	v_add_u32_e32 v10, s6, v8
	v_mul_u32_u24_e32 v37, 0x90, v12
	v_mad_u64_u32 v[12:13], s[6:7], v13, s38, v[12:13]
	v_and_b32_e32 v13, 3, v26
	s_movk_i32 s6, 0x3fc
	v_and_or_b32 v13, v30, s6, v13
	v_mov_b32_e32 v15, 0x4c00
	v_lshl_add_u32 v40, v13, 2, v15
	v_add_u32_e32 v13, 0x4800, v14
	v_lshl_or_b32 v1, v1, 1, v13
	v_lshl_add_u32 v42, v26, 1, v1
	v_lshrrev_b32_e32 v1, 4, v26
	v_lshl_add_u32 v1, v30, 1, v1
	v_mul_lo_u32 v16, s14, v1
	s_lshl_b32 s6, s14, 4
	v_add_u32_e32 v20, s6, v16
	v_and_b32_e32 v18, 60, v27
	v_add_u32_e32 v22, s6, v20
	v_add_u32_e32 v38, 0x4a00, v14
	v_lshlrev_b32_e32 v14, 2, v18
	v_add_u32_e32 v52, s6, v22
	v_mov_b32_e32 v3, 0
	v_lshl_or_b32 v43, v1, 8, v14
	v_ashrrev_i32_e32 v17, 31, v16
	v_ashrrev_i32_e32 v21, 31, v20
	;; [unrolled: 1-line block ×4, first 2 shown]
	v_lshlrev_b32_e32 v1, 8, v25
	s_add_u32 s6, s0, 0xd0
	v_lshlrev_b32_e32 v14, 2, v2
                                        ; implicit-def: $vgpr2
                                        ; implicit-def: $vgpr2
	;; [unrolled: 1-line block ×3, first 2 shown]
	v_ashrrev_i32_e32 v5, 31, v4
	v_add_u32_e32 v34, 0x1200, v33
	v_ashrrev_i32_e32 v7, 31, v6
	v_add_u32_e32 v35, 0x2400, v33
	;; [unrolled: 2-line block ×4, first 2 shown]
	v_add_u32_e32 v44, 0x1000, v43
	v_add_u32_e32 v45, 0x2000, v43
	;; [unrolled: 1-line block ×3, first 2 shown]
	v_lshl_or_b32 v47, v25, 1, v13
	s_addc_u32 s7, s1, 0
	v_mov_b32_e32 v51, 0xfeffffff
	v_mov_b32_e32 v15, v3
	s_mov_b32 s20, 0x3f200000
	s_mov_b32 s21, 0x3fb8aa3b
	;; [unrolled: 1-line block ×4, first 2 shown]
	v_mov_b32_e32 v48, 0x3ca908c9
	v_mbcnt_hi_u32_b32 v13, -1, v0
	s_brev_b32 s36, -2
	v_lshlrev_b64 v[16:17], 2, v[16:17]
	v_lshlrev_b32_e32 v2, 2, v18
	v_lshlrev_b64 v[18:19], 2, v[20:21]
	v_lshlrev_b64 v[20:21], 2, v[22:23]
	;; [unrolled: 1-line block ×3, first 2 shown]
	v_add_u32_e32 v49, v31, v1
	v_mov_b32_e32 v50, 0x7f800000
	v_mov_b32_e32 v0, v3
	;; [unrolled: 1-line block ×4, first 2 shown]
.LBB85_15:                              ; =>This Inner Loop Header: Depth=1
	s_mul_hi_i32 s9, s10, s15
	s_mul_i32 s8, s10, s15
	s_lshl_b64 s[8:9], s[8:9], 2
	s_add_u32 s8, s28, s8
	s_addc_u32 s9, s29, s9
	v_lshl_add_u64 v[52:53], v[4:5], 2, s[8:9]
	v_lshl_add_u64 v[60:61], v[8:9], 2, s[8:9]
	;; [unrolled: 1-line block ×7, first 2 shown]
	global_load_dwordx4 v[52:55], v[68:69], off
	global_load_dwordx4 v[56:59], v[70:71], off
	v_lshl_add_u64 v[74:75], v[60:61], 0, v[14:15]
	global_load_dwordx4 v[60:63], v[72:73], off
	global_load_dwordx4 v[64:67], v[74:75], off
	v_mov_b32_e32 v24, 0
	s_waitcnt vmcnt(3)
	ds_write_b128 v33, v[52:55]
	s_waitcnt vmcnt(2)
	ds_write_b128 v34, v[56:59]
	;; [unrolled: 2-line block ×4, first 2 shown]
	s_waitcnt lgkmcnt(0)
	s_barrier
	ds_read_b128 v[52:55], v37
	ds_read_b128 v[56:59], v38
	s_waitcnt lgkmcnt(0)
	;;#ASMSTART
	v_dot2_f32_f16 v24, v52, v56, v24
	;;#ASMEND
	s_nop 0
	;;#ASMSTART
	v_dot2_f32_f16 v24, v53, v57, v24
	;;#ASMEND
	s_nop 0
	;;#ASMSTART
	v_dot2_f32_f16 v24, v54, v58, v24
	;;#ASMEND
	s_nop 0
	;;#ASMSTART
	v_dot2_f32_f16 v24, v55, v59, v24
	;;#ASMEND
	ds_read_b128 v[52:55], v37 offset:16
	ds_read_b128 v[56:59], v38 offset:16
	s_waitcnt lgkmcnt(0)
	;;#ASMSTART
	v_dot2_f32_f16 v24, v52, v56, v24
	;;#ASMEND
	s_nop 0
	;;#ASMSTART
	v_dot2_f32_f16 v24, v53, v57, v24
	;;#ASMEND
	s_nop 0
	;;#ASMSTART
	v_dot2_f32_f16 v24, v54, v58, v24
	;;#ASMEND
	s_nop 0
	;;#ASMSTART
	v_dot2_f32_f16 v24, v55, v59, v24
	;;#ASMEND
	ds_read_b128 v[52:55], v37 offset:32
	ds_read_b128 v[56:59], v38 offset:32
	;; [unrolled: 18-line block ×7, first 2 shown]
	s_waitcnt lgkmcnt(0)
	;;#ASMSTART
	v_dot2_f32_f16 v24, v52, v56, v24
	;;#ASMEND
	s_nop 0
	;;#ASMSTART
	v_dot2_f32_f16 v24, v53, v57, v24
	;;#ASMEND
	s_nop 0
	;; [unrolled: 4-line block ×3, first 2 shown]
	;;#ASMSTART
	v_dot2_f32_f16 v24, v55, v59, v24
	;;#ASMEND
	s_barrier
	global_load_dwordx4 v[52:55], v[68:69], off offset:128
	global_load_dwordx4 v[56:59], v[70:71], off offset:128
	;; [unrolled: 1-line block ×4, first 2 shown]
	s_waitcnt vmcnt(3)
	ds_write_b128 v33, v[52:55]
	s_waitcnt vmcnt(2)
	ds_write_b128 v34, v[56:59]
	;; [unrolled: 2-line block ×4, first 2 shown]
	s_waitcnt lgkmcnt(0)
	s_barrier
	ds_read_b128 v[52:55], v37
	ds_read_b128 v[56:59], v38 offset:128
	s_waitcnt lgkmcnt(0)
	;;#ASMSTART
	v_dot2_f32_f16 v24, v52, v56, v24
	;;#ASMEND
	s_nop 0
	;;#ASMSTART
	v_dot2_f32_f16 v24, v53, v57, v24
	;;#ASMEND
	v_add_u32_e32 v60, s10, v12
	;;#ASMSTART
	v_dot2_f32_f16 v24, v54, v58, v24
	;;#ASMEND
	v_ashrrev_i32_e32 v61, 31, v60
	;;#ASMSTART
	v_dot2_f32_f16 v24, v55, v59, v24
	;;#ASMEND
	ds_read_b128 v[52:55], v37 offset:16
	ds_read_b128 v[56:59], v38 offset:144
	s_waitcnt lgkmcnt(0)
	;;#ASMSTART
	v_dot2_f32_f16 v24, v52, v56, v24
	;;#ASMEND
	s_nop 0
	;;#ASMSTART
	v_dot2_f32_f16 v24, v53, v57, v24
	;;#ASMEND
	v_lshl_add_u64 v[60:61], v[60:61], 1, s[26:27]
	;;#ASMSTART
	v_dot2_f32_f16 v24, v54, v58, v24
	;;#ASMEND
	s_nop 0
	;;#ASMSTART
	v_dot2_f32_f16 v24, v55, v59, v24
	;;#ASMEND
	ds_read_b128 v[52:55], v37 offset:32
	ds_read_b128 v[56:59], v38 offset:160
	s_waitcnt lgkmcnt(0)
	;;#ASMSTART
	v_dot2_f32_f16 v24, v52, v56, v24
	;;#ASMEND
	s_nop 0
	;;#ASMSTART
	v_dot2_f32_f16 v24, v53, v57, v24
	;;#ASMEND
	s_nop 0
	;;#ASMSTART
	v_dot2_f32_f16 v24, v54, v58, v24
	;;#ASMEND
	s_nop 0
	;;#ASMSTART
	v_dot2_f32_f16 v24, v55, v59, v24
	;;#ASMEND
	ds_read_b128 v[52:55], v37 offset:48
	ds_read_b128 v[56:59], v38 offset:176
	s_waitcnt lgkmcnt(0)
	;;#ASMSTART
	v_dot2_f32_f16 v24, v52, v56, v24
	;;#ASMEND
	s_nop 0
	;;#ASMSTART
	v_dot2_f32_f16 v24, v53, v57, v24
	;;#ASMEND
	s_nop 0
	;; [unrolled: 18-line block ×6, first 2 shown]
	;;#ASMSTART
	v_dot2_f32_f16 v24, v54, v58, v24
	;;#ASMEND
	s_nop 0
	;;#ASMSTART
	v_dot2_f32_f16 v24, v55, v59, v24
	;;#ASMEND
	global_load_ushort v54, v[60:61], off
	v_cmp_nlt_f32_e64 s[8:9], |v24|, s20
                                        ; implicit-def: $vgpr55
	s_and_saveexec_b64 s[38:39], s[8:9]
	s_xor_b64 s[8:9], exec, s[38:39]
	s_cbranch_execz .LBB85_17
; %bb.16:                               ;   in Loop: Header=BB85_15 Depth=1
	v_add_f32_e64 v52, |v24|, |v24|
	v_mul_f32_e32 v53, 0x3fb8aa3b, v52
	v_rndne_f32_e32 v55, v53
	v_sub_f32_e32 v56, v53, v55
	v_fma_f32 v53, v52, s21, -v53
	v_fmac_f32_e32 v53, 0x32a5705f, v52
	v_add_f32_e32 v53, v56, v53
	v_cvt_i32_f32_e32 v55, v55
	v_exp_f32_e32 v53, v53
	v_cmp_ngt_f32_e32 vcc, s34, v52
	v_ldexp_f32 v53, v53, v55
	s_nop 0
	v_cndmask_b32_e32 v53, 0, v53, vcc
	v_cmp_nlt_f32_e32 vcc, s35, v52
	s_nop 1
	v_cndmask_b32_e32 v52, v50, v53, vcc
	v_add_f32_e32 v52, 1.0, v52
	v_rcp_f32_e32 v52, v52
	s_nop 0
	v_fma_f32 v55, v52, -2.0, 1.0
.LBB85_17:                              ;   in Loop: Header=BB85_15 Depth=1
	s_andn2_saveexec_b64 s[8:9], s[8:9]
; %bb.18:                               ;   in Loop: Header=BB85_15 Depth=1
	v_mul_f32_e32 v52, v24, v24
	v_fmamk_f32 v53, v52, 0xbbbac73d, v48
	v_fmaak_f32 v53, v52, v53, 0xbd5c1c4e
	v_fmaak_f32 v53, v52, v53, 0x3e088382
	v_fmaak_f32 v53, v52, v53, 0xbeaaaa99
	v_mul_f32_e64 v53, |v24|, v53
	v_fma_f32 v55, v52, v53, |v24|
; %bb.19:                               ;   in Loop: Header=BB85_15 Depth=1
	s_or_b64 exec, exec, s[8:9]
	v_and_b32_e32 v52, 0x60, v13
	v_add_u32_e32 v52, 32, v52
	v_xor_b32_e32 v53, 16, v13
	v_bfi_b32 v24, s36, v55, v24
	v_cmp_lt_i32_e32 vcc, v53, v52
	s_waitcnt vmcnt(0)
	v_fma_mix_f32 v58, s11, v24, v54 op_sel_hi:[0,0,1]
	v_add_f32_e32 v24, 0x40051340, v58
	v_cndmask_b32_e32 v56, v13, v53, vcc
	v_max_f32_e32 v54, v51, v51
	v_lshlrev_b32_e32 v56, 2, v56
	v_max_f32_e32 v24, v54, v24
	ds_bpermute_b32 v55, v56, v24
	v_xor_b32_e32 v54, 8, v13
	v_cmp_lt_i32_e32 vcc, v54, v52
	s_waitcnt lgkmcnt(0)
	v_max_f32_e32 v55, v55, v55
	v_cndmask_b32_e32 v56, v13, v54, vcc
	v_lshlrev_b32_e32 v56, 2, v56
	v_max_f32_e32 v24, v24, v55
	ds_bpermute_b32 v56, v56, v24
	v_xor_b32_e32 v55, 4, v13
	v_cmp_lt_i32_e32 vcc, v55, v52
	s_waitcnt lgkmcnt(0)
	v_max_f32_e32 v56, v56, v56
	v_cndmask_b32_e32 v57, v13, v55, vcc
	;; [unrolled: 8-line block ×4, first 2 shown]
	v_lshlrev_b32_e32 v60, 2, v60
	v_max_f32_e32 v24, v24, v59
	ds_bpermute_b32 v59, v60, v24
	s_and_saveexec_b64 s[8:9], s[4:5]
	s_cbranch_execz .LBB85_21
; %bb.20:                               ;   in Loop: Header=BB85_15 Depth=1
	s_waitcnt lgkmcnt(0)
	v_max_f32_e32 v59, v59, v59
	v_max_f32_e32 v24, v24, v24
	;; [unrolled: 1-line block ×3, first 2 shown]
	ds_write_b32 v39, v24
.LBB85_21:                              ;   in Loop: Header=BB85_15 Depth=1
	s_or_b64 exec, exec, s[8:9]
	s_mul_hi_i32 s9, s10, s14
	s_mul_i32 s8, s10, s14
	s_lshl_b64 s[8:9], s[8:9], 2
	s_add_u32 s8, s31, s8
	s_addc_u32 s9, s33, s9
	v_lshl_add_u64 v[60:61], s[8:9], 0, v[16:17]
	v_lshl_add_u64 v[68:69], v[60:61], 0, v[2:3]
	;; [unrolled: 1-line block ×3, first 2 shown]
	s_waitcnt lgkmcnt(0)
	s_barrier
	v_lshl_add_u64 v[70:71], v[60:61], 0, v[2:3]
	global_load_dwordx4 v[60:63], v[68:69], off
	global_load_dwordx4 v[64:67], v[70:71], off
	v_lshl_add_u64 v[68:69], s[8:9], 0, v[20:21]
	v_lshl_add_u64 v[76:77], v[68:69], 0, v[2:3]
	;; [unrolled: 1-line block ×4, first 2 shown]
	global_load_dwordx4 v[68:71], v[76:77], off
	global_load_dwordx4 v[72:75], v[78:79], off
	ds_read_b32 v24, v40
	v_and_b32_e32 v59, 0x7c, v13
	v_add_u32_e32 v59, 4, v59
	v_cmp_lt_i32_e32 vcc, v56, v59
	s_or_b32 s8, s10, 64
	s_mul_hi_i32 s9, s8, s14
	v_cndmask_b32_e32 v76, v13, v56, vcc
	v_lshlrev_b32_e32 v76, 2, v76
	s_waitcnt lgkmcnt(0)
	ds_bpermute_b32 v76, v76, v24
	v_cmp_lt_i32_e32 vcc, v57, v59
	v_max_f32_e32 v24, v24, v24
	s_mul_i32 s8, s8, s14
	v_cndmask_b32_e32 v59, v13, v57, vcc
	s_waitcnt lgkmcnt(0)
	v_max_f32_e32 v76, v76, v76
	v_lshlrev_b32_e32 v59, 2, v59
	v_max_f32_e32 v24, v24, v76
	ds_bpermute_b32 v59, v59, v24
	s_lshl_b64 s[8:9], s[8:9], 2
	s_add_u32 s8, s31, s8
	s_addc_u32 s9, s33, s9
	v_lshl_add_u64 v[90:91], s[8:9], 0, v[16:17]
	s_waitcnt lgkmcnt(0)
	v_max_f32_e32 v59, v59, v59
	v_max_f32_e32 v24, v24, v59
	v_sub_f32_e32 v58, v58, v24
	v_mul_f32_e32 v59, 0x3fb8aa3b, v58
	v_fma_f32 v76, v58, s21, -v59
	v_rndne_f32_e32 v77, v59
	v_fmac_f32_e32 v76, 0x32a5705f, v58
	v_sub_f32_e32 v59, v59, v77
	v_add_f32_e32 v59, v59, v76
	v_cvt_i32_f32_e32 v77, v77
	v_exp_f32_e32 v59, v59
	v_cmp_ngt_f32_e32 vcc, s34, v58
	v_lshl_add_u64 v[98:99], v[90:91], 0, v[2:3]
	v_lshl_add_u64 v[90:91], s[8:9], 0, v[18:19]
	v_ldexp_f32 v59, v59, v77
	v_cndmask_b32_e32 v59, 0, v59, vcc
	v_cmp_nlt_f32_e32 vcc, s35, v58
	v_lshl_add_u64 v[100:101], v[90:91], 0, v[2:3]
	v_sub_f32_e32 v51, v51, v24
	v_cndmask_b32_e32 v110, v50, v59, vcc
	v_cvt_f16_f32_e32 v58, v110
	v_cmp_ngt_f32_e32 vcc, s34, v51
	ds_write_b16 v42, v58
	s_waitcnt vmcnt(3)
	ds_write_b128 v43, v[60:63]
	s_waitcnt vmcnt(2)
	ds_write_b128 v44, v[64:67]
	;; [unrolled: 2-line block ×4, first 2 shown]
	s_waitcnt lgkmcnt(0)
	s_barrier
	ds_read2st64_b64 v[58:61], v49 offset1:2
	ds_read_u16 v111, v47
	ds_read_u16 v112, v47 offset:8
	ds_read_u16 v113, v47 offset:16
	;; [unrolled: 1-line block ×7, first 2 shown]
	ds_read2st64_b64 v[62:65], v49 offset0:4 offset1:6
	ds_read2st64_b64 v[66:69], v49 offset0:8 offset1:10
	;; [unrolled: 1-line block ×7, first 2 shown]
	ds_read_u16 v119, v47 offset:64
	ds_read_u16 v120, v47 offset:72
	;; [unrolled: 1-line block ×8, first 2 shown]
	s_waitcnt lgkmcnt(0)
	s_barrier
	global_load_dwordx4 v[90:93], v[98:99], off
	global_load_dwordx4 v[94:97], v[100:101], off
	v_lshl_add_u64 v[98:99], s[8:9], 0, v[20:21]
	v_lshl_add_u64 v[106:107], v[98:99], 0, v[2:3]
	;; [unrolled: 1-line block ×4, first 2 shown]
	global_load_dwordx4 v[98:101], v[106:107], off
	global_load_dwordx4 v[102:105], v[108:109], off
	v_mul_f32_e32 v106, 0x3fb8aa3b, v51
	v_fma_f32 v107, v51, s21, -v106
	v_rndne_f32_e32 v108, v106
	v_fmac_f32_e32 v107, 0x32a5705f, v51
	v_sub_f32_e32 v106, v106, v108
	v_add_f32_e32 v106, v106, v107
	v_cvt_i32_f32_e32 v108, v108
	v_exp_f32_e32 v106, v106
	v_mul_u32_u24_e32 v107, 0x10001, v111
	v_pk_mul_f16 v58, v58, v107
	v_pk_mul_f16 v59, v59, v107
	v_ldexp_f32 v106, v106, v108
	v_cndmask_b32_e32 v106, 0, v106, vcc
	v_cmp_nlt_f32_e32 vcc, s35, v51
	v_mul_u32_u24_e32 v108, 0x10001, v112
	v_mul_u32_u24_e32 v109, 0x10001, v113
	v_cndmask_b32_e32 v51, v50, v106, vcc
	v_cvt_f16_f32_e32 v106, v51
	v_fma_f32 v41, v41, v51, v110
	v_mul_u32_u24_e32 v51, 0x10001, v117
	s_waitcnt vmcnt(3)
	ds_write_b128 v43, v[90:93]
	s_waitcnt vmcnt(2)
	ds_write_b128 v44, v[94:97]
	;; [unrolled: 2-line block ×4, first 2 shown]
	v_mul_u32_u24_e32 v106, 0x10001, v106
	v_pk_fma_f16 v0, v0, v106, v58
	v_pk_fma_f16 v1, v1, v106, v59
	;; [unrolled: 1-line block ×6, first 2 shown]
	v_mul_u32_u24_e32 v58, 0x10001, v114
	v_pk_fma_f16 v0, v64, v58, v0
	v_pk_fma_f16 v1, v65, v58, v1
	v_mul_u32_u24_e32 v58, 0x10001, v115
	v_pk_fma_f16 v0, v66, v58, v0
	v_pk_fma_f16 v1, v67, v58, v1
	v_mul_u32_u24_e32 v58, 0x10001, v116
	v_pk_fma_f16 v0, v68, v58, v0
	v_pk_fma_f16 v1, v69, v58, v1
	v_pk_fma_f16 v0, v70, v51, v0
	v_pk_fma_f16 v1, v71, v51, v1
	v_mul_u32_u24_e32 v51, 0x10001, v118
	v_pk_fma_f16 v0, v72, v51, v0
	v_pk_fma_f16 v1, v73, v51, v1
	v_mul_u32_u24_e32 v51, 0x10001, v119
	;; [unrolled: 3-line block ×9, first 2 shown]
	v_pk_fma_f16 v0, v88, v51, v0
	v_pk_fma_f16 v1, v89, v51, v1
	s_waitcnt lgkmcnt(0)
	s_barrier
	ds_read2st64_b64 v[58:61], v49 offset1:2
	ds_read_u16 v51, v47 offset:128
	ds_read_u16 v66, v47 offset:136
	;; [unrolled: 1-line block ×8, first 2 shown]
	ds_read2st64_b64 v[62:65], v49 offset0:4 offset1:6
	s_waitcnt lgkmcnt(8)
	v_mul_u32_u24_e32 v51, 0x10001, v51
	v_pk_fma_f16 v0, v58, v51, v0
	v_pk_fma_f16 v1, v59, v51, v1
	s_waitcnt lgkmcnt(7)
	v_mul_u32_u24_e32 v51, 0x10001, v66
	v_pk_fma_f16 v0, v60, v51, v0
	v_pk_fma_f16 v1, v61, v51, v1
	s_waitcnt lgkmcnt(6)
	v_mul_u32_u24_e32 v51, 0x10001, v67
	ds_read2st64_b64 v[58:61], v49 offset0:8 offset1:10
	s_waitcnt lgkmcnt(1)
	v_pk_fma_f16 v0, v62, v51, v0
	v_pk_fma_f16 v1, v63, v51, v1
	v_mul_u32_u24_e32 v51, 0x10001, v68
	v_pk_fma_f16 v0, v64, v51, v0
	v_pk_fma_f16 v1, v65, v51, v1
	ds_read2st64_b64 v[62:65], v49 offset0:12 offset1:14
	v_mul_u32_u24_e32 v51, 0x10001, v69
	s_waitcnt lgkmcnt(1)
	v_pk_fma_f16 v0, v58, v51, v0
	v_pk_fma_f16 v1, v59, v51, v1
	v_mul_u32_u24_e32 v51, 0x10001, v70
	v_pk_fma_f16 v0, v60, v51, v0
	v_pk_fma_f16 v1, v61, v51, v1
	v_mul_u32_u24_e32 v51, 0x10001, v71
	s_waitcnt lgkmcnt(0)
	v_pk_fma_f16 v0, v62, v51, v0
	v_pk_fma_f16 v1, v63, v51, v1
	v_mul_u32_u24_e32 v51, 0x10001, v72
	v_pk_fma_f16 v0, v64, v51, v0
	v_pk_fma_f16 v1, v65, v51, v1
	ds_read2st64_b64 v[58:61], v49 offset0:16 offset1:18
	ds_read_u16 v51, v47 offset:192
	ds_read_u16 v66, v47 offset:200
	;; [unrolled: 1-line block ×8, first 2 shown]
	s_waitcnt lgkmcnt(7)
	v_mul_u32_u24_e32 v51, 0x10001, v51
	ds_read2st64_b64 v[62:65], v49 offset0:20 offset1:22
	v_pk_fma_f16 v0, v58, v51, v0
	v_pk_fma_f16 v1, v59, v51, v1
	s_waitcnt lgkmcnt(7)
	v_mul_u32_u24_e32 v51, 0x10001, v66
	v_pk_fma_f16 v0, v60, v51, v0
	v_pk_fma_f16 v1, v61, v51, v1
	ds_read2st64_b64 v[58:61], v49 offset0:24 offset1:26
	s_waitcnt lgkmcnt(7)
	v_mul_u32_u24_e32 v51, 0x10001, v67
	s_waitcnt lgkmcnt(1)
	v_pk_fma_f16 v0, v62, v51, v0
	v_pk_fma_f16 v1, v63, v51, v1
	v_mul_u32_u24_e32 v51, 0x10001, v68
	v_pk_fma_f16 v0, v64, v51, v0
	v_pk_fma_f16 v1, v65, v51, v1
	v_mul_u32_u24_e32 v51, 0x10001, v69
	s_waitcnt lgkmcnt(0)
	v_pk_fma_f16 v0, v58, v51, v0
	v_pk_fma_f16 v1, v59, v51, v1
	v_mul_u32_u24_e32 v51, 0x10001, v70
	v_pk_fma_f16 v0, v60, v51, v0
	v_pk_fma_f16 v1, v61, v51, v1
	ds_read2st64_b64 v[58:61], v49 offset0:28 offset1:30
	s_waitcnt lgkmcnt(0)
	s_barrier
	s_load_dword s8, s[6:7], 0x4
	v_mul_u32_u24_e32 v51, 0x10001, v71
	v_pk_fma_f16 v0, v58, v51, v0
	v_pk_fma_f16 v1, v59, v51, v1
	v_mul_u32_u24_e32 v51, 0x10001, v72
	s_waitcnt lgkmcnt(0)
	s_lshl_b32 s8, s8, 7
	s_add_i32 s10, s8, s10
	v_pk_fma_f16 v0, v60, v51, v0
	s_cmp_ge_i32 s10, s24
	v_pk_fma_f16 v1, v61, v51, v1
	s_cbranch_scc1 .LBB85_9
; %bb.22:                               ;   in Loop: Header=BB85_15 Depth=1
	v_mov_b32_e32 v51, v24
	s_branch .LBB85_15
.LBB85_23:
	v_cmp_eq_u32_e64 s[4:5], 0, v26
	ds_write_b64 v2, v[0:1]
	s_and_saveexec_b64 s[8:9], s[4:5]
; %bb.24:
	ds_write_b32 v32, v25 offset:18944
; %bb.25:
	s_or_b64 exec, exec, s[8:9]
                                        ; implicit-def: $vgpr2
                                        ; implicit-def: $vgpr32
	s_andn2_saveexec_b64 s[4:5], s[6:7]
	s_cbranch_execz .LBB85_11
.LBB85_26:
	s_waitcnt lgkmcnt(0)
	s_barrier
	ds_read2_b64 v[4:7], v2 offset0:32 offset1:64
	v_add_u32_e32 v3, 0x4a04, v32
	ds_read2_b32 v[8:9], v3 offset1:1
	s_waitcnt lgkmcnt(1)
	v_pk_add_f16 v3, v4, v0
	v_pk_add_f16 v4, v5, v1
	ds_read_b64 v[0:1], v2 offset:768
	ds_read_b32 v2, v32 offset:18956
	s_waitcnt lgkmcnt(2)
	v_add_f32_e32 v5, v25, v8
	v_pk_add_f16 v3, v6, v3
	v_pk_add_f16 v4, v7, v4
	v_add_f32_e32 v5, v5, v9
	s_waitcnt lgkmcnt(1)
	v_pk_add_f16 v0, v0, v3
	v_pk_add_f16 v1, v1, v4
	s_waitcnt lgkmcnt(0)
	v_add_f32_e32 v25, v5, v2
	s_or_b64 exec, exec, s[4:5]
	s_and_saveexec_b64 s[4:5], vcc
	s_cbranch_execz .LBB85_12
.LBB85_27:
	s_cmp_eq_u64 s[12:13], 0
	s_cselect_b64 s[4:5], -1, 0
	s_cmp_lg_u32 s3, 0
	s_cselect_b64 s[6:7], -1, 0
	s_or_b64 s[4:5], s[6:7], s[4:5]
	v_add_u32_e32 v2, s25, v29
	s_and_b64 vcc, exec, s[4:5]
	s_cbranch_vccnz .LBB85_29
; %bb.28:
	v_ashrrev_i32_e32 v3, 31, v2
	v_lshl_add_u64 v[4:5], v[2:3], 2, s[12:13]
	global_load_dword v3, v[4:5], off
	v_max_f32_e32 v4, v24, v24
	s_mov_b32 s4, 0x3fb8aa3b
	s_mov_b32 s5, 0xc2ce8ed0
	s_waitcnt vmcnt(0)
	v_max_f32_e32 v5, v3, v3
	v_max_f32_e32 v4, v4, v5
	v_sub_f32_e32 v5, v24, v4
	v_sub_f32_e32 v3, v3, v4
	v_mul_f32_e32 v6, 0x3fb8aa3b, v5
	v_mul_f32_e32 v7, 0x3fb8aa3b, v3
	v_fma_f32 v8, v5, s4, -v6
	v_rndne_f32_e32 v9, v6
	v_fma_f32 v10, v3, s4, -v7
	v_rndne_f32_e32 v11, v7
	v_fmac_f32_e32 v8, 0x32a5705f, v5
	v_sub_f32_e32 v6, v6, v9
	v_fmac_f32_e32 v10, 0x32a5705f, v3
	v_sub_f32_e32 v7, v7, v11
	v_add_f32_e32 v6, v6, v8
	v_cvt_i32_f32_e32 v9, v9
	v_add_f32_e32 v7, v7, v10
	v_exp_f32_e32 v6, v6
	v_cvt_i32_f32_e32 v11, v11
	v_exp_f32_e32 v7, v7
	v_cmp_ngt_f32_e32 vcc, s5, v5
	v_ldexp_f32 v6, v6, v9
	s_mov_b32 s4, 0x42b17218
	v_ldexp_f32 v7, v7, v11
	v_cndmask_b32_e32 v6, 0, v6, vcc
	v_cmp_ngt_f32_e32 vcc, s5, v3
	v_mov_b32_e32 v8, 0x7f800000
	s_nop 0
	v_cndmask_b32_e32 v7, 0, v7, vcc
	v_cmp_nlt_f32_e32 vcc, s4, v5
	s_nop 1
	v_cndmask_b32_e32 v6, v8, v6, vcc
	v_cvt_f16_f32_e32 v9, v6
	v_cmp_nlt_f32_e32 vcc, s4, v3
	v_mul_u32_u24_e32 v3, 0x10001, v9
	s_nop 0
	v_cndmask_b32_e32 v5, v8, v7, vcc
	v_fmac_f32_e32 v5, v25, v6
	v_pk_mul_f16 v0, v0, v3
	v_pk_mul_f16 v1, v1, v3
	v_mov_b64_e32 v[24:25], v[4:5]
	s_branch .LBB85_30
.LBB85_29:
	v_mov_b32_e32 v5, v25
.LBB85_30:
	s_load_dword s6, s[0:1], 0xd4
	v_div_scale_f32 v3, s[0:1], v5, v5, 1.0
	v_rcp_f32_e32 v4, v3
	s_mul_i32 s4, s30, s22
	s_waitcnt lgkmcnt(0)
	s_cmp_lg_u32 s6, 1
	s_cselect_b64 s[0:1], -1, 0
	v_fma_f32 v8, -v3, v4, 1.0
	v_fmac_f32_e32 v4, v8, v4
	v_div_scale_f32 v8, vcc, 1.0, v5, 1.0
	v_mul_f32_e32 v9, v8, v4
	v_fma_f32 v10, -v3, v9, v8
	v_fmac_f32_e32 v9, v10, v4
	v_fma_f32 v3, -v3, v9, v8
	v_div_fmas_f32 v3, v3, v4, v9
	v_div_fixup_f32 v3, v3, v5, 1.0
	s_add_i32 s4, s4, s2
	v_cndmask_b32_e64 v8, v3, 1.0, s[0:1]
	v_add_u32_e32 v3, s4, v28
	v_mad_u64_u32 v[2:3], s[4:5], v3, s23, v[2:3]
	v_cvt_f32_f16_sdwa v11, v0 dst_sel:DWORD dst_unused:UNUSED_PAD src0_sel:WORD_1
	v_cvt_f32_f16_e32 v10, v0
	v_cvt_f32_f16_sdwa v13, v1 dst_sel:DWORD dst_unused:UNUSED_PAD src0_sel:WORD_1
	v_cvt_f32_f16_e32 v12, v1
	v_mul_lo_u32 v2, s6, v2
	v_add_u32_e32 v2, s3, v2
	v_mov_b32_e32 v6, s16
	v_mov_b32_e32 v7, s17
	v_lshl_add_u32 v4, v2, 7, v27
	v_mov_b32_e32 v5, 0
	v_cmp_eq_u32_e32 vcc, 0, v26
	v_lshl_add_u64 v[0:1], v[4:5], 2, v[6:7]
	s_and_b64 s[0:1], vcc, s[0:1]
	v_pk_mul_f32 v[4:5], v[8:9], v[10:11] op_sel_hi:[0,1]
	v_pk_mul_f32 v[6:7], v[8:9], v[12:13] op_sel_hi:[0,1]
	global_store_dwordx4 v[0:1], v[4:7], off
	s_and_b64 exec, exec, s[0:1]
	s_cbranch_execz .LBB85_12
; %bb.31:
	v_mov_b32_e32 v0, s18
	v_mov_b32_e32 v1, s19
	v_ashrrev_i32_e32 v3, 31, v2
	v_lshl_add_u64 v[0:1], v[2:3], 3, v[0:1]
	global_store_dwordx2 v[0:1], v[24:25], off
	s_endpgm
	.section	.rodata,"a",@progbits
	.p2align	6, 0x0
	.amdhsa_kernel _ZL15flash_attn_tileILi128ELi128ELi1ELi2ELb1EEvPKcS1_S1_S1_S1_PKiPfP15HIP_vector_typeIfLj2EEffffjfiS5_IjLj3EEiiiiiiiiiiiliiliiiiil
		.amdhsa_group_segment_fixed_size 19488
		.amdhsa_private_segment_fixed_size 0
		.amdhsa_kernarg_size 464
		.amdhsa_user_sgpr_count 2
		.amdhsa_user_sgpr_dispatch_ptr 0
		.amdhsa_user_sgpr_queue_ptr 0
		.amdhsa_user_sgpr_kernarg_segment_ptr 1
		.amdhsa_user_sgpr_dispatch_id 0
		.amdhsa_user_sgpr_kernarg_preload_length 0
		.amdhsa_user_sgpr_kernarg_preload_offset 0
		.amdhsa_user_sgpr_private_segment_size 0
		.amdhsa_uses_dynamic_stack 0
		.amdhsa_enable_private_segment 0
		.amdhsa_system_sgpr_workgroup_id_x 1
		.amdhsa_system_sgpr_workgroup_id_y 1
		.amdhsa_system_sgpr_workgroup_id_z 1
		.amdhsa_system_sgpr_workgroup_info 0
		.amdhsa_system_vgpr_workitem_id 1
		.amdhsa_next_free_vgpr 127
		.amdhsa_next_free_sgpr 45
		.amdhsa_accum_offset 128
		.amdhsa_reserve_vcc 1
		.amdhsa_float_round_mode_32 0
		.amdhsa_float_round_mode_16_64 0
		.amdhsa_float_denorm_mode_32 3
		.amdhsa_float_denorm_mode_16_64 3
		.amdhsa_dx10_clamp 1
		.amdhsa_ieee_mode 1
		.amdhsa_fp16_overflow 0
		.amdhsa_tg_split 0
		.amdhsa_exception_fp_ieee_invalid_op 0
		.amdhsa_exception_fp_denorm_src 0
		.amdhsa_exception_fp_ieee_div_zero 0
		.amdhsa_exception_fp_ieee_overflow 0
		.amdhsa_exception_fp_ieee_underflow 0
		.amdhsa_exception_fp_ieee_inexact 0
		.amdhsa_exception_int_div_zero 0
	.end_amdhsa_kernel
	.section	.text._ZL15flash_attn_tileILi128ELi128ELi1ELi2ELb1EEvPKcS1_S1_S1_S1_PKiPfP15HIP_vector_typeIfLj2EEffffjfiS5_IjLj3EEiiiiiiiiiiiliiliiiiil,"axG",@progbits,_ZL15flash_attn_tileILi128ELi128ELi1ELi2ELb1EEvPKcS1_S1_S1_S1_PKiPfP15HIP_vector_typeIfLj2EEffffjfiS5_IjLj3EEiiiiiiiiiiiliiliiiiil,comdat
.Lfunc_end85:
	.size	_ZL15flash_attn_tileILi128ELi128ELi1ELi2ELb1EEvPKcS1_S1_S1_S1_PKiPfP15HIP_vector_typeIfLj2EEffffjfiS5_IjLj3EEiiiiiiiiiiiliiliiiiil, .Lfunc_end85-_ZL15flash_attn_tileILi128ELi128ELi1ELi2ELb1EEvPKcS1_S1_S1_S1_PKiPfP15HIP_vector_typeIfLj2EEffffjfiS5_IjLj3EEiiiiiiiiiiiliiliiiiil
                                        ; -- End function
	.set _ZL15flash_attn_tileILi128ELi128ELi1ELi2ELb1EEvPKcS1_S1_S1_S1_PKiPfP15HIP_vector_typeIfLj2EEffffjfiS5_IjLj3EEiiiiiiiiiiiliiliiiiil.num_vgpr, 127
	.set _ZL15flash_attn_tileILi128ELi128ELi1ELi2ELb1EEvPKcS1_S1_S1_S1_PKiPfP15HIP_vector_typeIfLj2EEffffjfiS5_IjLj3EEiiiiiiiiiiiliiliiiiil.num_agpr, 0
	.set _ZL15flash_attn_tileILi128ELi128ELi1ELi2ELb1EEvPKcS1_S1_S1_S1_PKiPfP15HIP_vector_typeIfLj2EEffffjfiS5_IjLj3EEiiiiiiiiiiiliiliiiiil.numbered_sgpr, 45
	.set _ZL15flash_attn_tileILi128ELi128ELi1ELi2ELb1EEvPKcS1_S1_S1_S1_PKiPfP15HIP_vector_typeIfLj2EEffffjfiS5_IjLj3EEiiiiiiiiiiiliiliiiiil.num_named_barrier, 0
	.set _ZL15flash_attn_tileILi128ELi128ELi1ELi2ELb1EEvPKcS1_S1_S1_S1_PKiPfP15HIP_vector_typeIfLj2EEffffjfiS5_IjLj3EEiiiiiiiiiiiliiliiiiil.private_seg_size, 0
	.set _ZL15flash_attn_tileILi128ELi128ELi1ELi2ELb1EEvPKcS1_S1_S1_S1_PKiPfP15HIP_vector_typeIfLj2EEffffjfiS5_IjLj3EEiiiiiiiiiiiliiliiiiil.uses_vcc, 1
	.set _ZL15flash_attn_tileILi128ELi128ELi1ELi2ELb1EEvPKcS1_S1_S1_S1_PKiPfP15HIP_vector_typeIfLj2EEffffjfiS5_IjLj3EEiiiiiiiiiiiliiliiiiil.uses_flat_scratch, 0
	.set _ZL15flash_attn_tileILi128ELi128ELi1ELi2ELb1EEvPKcS1_S1_S1_S1_PKiPfP15HIP_vector_typeIfLj2EEffffjfiS5_IjLj3EEiiiiiiiiiiiliiliiiiil.has_dyn_sized_stack, 0
	.set _ZL15flash_attn_tileILi128ELi128ELi1ELi2ELb1EEvPKcS1_S1_S1_S1_PKiPfP15HIP_vector_typeIfLj2EEffffjfiS5_IjLj3EEiiiiiiiiiiiliiliiiiil.has_recursion, 0
	.set _ZL15flash_attn_tileILi128ELi128ELi1ELi2ELb1EEvPKcS1_S1_S1_S1_PKiPfP15HIP_vector_typeIfLj2EEffffjfiS5_IjLj3EEiiiiiiiiiiiliiliiiiil.has_indirect_call, 0
	.section	.AMDGPU.csdata,"",@progbits
; Kernel info:
; codeLenInByte = 6824
; TotalNumSgprs: 51
; NumVgprs: 127
; NumAgprs: 0
; TotalNumVgprs: 127
; ScratchSize: 0
; MemoryBound: 0
; FloatMode: 240
; IeeeMode: 1
; LDSByteSize: 19488 bytes/workgroup (compile time only)
; SGPRBlocks: 6
; VGPRBlocks: 15
; NumSGPRsForWavesPerEU: 51
; NumVGPRsForWavesPerEU: 127
; AccumOffset: 128
; Occupancy: 4
; WaveLimiterHint : 1
; COMPUTE_PGM_RSRC2:SCRATCH_EN: 0
; COMPUTE_PGM_RSRC2:USER_SGPR: 2
; COMPUTE_PGM_RSRC2:TRAP_HANDLER: 0
; COMPUTE_PGM_RSRC2:TGID_X_EN: 1
; COMPUTE_PGM_RSRC2:TGID_Y_EN: 1
; COMPUTE_PGM_RSRC2:TGID_Z_EN: 1
; COMPUTE_PGM_RSRC2:TIDIG_COMP_CNT: 1
; COMPUTE_PGM_RSRC3_GFX90A:ACCUM_OFFSET: 31
; COMPUTE_PGM_RSRC3_GFX90A:TG_SPLIT: 0
	.section	.text._ZL15flash_attn_tileILi128ELi128ELi64ELi1ELb1EEvPKcS1_S1_S1_S1_PKiPfP15HIP_vector_typeIfLj2EEffffjfiS5_IjLj3EEiiiiiiiiiiiliiliiiiil,"axG",@progbits,_ZL15flash_attn_tileILi128ELi128ELi64ELi1ELb1EEvPKcS1_S1_S1_S1_PKiPfP15HIP_vector_typeIfLj2EEffffjfiS5_IjLj3EEiiiiiiiiiiiliiliiiiil,comdat
	.globl	_ZL15flash_attn_tileILi128ELi128ELi64ELi1ELb1EEvPKcS1_S1_S1_S1_PKiPfP15HIP_vector_typeIfLj2EEffffjfiS5_IjLj3EEiiiiiiiiiiiliiliiiiil ; -- Begin function _ZL15flash_attn_tileILi128ELi128ELi64ELi1ELb1EEvPKcS1_S1_S1_S1_PKiPfP15HIP_vector_typeIfLj2EEffffjfiS5_IjLj3EEiiiiiiiiiiiliiliiiiil
	.p2align	8
	.type	_ZL15flash_attn_tileILi128ELi128ELi64ELi1ELb1EEvPKcS1_S1_S1_S1_PKiPfP15HIP_vector_typeIfLj2EEffffjfiS5_IjLj3EEiiiiiiiiiiiliiliiiiil,@function
_ZL15flash_attn_tileILi128ELi128ELi64ELi1ELb1EEvPKcS1_S1_S1_S1_PKiPfP15HIP_vector_typeIfLj2EEffffjfiS5_IjLj3EEiiiiiiiiiiiliiliiiiil: ; @_ZL15flash_attn_tileILi128ELi128ELi64ELi1ELb1EEvPKcS1_S1_S1_S1_PKiPfP15HIP_vector_typeIfLj2EEffffjfiS5_IjLj3EEiiiiiiiiiiiliiliiiiil
; %bb.0:
	s_load_dwordx4 s[24:27], s[0:1], 0x5c
	s_load_dwordx2 s[36:37], s[0:1], 0x80
	s_load_dwordx2 s[38:39], s[0:1], 0xb8
	s_waitcnt lgkmcnt(0)
	v_cvt_f32_u32_e32 v1, s27
	s_sub_i32 s5, 0, s27
	v_rcp_iflag_f32_e32 v1, v1
	s_nop 0
	v_mul_f32_e32 v1, 0x4f7ffffe, v1
	v_cvt_u32_f32_e32 v1, v1
	s_nop 0
	v_readfirstlane_b32 s6, v1
	s_mul_i32 s5, s5, s6
	s_mul_hi_u32 s5, s6, s5
	s_add_i32 s6, s6, s5
	s_mul_hi_u32 s5, s4, s6
	s_mul_i32 s6, s5, s27
	s_sub_i32 s6, s4, s6
	s_add_i32 s7, s5, 1
	s_sub_i32 s8, s6, s27
	s_cmp_ge_u32 s6, s27
	s_cselect_b32 s5, s7, s5
	s_cselect_b32 s6, s8, s6
	s_add_i32 s7, s5, 1
	s_cmp_ge_u32 s6, s27
	s_cselect_b32 s33, s7, s5
	s_abs_i32 s5, s37
	v_cvt_f32_u32_e32 v1, s5
	s_mul_i32 s8, s33, s27
	s_sub_i32 s9, 0, s5
	s_sub_i32 s34, s4, s8
	v_rcp_iflag_f32_e32 v1, v1
	s_abs_i32 s7, s27
	s_xor_b32 s6, s27, s37
	s_ashr_i32 s6, s6, 31
	v_mul_f32_e32 v1, 0x4f7ffffe, v1
	v_cvt_u32_f32_e32 v1, v1
	s_nop 0
	v_readfirstlane_b32 s4, v1
	s_mul_i32 s9, s9, s4
	s_mul_hi_u32 s8, s4, s9
	s_add_i32 s4, s4, s8
	s_mul_hi_u32 s4, s7, s4
	s_mul_i32 s8, s4, s5
	s_sub_i32 s7, s7, s8
	s_add_i32 s9, s4, 1
	s_sub_i32 s8, s7, s5
	s_cmp_ge_u32 s7, s5
	s_cselect_b32 s4, s9, s4
	s_cselect_b32 s7, s8, s7
	s_add_i32 s8, s4, 1
	s_cmp_ge_u32 s7, s5
	s_cselect_b32 s4, s8, s4
	s_xor_b32 s4, s4, s6
	s_sub_i32 s41, s4, s6
	s_abs_i32 s37, s41
	v_cvt_f32_u32_e32 v1, s37
	s_load_dwordx16 s[8:23], s[0:1], 0x0
	s_sub_i32 s4, 0, s37
	s_abs_i32 s40, s34
	v_rcp_iflag_f32_e32 v1, v1
	s_nop 0
	v_mul_f32_e32 v1, 0x4f7ffffe, v1
	v_cvt_u32_f32_e32 v1, v1
	s_nop 0
	v_readfirstlane_b32 s5, v1
	s_mul_i32 s4, s4, s5
	s_mul_hi_u32 s4, s5, s4
	s_add_i32 s4, s5, s4
	s_waitcnt lgkmcnt(0)
	s_cmp_eq_u64 s[14:15], 0
	s_cbranch_scc1 .LBB86_2
; %bb.1:
	s_abs_i32 s5, s38
	v_cvt_f32_u32_e32 v1, s5
	s_sub_i32 s30, 0, s5
	s_abs_i32 s29, s33
	s_load_dwordx2 s[6:7], s[0:1], 0xc8
	v_rcp_iflag_f32_e32 v1, v1
	s_ashr_i32 s28, s33, 31
	v_mul_f32_e32 v1, 0x4f7ffffe, v1
	v_cvt_u32_f32_e32 v1, v1
	v_mul_lo_u32 v2, s30, v1
	v_mul_hi_u32 v2, v1, v2
	v_add_u32_e32 v1, v1, v2
	v_mul_hi_u32 v1, s29, v1
	v_mul_lo_u32 v1, v1, s5
	v_sub_u32_e32 v1, s29, v1
	v_subrev_u32_e32 v2, s5, v1
	v_cmp_le_u32_e32 vcc, s5, v1
	s_nop 1
	v_cndmask_b32_e32 v1, v1, v2, vcc
	v_subrev_u32_e32 v2, s5, v1
	v_cmp_le_u32_e32 vcc, s5, v1
	s_nop 1
	v_cndmask_b32_e32 v1, v1, v2, vcc
	v_xor_b32_e32 v1, s28, v1
	v_subrev_u32_e32 v1, s28, v1
	v_ashrrev_i32_e32 v2, 31, v1
	s_waitcnt lgkmcnt(0)
	v_mul_hi_u32 v3, s6, v1
	v_mul_lo_u32 v2, s6, v2
	v_mul_lo_u32 v4, s7, v1
	v_add_u32_e32 v2, v3, v2
	v_add_u32_e32 v3, v2, v4
	v_mul_lo_u32 v2, s6, v1
	v_lshl_add_u64 v[42:43], s[14:15], 0, v[2:3]
	s_branch .LBB86_3
.LBB86_2:
	v_mov_b64_e32 v[42:43], 0
.LBB86_3:
	s_load_dwordx4 s[28:31], s[0:1], 0x40
	s_load_dwordx2 s[14:15], s[0:1], 0x50
	s_mul_hi_u32 s38, s40, s4
	v_mov_b32_e32 v69, 1.0
	s_waitcnt lgkmcnt(0)
	v_cmp_le_f32_e64 s[4:5], s29, 0
	s_and_b64 vcc, exec, s[4:5]
	s_cbranch_vccnz .LBB86_5
; %bb.4:
	v_mov_b32_e32 v1, s14
	v_sub_co_u32_e32 v1, vcc, s34, v1
	v_mov_b32_e32 v2, s31
	v_mov_b32_e32 v3, s30
	s_add_i32 s4, s34, 1
	v_lshlrev_b32_e32 v1, 1, v1
	v_cndmask_b32_e32 v2, v2, v3, vcc
	v_or_b32_e32 v1, 1, v1
	v_mov_b32_e32 v3, s4
	v_cndmask_b32_e32 v1, v1, v3, vcc
	v_cvt_f32_i32_e32 v1, v1
	v_cmp_neq_f32_e32 vcc, 1.0, v2
	s_mov_b32 s4, 0x3f2aaaab
	s_movk_i32 s6, 0x204
	v_cndmask_b32_e32 v1, 1.0, v1, vcc
	v_cmp_neq_f32_e32 vcc, 0, v1
	s_mov_b32 s5, 0x42b17218
	s_mov_b32 s7, 0x3fb8aa3b
	v_cndmask_b32_e32 v18, 1.0, v2, vcc
	v_frexp_mant_f32_e64 v2, |v18|
	v_cmp_gt_f32_e32 vcc, s4, v2
	s_mov_b32 s4, 0x3f317218
	s_brev_b32 s14, -2
	v_cndmask_b32_e64 v3, 1.0, 2.0, vcc
	v_mul_f32_e32 v2, v2, v3
	v_add_f32_e32 v5, 1.0, v2
	v_rcp_f32_e32 v10, v5
	v_add_f32_e32 v3, -1.0, v5
	v_sub_f32_e32 v7, v2, v3
	v_add_f32_e32 v3, -1.0, v2
	v_mul_f32_e32 v11, v3, v10
	v_mul_f32_e32 v4, v5, v11
	v_fma_f32 v6, v11, v5, -v4
	v_fmac_f32_e32 v6, v11, v7
	v_add_f32_e32 v2, v4, v6
	v_sub_f32_e32 v5, v3, v2
	v_pk_add_f32 v[8:9], v[2:3], v[4:5] neg_lo:[0,1] neg_hi:[0,1]
	v_mov_b32_e32 v7, v2
	v_pk_add_f32 v[2:3], v[8:9], v[6:7] neg_lo:[0,1] neg_hi:[0,1]
	v_mov_b32_e32 v6, 0x3e91f4c4
	v_add_f32_e32 v2, v2, v3
	v_add_f32_e32 v2, v5, v2
	v_mul_f32_e32 v3, v10, v2
	v_add_f32_e32 v2, v11, v3
	v_sub_f32_e32 v4, v2, v11
	v_sub_f32_e32 v12, v3, v4
	v_mul_f32_e32 v3, v2, v2
	v_fma_f32 v5, v2, v2, -v3
	v_add_f32_e32 v4, v12, v12
	v_fmac_f32_e32 v5, v2, v4
	v_add_f32_e32 v4, v3, v5
	v_fmac_f32_e32 v6, 0x3e76c4e1, v4
	v_fmaak_f32 v6, v4, v6, 0x3ecccdef
	v_sub_f32_e32 v3, v4, v3
	v_sub_f32_e32 v13, v5, v3
	v_mul_f32_e32 v3, v4, v6
	v_fma_f32 v5, v4, v6, -v3
	v_fmac_f32_e32 v5, v13, v6
	v_add_f32_e32 v6, v3, v5
	v_add_f32_e32 v7, 0x3f2aaaaa, v6
	v_sub_f32_e32 v3, v6, v3
	v_sub_f32_e32 v3, v5, v3
	v_add_f32_e32 v5, 0xbf2aaaaa, v7
	v_add_f32_e32 v3, 0x31739010, v3
	v_sub_f32_e32 v5, v6, v5
	v_pk_mul_f32 v[8:9], v[2:3], v[4:5]
	v_pk_add_f32 v[10:11], v[2:3], v[4:5]
	v_fma_f32 v6, v4, v2, -v8
	v_fmac_f32_e32 v6, v4, v12
	v_mov_b32_e32 v9, v11
	v_fmac_f32_e32 v6, v13, v2
	v_pk_add_f32 v[4:5], v[8:9], v[6:7]
	v_ldexp_f32 v14, v12, 1
	v_sub_f32_e32 v3, v4, v8
	v_sub_f32_e32 v3, v6, v3
	;; [unrolled: 1-line block ×3, first 2 shown]
	v_add_f32_e32 v9, v11, v6
	v_pk_mul_f32 v[6:7], v[4:5], v[4:5] op_sel:[0,1] op_sel_hi:[1,0]
	v_cvt_f64_f32_e64 v[10:11], |v18|
	v_frexp_exp_i32_f64_e32 v7, v[10:11]
	v_subbrev_co_u32_e32 v7, vcc, 0, v7, vcc
	v_cvt_f32_i32_e32 v7, v7
	v_fma_f32 v8, v4, v5, -v6
	v_fmac_f32_e32 v8, v4, v9
	v_fmac_f32_e32 v8, v3, v5
	v_mul_f32_e32 v4, 0x3f317218, v7
	v_fma_f32 v3, v7, s4, -v4
	v_fmamk_f32 v10, v7, 0xb102e308, v3
	v_ldexp_f32 v11, v2, 1
	v_add_f32_e32 v5, v6, v8
	v_pk_add_f32 v[2:3], v[4:5], v[10:11]
	v_mov_b32_e32 v12, v5
	v_mov_b32_e32 v13, v3
	;; [unrolled: 1-line block ×3, first 2 shown]
	v_pk_add_f32 v[6:7], v[12:13], v[6:7] neg_lo:[0,1] neg_hi:[0,1]
	v_mov_b32_e32 v9, v5
	v_pk_add_f32 v[6:7], v[8:9], v[6:7] neg_lo:[0,1] neg_hi:[0,1]
	v_mov_b32_e32 v11, v2
	v_add_f32_e32 v5, v14, v6
	v_add_f32_e32 v5, v5, v7
	v_pk_add_f32 v[6:7], v[2:3], v[4:5] neg_lo:[0,1] neg_hi:[0,1]
	v_pk_add_f32 v[8:9], v[2:3], v[4:5]
	v_mov_b32_e32 v16, v3
	v_mov_b32_e32 v7, v9
	v_pk_add_f32 v[12:13], v[10:11], v[6:7] neg_lo:[0,1] neg_hi:[0,1]
	v_pk_add_f32 v[6:7], v[10:11], v[6:7]
	v_mov_b32_e32 v4, v5
	v_pk_add_f32 v[10:11], v[6:7], v[2:3] op_sel:[1,0] op_sel_hi:[0,1] neg_lo:[0,1] neg_hi:[0,1]
	v_pk_add_f32 v[14:15], v[8:9], v[10:11] op_sel_hi:[1,0] neg_lo:[0,1] neg_hi:[0,1]
	v_mov_b32_e32 v8, v9
	v_mov_b32_e32 v9, v7
	;; [unrolled: 1-line block ×3, first 2 shown]
	v_pk_add_f32 v[8:9], v[8:9], v[16:17] neg_lo:[0,1] neg_hi:[0,1]
	v_mov_b32_e32 v5, v2
	v_pk_add_f32 v[2:3], v[4:5], v[8:9] neg_lo:[0,1] neg_hi:[0,1]
	v_mov_b32_e32 v14, v12
	v_pk_add_f32 v[4:5], v[14:15], v[2:3]
	v_mov_b32_e32 v13, v7
	v_pk_add_f32 v[8:9], v[4:5], v[4:5] op_sel:[0,1] op_sel_hi:[1,0]
	s_mov_b32 s4, 0x7f800000
	v_pk_add_f32 v[6:7], v[6:7], v[8:9] op_sel:[1,0] op_sel_hi:[0,1]
	v_mov_b32_e32 v5, v6
	v_pk_add_f32 v[10:11], v[4:5], v[12:13] neg_lo:[0,1] neg_hi:[0,1]
	v_mov_b32_e32 v3, v8
	v_sub_f32_e32 v4, v4, v10
	v_pk_add_f32 v[2:3], v[2:3], v[10:11] neg_lo:[0,1] neg_hi:[0,1]
	v_sub_f32_e32 v4, v12, v4
	v_add_f32_e32 v2, v2, v4
	v_add_f32_e32 v2, v2, v3
	;; [unrolled: 1-line block ×3, first 2 shown]
	v_sub_f32_e32 v4, v3, v6
	v_sub_f32_e32 v2, v2, v4
	v_mul_f32_e32 v4, v1, v3
	v_fma_f32 v3, v1, v3, -v4
	v_fmac_f32_e32 v3, v1, v2
	v_add_f32_e32 v2, v4, v3
	v_cmp_class_f32_e64 vcc, v4, s6
	v_sub_f32_e32 v5, v2, v4
	v_sub_f32_e32 v3, v3, v5
	v_cndmask_b32_e32 v2, v2, v4, vcc
	v_mov_b32_e32 v4, 0x37000000
	v_cmp_eq_f32_e32 vcc, s5, v2
	v_cmp_class_f32_e64 s[30:31], v18, s6
	s_nop 0
	v_cndmask_b32_e32 v4, 0, v4, vcc
	v_sub_f32_e32 v5, v2, v4
	v_mul_f32_e32 v6, 0x3fb8aa3b, v5
	v_fma_f32 v7, v5, s7, -v6
	v_rndne_f32_e32 v8, v6
	v_fmamk_f32 v7, v5, 0x32a5705f, v7
	v_sub_f32_e32 v6, v6, v8
	v_add_f32_e32 v6, v6, v7
	v_exp_f32_e32 v6, v6
	v_cvt_i32_f32_e32 v7, v8
	v_cmp_neq_f32_e64 vcc, |v2|, s4
	s_mov_b32 s4, 0xc2ce8ed0
	s_nop 0
	v_cndmask_b32_e32 v2, 0, v3, vcc
	v_ldexp_f32 v3, v6, v7
	v_cmp_ngt_f32_e32 vcc, s4, v5
	v_add_f32_e32 v2, v4, v2
	v_mov_b32_e32 v4, 0x7f800000
	v_cndmask_b32_e32 v3, 0, v3, vcc
	v_cmp_nlt_f32_e32 vcc, s5, v5
	v_mov_b32_e32 v5, 0x7fc00000
	s_nop 0
	v_cndmask_b32_e32 v3, v4, v3, vcc
	v_fma_f32 v2, v3, v2, v3
	v_cmp_class_f32_e64 vcc, v3, s6
	v_cmp_gt_f32_e64 s[6:7], 0, v1
	s_nop 0
	v_cndmask_b32_e32 v2, v2, v3, vcc
	v_trunc_f32_e32 v3, v1
	v_cmp_eq_f32_e32 vcc, v3, v1
	v_mul_f32_e32 v3, 0.5, v1
	v_trunc_f32_e32 v6, v3
	v_cmp_neq_f32_e64 s[4:5], v6, v3
	s_and_b64 s[4:5], vcc, s[4:5]
	s_nop 0
	v_cndmask_b32_e64 v3, 1.0, v18, s[4:5]
	v_bfi_b32 v2, s14, v2, v3
	v_cndmask_b32_e32 v3, v5, v2, vcc
	v_cmp_gt_f32_e32 vcc, 0, v18
	s_nop 1
	v_cndmask_b32_e32 v2, v2, v3, vcc
	v_cmp_eq_f32_e32 vcc, 0, v18
	s_xor_b64 s[6:7], s[6:7], vcc
	v_cndmask_b32_e64 v1, v4, 0, s[6:7]
	v_cndmask_b32_e64 v3, 0, v18, s[4:5]
	v_bfi_b32 v1, s14, v1, v3
	s_or_b64 vcc, vcc, s[30:31]
	v_cndmask_b32_e32 v1, v2, v1, vcc
	v_cmp_o_f32_e32 vcc, v18, v18
	s_nop 1
	v_cndmask_b32_e32 v69, v5, v1, vcc
.LBB86_5:
	s_load_dwordx4 s[44:47], s[0:1], 0x70
	v_bfe_u32 v66, v0, 10, 10
	s_lshl_b32 s14, s2, 6
	v_lshlrev_b32_e32 v61, 3, v66
	s_ashr_i32 s35, s34, 31
	s_waitcnt lgkmcnt(0)
	s_mul_i32 s4, s33, s46
	s_ashr_i32 s6, s41, 31
	s_ashr_i32 s7, s4, 31
	v_add_u32_e32 v63, s14, v61
	s_mul_i32 s5, s34, s45
	s_add_u32 s4, s8, s4
	v_mul_hi_u32 v2, v63, s24
	s_addc_u32 s7, s9, s7
	s_ashr_i32 s9, s5, 31
	v_add_u32_e32 v2, v63, v2
	s_add_u32 s8, s4, s5
	v_lshrrev_b32_e32 v2, s25, v2
	s_addc_u32 s9, s7, s9
	s_ashr_i32 s45, s44, 31
	v_and_b32_e32 v40, 0x3ff, v0
	v_mul_lo_u32 v2, v2, s26
	s_lshr_b64 s[4:5], s[44:45], 2
	v_lshlrev_b32_e32 v22, 4, v40
	v_mov_b32_e32 v23, 0
	v_sub_u32_e32 v2, v63, v2
	v_lshl_add_u64 v[0:1], s[8:9], 0, v[22:23]
	v_mad_u64_u32 v[4:5], s[8:9], s4, v2, 0
	v_mov_b32_e32 v6, v5
	s_lshr_b32 s5, s45, 2
	v_mad_u64_u32 v[6:7], s[8:9], s5, v2, v[6:7]
	v_mov_b32_e32 v5, v6
	v_lshl_add_u64 v[4:5], v[4:5], 2, v[0:1]
	global_load_dwordx4 v[4:7], v[4:5], off
	v_or_b32_e32 v60, 1, v61
	v_or_b32_e32 v58, 2, v61
	v_add_u32_e32 v64, s14, v60
	v_or_b32_e32 v57, 3, v61
	v_add_u32_e32 v62, s14, v58
	v_mul_hi_u32 v8, v64, s24
	v_or_b32_e32 v52, 4, v61
	v_add_u32_e32 v59, s14, v57
	v_mul_hi_u32 v9, v62, s24
	v_add_u32_e32 v8, v64, v8
	v_add_u32_e32 v55, s14, v52
	v_mul_hi_u32 v10, v59, s24
	v_add_u32_e32 v9, v62, v9
	v_lshrrev_b32_e32 v8, s25, v8
	v_mul_hi_u32 v11, v55, s24
	v_add_u32_e32 v10, v59, v10
	v_lshrrev_b32_e32 v9, s25, v9
	v_mul_lo_u32 v8, v8, s26
	v_add_u32_e32 v11, v55, v11
	v_lshrrev_b32_e32 v10, s25, v10
	v_mul_lo_u32 v9, v9, s26
	v_sub_u32_e32 v14, v64, v8
	v_lshrrev_b32_e32 v11, s25, v11
	v_mul_lo_u32 v10, v10, s26
	v_sub_u32_e32 v17, v62, v9
	v_mad_u64_u32 v[8:9], s[8:9], s4, v14, 0
	v_mul_lo_u32 v11, v11, s26
	v_sub_u32_e32 v19, v59, v10
	v_mov_b32_e32 v10, v9
	v_sub_u32_e32 v26, v55, v11
	v_mad_u64_u32 v[10:11], s[8:9], s5, v14, v[10:11]
	v_mov_b32_e32 v9, v10
	v_lshl_add_u64 v[8:9], v[8:9], 2, v[0:1]
	global_load_dwordx4 v[8:11], v[8:9], off
	v_mad_u64_u32 v[12:13], s[8:9], s4, v17, 0
	v_mad_u64_u32 v[14:15], s[8:9], s4, v19, 0
	v_mov_b32_e32 v16, v13
	v_mov_b32_e32 v18, v15
	v_mad_u64_u32 v[16:17], s[8:9], s5, v17, v[16:17]
	v_mad_u64_u32 v[18:19], s[8:9], s5, v19, v[18:19]
	v_mov_b32_e32 v13, v16
	v_mov_b32_e32 v15, v18
	v_lshl_add_u64 v[20:21], v[12:13], 2, v[0:1]
	v_lshl_add_u64 v[24:25], v[14:15], 2, v[0:1]
	global_load_dwordx4 v[12:15], v[20:21], off
	global_load_dwordx4 v[16:19], v[24:25], off
	v_or_b32_e32 v53, 5, v61
	v_add_u32_e32 v54, s14, v53
	v_mul_hi_u32 v24, v54, s24
	v_add_u32_e32 v24, v54, v24
	v_lshrrev_b32_e32 v24, s25, v24
	v_mul_lo_u32 v24, v24, s26
	v_or_b32_e32 v50, 6, v61
	v_sub_u32_e32 v27, v54, v24
	v_add_u32_e32 v51, s14, v50
	v_mad_u64_u32 v[24:25], s[8:9], s4, v27, 0
	v_mul_hi_u32 v28, v51, s24
	v_add_u32_e32 v28, v51, v28
	v_lshrrev_b32_e32 v28, s25, v28
	v_mul_lo_u32 v28, v28, s26
	v_or_b32_e32 v48, 7, v61
	v_sub_u32_e32 v31, v51, v28
	v_add_u32_e32 v49, s14, v48
	v_mad_u64_u32 v[28:29], s[8:9], s4, v31, 0
	v_mul_hi_u32 v32, v49, s24
	v_mov_b32_e32 v30, v29
	v_add_u32_e32 v32, v49, v32
	v_mad_u64_u32 v[30:31], s[8:9], s5, v31, v[30:31]
	v_lshrrev_b32_e32 v32, s25, v32
	v_mov_b32_e32 v29, v30
	v_mul_lo_u32 v32, v32, s26
	s_waitcnt vmcnt(3)
	v_fma_mixlo_f16 v4, s28, v4, 0
	v_fma_mixlo_f16 v5, s28, v5, 0
	v_lshlrev_b32_e32 v5, 16, v5
	v_and_b32_e32 v4, 0xffff, v4
	v_fma_mixlo_f16 v6, s28, v6, 0
	v_fma_mixlo_f16 v7, s28, v7, 0
	v_or_b32_e32 v4, v5, v4
	v_lshlrev_b32_e32 v7, 16, v7
	v_and_b32_e32 v6, 0xffff, v6
	v_or3_b32 v20, 0, 0, v4
	v_mad_u64_u32 v[4:5], s[8:9], s4, v26, 0
	v_or3_b32 v21, v7, v6, 0
	v_mov_b32_e32 v6, v5
	v_mad_u64_u32 v[6:7], s[8:9], s5, v26, v[6:7]
	v_mov_b32_e32 v5, v6
	v_lshl_add_u64 v[4:5], v[4:5], 2, v[0:1]
	global_load_dwordx4 v[4:7], v[4:5], off
	v_mov_b32_e32 v26, v25
	v_mad_u64_u32 v[26:27], s[8:9], s5, v27, v[26:27]
	v_mov_b32_e32 v25, v26
	v_lshl_add_u64 v[24:25], v[24:25], 2, v[0:1]
	global_load_dwordx4 v[24:27], v[24:25], off
	v_lshl_add_u64 v[28:29], v[28:29], 2, v[0:1]
	v_sub_u32_e32 v35, v49, v32
	global_load_dwordx4 v[28:31], v[28:29], off
	v_mad_u64_u32 v[32:33], s[8:9], s4, v35, 0
	v_mov_b32_e32 v34, v33
	v_mad_u64_u32 v[34:35], s[4:5], s5, v35, v[34:35]
	v_mov_b32_e32 v33, v34
	v_lshl_add_u64 v[0:1], v[32:33], 2, v[0:1]
	global_load_dwordx4 v[32:35], v[0:1], off
	v_lshlrev_b32_e32 v65, 3, v40
	v_lshlrev_b32_e32 v41, 11, v66
	s_waitcnt vmcnt(6)
	v_fma_mixlo_f16 v0, s28, v8, 0
	v_fma_mixlo_f16 v1, s28, v9, 0
	v_add_u32_e32 v3, v65, v41
	v_lshlrev_b32_e32 v1, 16, v1
	v_and_b32_e32 v0, 0xffff, v0
	ds_write_b64 v3, v[20:21]
	v_or_b32_e32 v0, v1, v0
	v_fma_mixlo_f16 v1, s28, v10, 0
	v_fma_mixlo_f16 v3, s28, v11, 0
	v_lshlrev_b32_e32 v3, 16, v3
	v_and_b32_e32 v1, 0xffff, v1
	v_lshl_add_u32 v8, v60, 8, v65
	v_or3_b32 v1, v3, v1, 0
	v_or3_b32 v0, 0, 0, v0
	ds_write_b64 v8, v[0:1]
	s_waitcnt vmcnt(5)
	v_fma_mixlo_f16 v0, s28, v12, 0
	v_fma_mixlo_f16 v1, s28, v13, 0
	v_lshlrev_b32_e32 v1, 16, v1
	v_and_b32_e32 v0, 0xffff, v0
	v_or_b32_e32 v0, v1, v0
	v_fma_mixlo_f16 v1, s28, v14, 0
	v_fma_mixlo_f16 v3, s28, v15, 0
	v_lshlrev_b32_e32 v3, 16, v3
	v_and_b32_e32 v1, 0xffff, v1
	v_lshl_add_u32 v8, v58, 8, v65
	v_or3_b32 v1, v3, v1, 0
	v_or3_b32 v0, 0, 0, v0
	ds_write_b64 v8, v[0:1]
	s_waitcnt vmcnt(4)
	v_fma_mixlo_f16 v0, s28, v16, 0
	v_fma_mixlo_f16 v1, s28, v17, 0
	v_lshlrev_b32_e32 v1, 16, v1
	v_and_b32_e32 v0, 0xffff, v0
	v_or_b32_e32 v0, v1, v0
	v_fma_mixlo_f16 v1, s28, v18, 0
	v_fma_mixlo_f16 v3, s28, v19, 0
	v_lshlrev_b32_e32 v3, 16, v3
	v_and_b32_e32 v1, 0xffff, v1
	v_lshl_add_u32 v8, v57, 8, v65
	v_or3_b32 v1, v3, v1, 0
	v_or3_b32 v0, 0, 0, v0
	ds_write_b64 v8, v[0:1]
	s_cmp_eq_u64 s[18:19], 0
	s_waitcnt vmcnt(3)
	v_fma_mixlo_f16 v0, s28, v4, 0
	v_fma_mixlo_f16 v1, s28, v5, 0
	v_lshlrev_b32_e32 v1, 16, v1
	v_and_b32_e32 v0, 0xffff, v0
	v_or_b32_e32 v0, v1, v0
	v_fma_mixlo_f16 v1, s28, v6, 0
	v_fma_mixlo_f16 v3, s28, v7, 0
	v_lshlrev_b32_e32 v3, 16, v3
	v_and_b32_e32 v1, 0xffff, v1
	v_lshl_add_u32 v4, v52, 8, v65
	v_or3_b32 v1, v3, v1, 0
	v_or3_b32 v0, 0, 0, v0
	ds_write_b64 v4, v[0:1]
	s_waitcnt vmcnt(2)
	v_fma_mixlo_f16 v0, s28, v24, 0
	v_fma_mixlo_f16 v1, s28, v25, 0
	v_lshlrev_b32_e32 v1, 16, v1
	v_and_b32_e32 v0, 0xffff, v0
	v_or_b32_e32 v0, v1, v0
	v_fma_mixlo_f16 v1, s28, v26, 0
	v_fma_mixlo_f16 v3, s28, v27, 0
	v_lshlrev_b32_e32 v3, 16, v3
	v_and_b32_e32 v1, 0xffff, v1
	v_lshl_add_u32 v4, v53, 8, v65
	v_or3_b32 v1, v3, v1, 0
	v_or3_b32 v0, 0, 0, v0
	ds_write_b64 v4, v[0:1]
	s_waitcnt vmcnt(1)
	v_fma_mixlo_f16 v0, s28, v28, 0
	v_fma_mixlo_f16 v1, s28, v29, 0
	v_lshlrev_b32_e32 v1, 16, v1
	v_and_b32_e32 v0, 0xffff, v0
	v_or_b32_e32 v0, v1, v0
	v_fma_mixlo_f16 v1, s28, v30, 0
	v_fma_mixlo_f16 v3, s28, v31, 0
	v_lshlrev_b32_e32 v3, 16, v3
	v_and_b32_e32 v1, 0xffff, v1
	v_lshl_add_u32 v4, v50, 8, v65
	v_or3_b32 v1, v3, v1, 0
	v_or3_b32 v0, 0, 0, v0
	ds_write_b64 v4, v[0:1]
	s_waitcnt vmcnt(0)
	v_fma_mixlo_f16 v0, s28, v32, 0
	v_fma_mixlo_f16 v1, s28, v33, 0
	v_lshlrev_b32_e32 v1, 16, v1
	v_and_b32_e32 v0, 0xffff, v0
	v_or_b32_e32 v0, v1, v0
	v_fma_mixlo_f16 v1, s28, v34, 0
	v_fma_mixlo_f16 v3, s28, v35, 0
	v_lshlrev_b32_e32 v3, 16, v3
	v_and_b32_e32 v1, 0xffff, v1
	v_lshl_add_u32 v4, v48, 8, v65
	v_or3_b32 v1, v3, v1, 0
	v_or3_b32 v0, 0, 0, v0
	ds_write_b64 v4, v[0:1]
	s_waitcnt lgkmcnt(0)
	s_barrier
	s_cbranch_scc1 .LBB86_7
; %bb.6:
	s_load_dword s4, s[0:1], 0xd0
	s_mov_b32 s5, 0
	s_waitcnt lgkmcnt(0)
	s_mul_i32 s4, s4, s33
	s_add_i32 s4, s4, s2
	s_lshl_b64 s[4:5], s[4:5], 2
	s_add_u32 s4, s18, s4
	s_addc_u32 s5, s19, s5
	s_load_dword s36, s[4:5], 0x0
.LBB86_7:
	s_nop 0
	s_load_dwordx2 s[4:5], s[0:1], 0x8c
	s_load_dwordx4 s[44:47], s[0:1], 0x98
	s_ashr_i32 s29, s39, 1
	s_mul_i32 s9, s38, s37
	s_load_dwordx2 s[18:19], s[0:1], 0xa8
	s_waitcnt lgkmcnt(0)
	s_ashr_i32 s30, s4, 2
	s_ashr_i32 s4, s33, 31
	s_mul_hi_u32 s7, s44, s33
	s_mul_i32 s8, s44, s4
	s_add_i32 s7, s7, s8
	s_mul_i32 s8, s45, s33
	s_ashr_i32 s2, s46, 2
	s_add_i32 s7, s7, s8
	s_mul_i32 s8, s44, s33
	s_add_u32 s8, s10, s8
	s_addc_u32 s7, s11, s7
	s_sub_i32 s9, s40, s9
	s_xor_b32 s6, s35, s6
	s_add_i32 s10, s38, 1
	s_sub_i32 s11, s9, s37
	s_cmp_ge_u32 s9, s37
	s_cselect_b32 s10, s10, s38
	s_cselect_b32 s9, s11, s9
	s_add_i32 s11, s10, 1
	s_cmp_ge_u32 s9, s37
	s_cselect_b32 s9, s11, s10
	s_xor_b32 s9, s9, s6
	s_sub_i32 s6, s9, s6
	s_mul_i32 s5, s6, s5
	s_ashr_i32 s9, s5, 31
	s_add_u32 s8, s8, s5
	s_mul_hi_u32 s5, s18, s33
	s_mul_i32 s4, s18, s4
	s_addc_u32 s9, s7, s9
	s_add_i32 s4, s5, s4
	s_mul_i32 s5, s19, s33
	s_add_i32 s4, s4, s5
	s_mul_i32 s5, s18, s33
	s_add_u32 s5, s12, s5
	s_mul_i32 s6, s6, s47
	s_addc_u32 s4, s13, s4
	s_ashr_i32 s7, s6, 31
	s_add_u32 s10, s5, s6
	v_lshlrev_b32_e32 v56, 2, v40
	s_addc_u32 s11, s4, s7
	s_lshl_b32 s28, s3, 6
	s_sub_i32 s31, s36, 64
	s_cmp_ge_i32 s28, s31
	v_mul_lo_u32 v46, v2, s29
	v_lshrrev_b32_e32 v39, 2, v40
	v_and_b32_e32 v38, 12, v56
	v_cmp_ne_u64_e64 s[6:7], 0, v[42:43]
	v_or_b32_e32 v86, 1, v63
	v_or_b32_e32 v83, 2, v63
	;; [unrolled: 1-line block ×7, first 2 shown]
	v_lshrrev_b32_e32 v68, 4, v40
	v_and_b32_e32 v67, 60, v56
	v_mbcnt_lo_u32_b32 v87, -1, 0
	s_cbranch_scc1 .LBB86_115
; %bb.8:
	v_add_u32_e32 v0, v39, v61
	v_mul_u32_u24_e32 v1, 0x50, v0
	v_lshlrev_b32_e32 v44, 2, v38
	s_movk_i32 s5, 0x6000
	v_mul_lo_u32 v0, s30, v0
	v_add3_u32 v47, v1, v44, s5
	v_ashrrev_i32_e32 v1, 31, v0
	v_lshl_add_u64 v[0:1], v[0:1], 2, s[8:9]
	v_mov_b32_e32 v45, 0
	s_movk_i32 s4, 0x50
	v_lshl_add_u64 v[4:5], v[0:1], 0, v[44:45]
	v_mov_b32_e32 v0, 0x6000
	v_mad_u32_u24 v92, v40, s4, v0
	v_mul_hi_u32 v0, s24, v86
	v_add_u32_e32 v0, v86, v0
	v_lshrrev_b32_e32 v0, s25, v0
	v_mul_lo_u32 v0, v0, s26
	v_sub_u32_e32 v0, v86, v0
	v_mul_lo_u32 v93, v0, s29
	v_mul_hi_u32 v0, s24, v83
	v_add_u32_e32 v0, v83, v0
	v_lshrrev_b32_e32 v0, s25, v0
	v_mul_lo_u32 v0, v0, s26
	v_sub_u32_e32 v0, v83, v0
	v_mul_lo_u32 v94, v0, s29
	;; [unrolled: 6-line block ×7, first 2 shown]
	v_mov_b32_e32 v0, 0x4000
	v_lshl_add_u32 v100, v66, 10, v0
	v_lshl_add_u32 v0, v66, 1, v68
	v_lshlrev_b32_e32 v44, 2, v67
	v_lshl_or_b32 v1, v0, 8, v44
	v_mul_lo_u32 v0, s2, v0
	v_add_u32_e32 v101, 0x6000, v1
	v_ashrrev_i32_e32 v1, 31, v0
	v_lshl_add_u64 v[0:1], v[0:1], 2, s[10:11]
	s_add_u32 s12, s0, 0xd0
	v_lshl_add_u64 v[6:7], v[0:1], 0, v[44:45]
	v_or_b32_e32 v102, 0x6000, v65
	s_addc_u32 s13, s1, 0
	v_mov_b32_e32 v13, 0xfeffffff
	s_mov_b32 s37, 0x3f200000
	s_mov_b32 s38, 0x3fb8aa3b
	;; [unrolled: 1-line block ×4, first 2 shown]
	v_mov_b32_e32 v103, 0x3ca908c9
	s_brev_b32 s41, -2
	s_mov_b32 s42, 0x10001
	v_add_u32_e32 v104, v100, v22
	v_mov_b32_e32 v105, 0x7f800000
	v_mbcnt_hi_u32_b32 v106, -1, v87
	v_mov_b32_e32 v44, v45
	v_mov_b32_e32 v73, v45
	;; [unrolled: 1-line block ×30, first 2 shown]
                                        ; implicit-def: $vgpr0
                                        ; implicit-def: $vgpr0
	;; [unrolled: 1-line block ×3, first 2 shown]
.LBB86_9:                               ; =>This Inner Loop Header: Depth=1
	s_mul_hi_i32 s5, s28, s30
	s_mul_i32 s4, s28, s30
	v_lshl_add_u64 v[8:9], s[4:5], 2, v[4:5]
	global_load_dwordx4 v[0:3], v[8:9], off
	v_mov_b32_e32 v109, 0
	v_mov_b32_e32 v36, 0
	;; [unrolled: 1-line block ×16, first 2 shown]
	s_waitcnt vmcnt(0)
	ds_write_b128 v47, v[0:3]
	s_waitcnt lgkmcnt(0)
	s_barrier
	ds_read_b128 v[0:3], v92
	ds_read_b128 v[112:115], v92 offset:2560
	ds_read_b128 v[116:119], v41
	ds_read_b128 v[120:123], v41 offset:256
	ds_read_b128 v[124:127], v41 offset:512
	;; [unrolled: 1-line block ×7, first 2 shown]
	s_waitcnt lgkmcnt(7)
	;;#ASMSTART
	v_dot2_f32_f16 v109, v0, v116, v109
	;;#ASMEND
	s_nop 0
	;;#ASMSTART
	v_dot2_f32_f16 v109, v1, v117, v109
	;;#ASMEND
	s_nop 0
	;;#ASMSTART
	v_dot2_f32_f16 v109, v2, v118, v109
	;;#ASMEND
	s_nop 0
	;;#ASMSTART
	v_dot2_f32_f16 v109, v3, v119, v109
	;;#ASMEND
	s_waitcnt lgkmcnt(6)
	;;#ASMSTART
	v_dot2_f32_f16 v36, v0, v120, v36
	;;#ASMEND
	s_nop 0
	;;#ASMSTART
	v_dot2_f32_f16 v36, v1, v121, v36
	;;#ASMEND
	s_nop 0
	;;#ASMSTART
	v_dot2_f32_f16 v36, v2, v122, v36
	;;#ASMEND
	s_nop 0
	;;#ASMSTART
	v_dot2_f32_f16 v36, v3, v123, v36
	;;#ASMEND
	;; [unrolled: 16-line block ×8, first 2 shown]
	;;#ASMSTART
	v_dot2_f32_f16 v110, v112, v116, v110
	;;#ASMEND
	s_nop 0
	;;#ASMSTART
	v_dot2_f32_f16 v110, v113, v117, v110
	;;#ASMEND
	s_nop 0
	;;#ASMSTART
	v_dot2_f32_f16 v110, v114, v118, v110
	;;#ASMEND
	s_nop 0
	;;#ASMSTART
	v_dot2_f32_f16 v110, v115, v119, v110
	;;#ASMEND
	;;#ASMSTART
	v_dot2_f32_f16 v37, v112, v120, v37
	;;#ASMEND
	s_nop 0
	;;#ASMSTART
	v_dot2_f32_f16 v37, v113, v121, v37
	;;#ASMEND
	s_nop 0
	;;#ASMSTART
	v_dot2_f32_f16 v37, v114, v122, v37
	;;#ASMEND
	s_nop 0
	;;#ASMSTART
	v_dot2_f32_f16 v37, v115, v123, v37
	;;#ASMEND
	;; [unrolled: 15-line block ×8, first 2 shown]
	ds_read_b128 v[112:115], v92 offset:16
	ds_read_b128 v[0:3], v92 offset:2576
	;; [unrolled: 1-line block ×10, first 2 shown]
	s_waitcnt lgkmcnt(7)
	;;#ASMSTART
	v_dot2_f32_f16 v109, v112, v116, v109
	;;#ASMEND
	s_nop 0
	;;#ASMSTART
	v_dot2_f32_f16 v109, v113, v117, v109
	;;#ASMEND
	s_nop 0
	;;#ASMSTART
	v_dot2_f32_f16 v109, v114, v118, v109
	;;#ASMEND
	s_nop 0
	;;#ASMSTART
	v_dot2_f32_f16 v109, v115, v119, v109
	;;#ASMEND
	s_waitcnt lgkmcnt(6)
	;;#ASMSTART
	v_dot2_f32_f16 v36, v112, v120, v36
	;;#ASMEND
	s_nop 0
	;;#ASMSTART
	v_dot2_f32_f16 v36, v113, v121, v36
	;;#ASMEND
	s_nop 0
	;;#ASMSTART
	v_dot2_f32_f16 v36, v114, v122, v36
	;;#ASMEND
	s_nop 0
	;;#ASMSTART
	v_dot2_f32_f16 v36, v115, v123, v36
	;;#ASMEND
	;; [unrolled: 16-line block ×8, first 2 shown]
	;;#ASMSTART
	v_dot2_f32_f16 v110, v0, v116, v110
	;;#ASMEND
	s_nop 0
	;;#ASMSTART
	v_dot2_f32_f16 v110, v1, v117, v110
	;;#ASMEND
	s_nop 0
	;;#ASMSTART
	v_dot2_f32_f16 v110, v2, v118, v110
	;;#ASMEND
	s_nop 0
	;;#ASMSTART
	v_dot2_f32_f16 v110, v3, v119, v110
	;;#ASMEND
	;;#ASMSTART
	v_dot2_f32_f16 v37, v0, v120, v37
	;;#ASMEND
	s_nop 0
	;;#ASMSTART
	v_dot2_f32_f16 v37, v1, v121, v37
	;;#ASMEND
	s_nop 0
	;;#ASMSTART
	v_dot2_f32_f16 v37, v2, v122, v37
	;;#ASMEND
	s_nop 0
	;;#ASMSTART
	v_dot2_f32_f16 v37, v3, v123, v37
	;;#ASMEND
	;; [unrolled: 15-line block ×8, first 2 shown]
	ds_read_b128 v[112:115], v92 offset:32
	ds_read_b128 v[0:3], v92 offset:2592
	;; [unrolled: 1-line block ×10, first 2 shown]
	s_waitcnt lgkmcnt(7)
	;;#ASMSTART
	v_dot2_f32_f16 v109, v112, v116, v109
	;;#ASMEND
	s_nop 0
	;;#ASMSTART
	v_dot2_f32_f16 v109, v113, v117, v109
	;;#ASMEND
	s_nop 0
	;;#ASMSTART
	v_dot2_f32_f16 v109, v114, v118, v109
	;;#ASMEND
	s_nop 0
	;;#ASMSTART
	v_dot2_f32_f16 v109, v115, v119, v109
	;;#ASMEND
	s_waitcnt lgkmcnt(6)
	;;#ASMSTART
	v_dot2_f32_f16 v36, v112, v120, v36
	;;#ASMEND
	s_nop 0
	;;#ASMSTART
	v_dot2_f32_f16 v36, v113, v121, v36
	;;#ASMEND
	s_nop 0
	;;#ASMSTART
	v_dot2_f32_f16 v36, v114, v122, v36
	;;#ASMEND
	s_nop 0
	;;#ASMSTART
	v_dot2_f32_f16 v36, v115, v123, v36
	;;#ASMEND
	;; [unrolled: 16-line block ×8, first 2 shown]
	;;#ASMSTART
	v_dot2_f32_f16 v110, v0, v116, v110
	;;#ASMEND
	s_nop 0
	;;#ASMSTART
	v_dot2_f32_f16 v110, v1, v117, v110
	;;#ASMEND
	s_nop 0
	;;#ASMSTART
	v_dot2_f32_f16 v110, v2, v118, v110
	;;#ASMEND
	s_nop 0
	;;#ASMSTART
	v_dot2_f32_f16 v110, v3, v119, v110
	;;#ASMEND
	;;#ASMSTART
	v_dot2_f32_f16 v37, v0, v120, v37
	;;#ASMEND
	s_nop 0
	;;#ASMSTART
	v_dot2_f32_f16 v37, v1, v121, v37
	;;#ASMEND
	s_nop 0
	;;#ASMSTART
	v_dot2_f32_f16 v37, v2, v122, v37
	;;#ASMEND
	s_nop 0
	;;#ASMSTART
	v_dot2_f32_f16 v37, v3, v123, v37
	;;#ASMEND
	;;#ASMSTART
	v_dot2_f32_f16 v35, v0, v124, v35
	;;#ASMEND
	s_nop 0
	;;#ASMSTART
	v_dot2_f32_f16 v35, v1, v125, v35
	;;#ASMEND
	s_nop 0
	;;#ASMSTART
	v_dot2_f32_f16 v35, v2, v126, v35
	;;#ASMEND
	s_nop 0
	;;#ASMSTART
	v_dot2_f32_f16 v35, v3, v127, v35
	;;#ASMEND
	;;#ASMSTART
	v_dot2_f32_f16 v31, v0, v128, v31
	;;#ASMEND
	s_nop 0
	;;#ASMSTART
	v_dot2_f32_f16 v31, v1, v129, v31
	;;#ASMEND
	s_nop 0
	;;#ASMSTART
	v_dot2_f32_f16 v31, v2, v130, v31
	;;#ASMEND
	s_nop 0
	;;#ASMSTART
	v_dot2_f32_f16 v31, v3, v131, v31
	;;#ASMEND
	;;#ASMSTART
	v_dot2_f32_f16 v29, v0, v132, v29
	;;#ASMEND
	s_nop 0
	;;#ASMSTART
	v_dot2_f32_f16 v29, v1, v133, v29
	;;#ASMEND
	s_nop 0
	;;#ASMSTART
	v_dot2_f32_f16 v29, v2, v134, v29
	;;#ASMEND
	s_nop 0
	;;#ASMSTART
	v_dot2_f32_f16 v29, v3, v135, v29
	;;#ASMEND
	;;#ASMSTART
	v_dot2_f32_f16 v27, v0, v136, v27
	;;#ASMEND
	s_nop 0
	;;#ASMSTART
	v_dot2_f32_f16 v27, v1, v137, v27
	;;#ASMEND
	s_nop 0
	;;#ASMSTART
	v_dot2_f32_f16 v27, v2, v138, v27
	;;#ASMEND
	s_nop 0
	;;#ASMSTART
	v_dot2_f32_f16 v27, v3, v139, v27
	;;#ASMEND
	;;#ASMSTART
	v_dot2_f32_f16 v25, v0, v140, v25
	;;#ASMEND
	s_nop 0
	;;#ASMSTART
	v_dot2_f32_f16 v25, v1, v141, v25
	;;#ASMEND
	s_nop 0
	;;#ASMSTART
	v_dot2_f32_f16 v25, v2, v142, v25
	;;#ASMEND
	s_nop 0
	;;#ASMSTART
	v_dot2_f32_f16 v25, v3, v143, v25
	;;#ASMEND
	;;#ASMSTART
	v_dot2_f32_f16 v15, v0, v144, v15
	;;#ASMEND
	s_nop 0
	;;#ASMSTART
	v_dot2_f32_f16 v15, v1, v145, v15
	;;#ASMEND
	s_nop 0
	;;#ASMSTART
	v_dot2_f32_f16 v15, v2, v146, v15
	;;#ASMEND
	s_nop 0
	;;#ASMSTART
	v_dot2_f32_f16 v15, v3, v147, v15
	;;#ASMEND
	ds_read_b128 v[112:115], v92 offset:48
	ds_read_b128 v[0:3], v92 offset:2608
	;; [unrolled: 1-line block ×10, first 2 shown]
	s_waitcnt lgkmcnt(7)
	;;#ASMSTART
	v_dot2_f32_f16 v109, v112, v116, v109
	;;#ASMEND
	s_nop 0
	;;#ASMSTART
	v_dot2_f32_f16 v109, v113, v117, v109
	;;#ASMEND
	s_nop 0
	;;#ASMSTART
	v_dot2_f32_f16 v109, v114, v118, v109
	;;#ASMEND
	s_nop 0
	;;#ASMSTART
	v_dot2_f32_f16 v109, v115, v119, v109
	;;#ASMEND
	s_waitcnt lgkmcnt(6)
	;;#ASMSTART
	v_dot2_f32_f16 v36, v112, v120, v36
	;;#ASMEND
	s_nop 0
	;;#ASMSTART
	v_dot2_f32_f16 v36, v113, v121, v36
	;;#ASMEND
	s_nop 0
	;;#ASMSTART
	v_dot2_f32_f16 v36, v114, v122, v36
	;;#ASMEND
	s_nop 0
	;;#ASMSTART
	v_dot2_f32_f16 v36, v115, v123, v36
	;;#ASMEND
	;; [unrolled: 16-line block ×8, first 2 shown]
	;;#ASMSTART
	v_dot2_f32_f16 v110, v0, v116, v110
	;;#ASMEND
	s_nop 0
	;;#ASMSTART
	v_dot2_f32_f16 v110, v1, v117, v110
	;;#ASMEND
	s_nop 0
	;;#ASMSTART
	v_dot2_f32_f16 v110, v2, v118, v110
	;;#ASMEND
	s_nop 0
	;;#ASMSTART
	v_dot2_f32_f16 v110, v3, v119, v110
	;;#ASMEND
	;;#ASMSTART
	v_dot2_f32_f16 v37, v0, v120, v37
	;;#ASMEND
	s_nop 0
	;;#ASMSTART
	v_dot2_f32_f16 v37, v1, v121, v37
	;;#ASMEND
	s_nop 0
	;;#ASMSTART
	v_dot2_f32_f16 v37, v2, v122, v37
	;;#ASMEND
	s_nop 0
	;;#ASMSTART
	v_dot2_f32_f16 v37, v3, v123, v37
	;;#ASMEND
	;; [unrolled: 15-line block ×8, first 2 shown]
	s_barrier
	global_load_dwordx4 v[0:3], v[8:9], off offset:64
	s_waitcnt vmcnt(0)
	ds_write_b128 v47, v[0:3]
	s_waitcnt lgkmcnt(0)
	s_barrier
	ds_read_b128 v[112:115], v92
	ds_read_b128 v[0:3], v92 offset:2560
	ds_read_b128 v[116:119], v41 offset:64
	;; [unrolled: 1-line block ×9, first 2 shown]
	s_waitcnt lgkmcnt(7)
	;;#ASMSTART
	v_dot2_f32_f16 v109, v112, v116, v109
	;;#ASMEND
	s_nop 0
	;;#ASMSTART
	v_dot2_f32_f16 v109, v113, v117, v109
	;;#ASMEND
	s_nop 0
	;;#ASMSTART
	v_dot2_f32_f16 v109, v114, v118, v109
	;;#ASMEND
	s_nop 0
	;;#ASMSTART
	v_dot2_f32_f16 v109, v115, v119, v109
	;;#ASMEND
	s_waitcnt lgkmcnt(6)
	;;#ASMSTART
	v_dot2_f32_f16 v36, v112, v120, v36
	;;#ASMEND
	s_nop 0
	;;#ASMSTART
	v_dot2_f32_f16 v36, v113, v121, v36
	;;#ASMEND
	s_nop 0
	;;#ASMSTART
	v_dot2_f32_f16 v36, v114, v122, v36
	;;#ASMEND
	s_nop 0
	;;#ASMSTART
	v_dot2_f32_f16 v36, v115, v123, v36
	;;#ASMEND
	;; [unrolled: 16-line block ×8, first 2 shown]
	;;#ASMSTART
	v_dot2_f32_f16 v110, v0, v116, v110
	;;#ASMEND
	s_nop 0
	;;#ASMSTART
	v_dot2_f32_f16 v110, v1, v117, v110
	;;#ASMEND
	s_nop 0
	;;#ASMSTART
	v_dot2_f32_f16 v110, v2, v118, v110
	;;#ASMEND
	s_nop 0
	;;#ASMSTART
	v_dot2_f32_f16 v110, v3, v119, v110
	;;#ASMEND
	;;#ASMSTART
	v_dot2_f32_f16 v37, v0, v120, v37
	;;#ASMEND
	s_nop 0
	;;#ASMSTART
	v_dot2_f32_f16 v37, v1, v121, v37
	;;#ASMEND
	s_nop 0
	;;#ASMSTART
	v_dot2_f32_f16 v37, v2, v122, v37
	;;#ASMEND
	s_nop 0
	;;#ASMSTART
	v_dot2_f32_f16 v37, v3, v123, v37
	;;#ASMEND
	;;#ASMSTART
	v_dot2_f32_f16 v35, v0, v124, v35
	;;#ASMEND
	s_nop 0
	;;#ASMSTART
	v_dot2_f32_f16 v35, v1, v125, v35
	;;#ASMEND
	s_nop 0
	;;#ASMSTART
	v_dot2_f32_f16 v35, v2, v126, v35
	;;#ASMEND
	s_nop 0
	;;#ASMSTART
	v_dot2_f32_f16 v35, v3, v127, v35
	;;#ASMEND
	;;#ASMSTART
	v_dot2_f32_f16 v31, v0, v128, v31
	;;#ASMEND
	s_nop 0
	;;#ASMSTART
	v_dot2_f32_f16 v31, v1, v129, v31
	;;#ASMEND
	s_nop 0
	;;#ASMSTART
	v_dot2_f32_f16 v31, v2, v130, v31
	;;#ASMEND
	s_nop 0
	;;#ASMSTART
	v_dot2_f32_f16 v31, v3, v131, v31
	;;#ASMEND
	;;#ASMSTART
	v_dot2_f32_f16 v29, v0, v132, v29
	;;#ASMEND
	s_nop 0
	;;#ASMSTART
	v_dot2_f32_f16 v29, v1, v133, v29
	;;#ASMEND
	s_nop 0
	;;#ASMSTART
	v_dot2_f32_f16 v29, v2, v134, v29
	;;#ASMEND
	s_nop 0
	;;#ASMSTART
	v_dot2_f32_f16 v29, v3, v135, v29
	;;#ASMEND
	;;#ASMSTART
	v_dot2_f32_f16 v27, v0, v136, v27
	;;#ASMEND
	s_nop 0
	;;#ASMSTART
	v_dot2_f32_f16 v27, v1, v137, v27
	;;#ASMEND
	s_nop 0
	;;#ASMSTART
	v_dot2_f32_f16 v27, v2, v138, v27
	;;#ASMEND
	s_nop 0
	;;#ASMSTART
	v_dot2_f32_f16 v27, v3, v139, v27
	;;#ASMEND
	;;#ASMSTART
	v_dot2_f32_f16 v25, v0, v140, v25
	;;#ASMEND
	s_nop 0
	;;#ASMSTART
	v_dot2_f32_f16 v25, v1, v141, v25
	;;#ASMEND
	s_nop 0
	;;#ASMSTART
	v_dot2_f32_f16 v25, v2, v142, v25
	;;#ASMEND
	s_nop 0
	;;#ASMSTART
	v_dot2_f32_f16 v25, v3, v143, v25
	;;#ASMEND
	;;#ASMSTART
	v_dot2_f32_f16 v15, v0, v144, v15
	;;#ASMEND
	s_nop 0
	;;#ASMSTART
	v_dot2_f32_f16 v15, v1, v145, v15
	;;#ASMEND
	s_nop 0
	;;#ASMSTART
	v_dot2_f32_f16 v15, v2, v146, v15
	;;#ASMEND
	s_nop 0
	;;#ASMSTART
	v_dot2_f32_f16 v15, v3, v147, v15
	;;#ASMEND
	ds_read_b128 v[112:115], v92 offset:16
	ds_read_b128 v[0:3], v92 offset:2576
	;; [unrolled: 1-line block ×10, first 2 shown]
	s_waitcnt lgkmcnt(7)
	;;#ASMSTART
	v_dot2_f32_f16 v109, v112, v116, v109
	;;#ASMEND
	s_nop 0
	;;#ASMSTART
	v_dot2_f32_f16 v109, v113, v117, v109
	;;#ASMEND
	s_nop 0
	;;#ASMSTART
	v_dot2_f32_f16 v109, v114, v118, v109
	;;#ASMEND
	s_nop 0
	;;#ASMSTART
	v_dot2_f32_f16 v109, v115, v119, v109
	;;#ASMEND
	s_waitcnt lgkmcnt(6)
	;;#ASMSTART
	v_dot2_f32_f16 v36, v112, v120, v36
	;;#ASMEND
	s_nop 0
	;;#ASMSTART
	v_dot2_f32_f16 v36, v113, v121, v36
	;;#ASMEND
	s_nop 0
	;;#ASMSTART
	v_dot2_f32_f16 v36, v114, v122, v36
	;;#ASMEND
	s_nop 0
	;;#ASMSTART
	v_dot2_f32_f16 v36, v115, v123, v36
	;;#ASMEND
	s_waitcnt lgkmcnt(5)
	;;#ASMSTART
	v_dot2_f32_f16 v34, v112, v124, v34
	;;#ASMEND
	s_nop 0
	;;#ASMSTART
	v_dot2_f32_f16 v34, v113, v125, v34
	;;#ASMEND
	s_nop 0
	;;#ASMSTART
	v_dot2_f32_f16 v34, v114, v126, v34
	;;#ASMEND
	s_nop 0
	;;#ASMSTART
	v_dot2_f32_f16 v34, v115, v127, v34
	;;#ASMEND
	s_waitcnt lgkmcnt(4)
	;;#ASMSTART
	v_dot2_f32_f16 v30, v112, v128, v30
	;;#ASMEND
	s_nop 0
	;;#ASMSTART
	v_dot2_f32_f16 v30, v113, v129, v30
	;;#ASMEND
	s_nop 0
	;;#ASMSTART
	v_dot2_f32_f16 v30, v114, v130, v30
	;;#ASMEND
	s_nop 0
	;;#ASMSTART
	v_dot2_f32_f16 v30, v115, v131, v30
	;;#ASMEND
	s_waitcnt lgkmcnt(3)
	;;#ASMSTART
	v_dot2_f32_f16 v28, v112, v132, v28
	;;#ASMEND
	s_nop 0
	;;#ASMSTART
	v_dot2_f32_f16 v28, v113, v133, v28
	;;#ASMEND
	s_nop 0
	;;#ASMSTART
	v_dot2_f32_f16 v28, v114, v134, v28
	;;#ASMEND
	s_nop 0
	;;#ASMSTART
	v_dot2_f32_f16 v28, v115, v135, v28
	;;#ASMEND
	s_waitcnt lgkmcnt(2)
	;;#ASMSTART
	v_dot2_f32_f16 v26, v112, v136, v26
	;;#ASMEND
	s_nop 0
	;;#ASMSTART
	v_dot2_f32_f16 v26, v113, v137, v26
	;;#ASMEND
	s_nop 0
	;;#ASMSTART
	v_dot2_f32_f16 v26, v114, v138, v26
	;;#ASMEND
	s_nop 0
	;;#ASMSTART
	v_dot2_f32_f16 v26, v115, v139, v26
	;;#ASMEND
	s_waitcnt lgkmcnt(1)
	;;#ASMSTART
	v_dot2_f32_f16 v24, v112, v140, v24
	;;#ASMEND
	s_nop 0
	;;#ASMSTART
	v_dot2_f32_f16 v24, v113, v141, v24
	;;#ASMEND
	s_nop 0
	;;#ASMSTART
	v_dot2_f32_f16 v24, v114, v142, v24
	;;#ASMEND
	s_nop 0
	;;#ASMSTART
	v_dot2_f32_f16 v24, v115, v143, v24
	;;#ASMEND
	s_waitcnt lgkmcnt(0)
	;;#ASMSTART
	v_dot2_f32_f16 v14, v112, v144, v14
	;;#ASMEND
	s_nop 0
	;;#ASMSTART
	v_dot2_f32_f16 v14, v113, v145, v14
	;;#ASMEND
	s_nop 0
	;;#ASMSTART
	v_dot2_f32_f16 v14, v114, v146, v14
	;;#ASMEND
	s_nop 0
	;;#ASMSTART
	v_dot2_f32_f16 v14, v115, v147, v14
	;;#ASMEND
	;;#ASMSTART
	v_dot2_f32_f16 v110, v0, v116, v110
	;;#ASMEND
	s_nop 0
	;;#ASMSTART
	v_dot2_f32_f16 v110, v1, v117, v110
	;;#ASMEND
	s_nop 0
	;;#ASMSTART
	v_dot2_f32_f16 v110, v2, v118, v110
	;;#ASMEND
	s_nop 0
	;;#ASMSTART
	v_dot2_f32_f16 v110, v3, v119, v110
	;;#ASMEND
	;;#ASMSTART
	v_dot2_f32_f16 v37, v0, v120, v37
	;;#ASMEND
	s_nop 0
	;;#ASMSTART
	v_dot2_f32_f16 v37, v1, v121, v37
	;;#ASMEND
	s_nop 0
	;;#ASMSTART
	v_dot2_f32_f16 v37, v2, v122, v37
	;;#ASMEND
	s_nop 0
	;;#ASMSTART
	v_dot2_f32_f16 v37, v3, v123, v37
	;;#ASMEND
	;; [unrolled: 15-line block ×8, first 2 shown]
	ds_read_b128 v[112:115], v92 offset:32
	ds_read_b128 v[0:3], v92 offset:2592
	;; [unrolled: 1-line block ×10, first 2 shown]
	s_waitcnt lgkmcnt(7)
	;;#ASMSTART
	v_dot2_f32_f16 v109, v112, v116, v109
	;;#ASMEND
	s_nop 0
	;;#ASMSTART
	v_dot2_f32_f16 v109, v113, v117, v109
	;;#ASMEND
	s_nop 0
	;;#ASMSTART
	v_dot2_f32_f16 v109, v114, v118, v109
	;;#ASMEND
	s_nop 0
	;;#ASMSTART
	v_dot2_f32_f16 v109, v115, v119, v109
	;;#ASMEND
	s_waitcnt lgkmcnt(6)
	;;#ASMSTART
	v_dot2_f32_f16 v36, v112, v120, v36
	;;#ASMEND
	s_nop 0
	;;#ASMSTART
	v_dot2_f32_f16 v36, v113, v121, v36
	;;#ASMEND
	s_nop 0
	;;#ASMSTART
	v_dot2_f32_f16 v36, v114, v122, v36
	;;#ASMEND
	s_nop 0
	;;#ASMSTART
	v_dot2_f32_f16 v36, v115, v123, v36
	;;#ASMEND
	;; [unrolled: 16-line block ×8, first 2 shown]
	;;#ASMSTART
	v_dot2_f32_f16 v110, v0, v116, v110
	;;#ASMEND
	s_nop 0
	;;#ASMSTART
	v_dot2_f32_f16 v110, v1, v117, v110
	;;#ASMEND
	s_nop 0
	;;#ASMSTART
	v_dot2_f32_f16 v110, v2, v118, v110
	;;#ASMEND
	s_nop 0
	;;#ASMSTART
	v_dot2_f32_f16 v110, v3, v119, v110
	;;#ASMEND
	;;#ASMSTART
	v_dot2_f32_f16 v37, v0, v120, v37
	;;#ASMEND
	s_nop 0
	;;#ASMSTART
	v_dot2_f32_f16 v37, v1, v121, v37
	;;#ASMEND
	s_nop 0
	;;#ASMSTART
	v_dot2_f32_f16 v37, v2, v122, v37
	;;#ASMEND
	s_nop 0
	;;#ASMSTART
	v_dot2_f32_f16 v37, v3, v123, v37
	;;#ASMEND
	;; [unrolled: 15-line block ×8, first 2 shown]
	ds_read_b128 v[112:115], v92 offset:48
	ds_read_b128 v[0:3], v92 offset:2608
	;; [unrolled: 1-line block ×10, first 2 shown]
	s_waitcnt lgkmcnt(7)
	;;#ASMSTART
	v_dot2_f32_f16 v109, v112, v116, v109
	;;#ASMEND
	s_nop 0
	;;#ASMSTART
	v_dot2_f32_f16 v109, v113, v117, v109
	;;#ASMEND
	s_nop 0
	;;#ASMSTART
	v_dot2_f32_f16 v109, v114, v118, v109
	;;#ASMEND
	s_nop 0
	;;#ASMSTART
	v_dot2_f32_f16 v109, v115, v119, v109
	;;#ASMEND
	s_waitcnt lgkmcnt(6)
	;;#ASMSTART
	v_dot2_f32_f16 v36, v112, v120, v36
	;;#ASMEND
	s_nop 0
	;;#ASMSTART
	v_dot2_f32_f16 v36, v113, v121, v36
	;;#ASMEND
	s_nop 0
	;;#ASMSTART
	v_dot2_f32_f16 v36, v114, v122, v36
	;;#ASMEND
	s_nop 0
	;;#ASMSTART
	v_dot2_f32_f16 v36, v115, v123, v36
	;;#ASMEND
	;; [unrolled: 16-line block ×8, first 2 shown]
	;;#ASMSTART
	v_dot2_f32_f16 v110, v0, v116, v110
	;;#ASMEND
	s_nop 0
	;;#ASMSTART
	v_dot2_f32_f16 v110, v1, v117, v110
	;;#ASMEND
	s_nop 0
	;;#ASMSTART
	v_dot2_f32_f16 v110, v2, v118, v110
	;;#ASMEND
	s_nop 0
	;;#ASMSTART
	v_dot2_f32_f16 v110, v3, v119, v110
	;;#ASMEND
	;;#ASMSTART
	v_dot2_f32_f16 v37, v0, v120, v37
	;;#ASMEND
	s_nop 0
	;;#ASMSTART
	v_dot2_f32_f16 v37, v1, v121, v37
	;;#ASMEND
	s_nop 0
	;;#ASMSTART
	v_dot2_f32_f16 v37, v2, v122, v37
	;;#ASMEND
	s_nop 0
	;;#ASMSTART
	v_dot2_f32_f16 v37, v3, v123, v37
	;;#ASMEND
	;; [unrolled: 15-line block ×8, first 2 shown]
	s_barrier
	global_load_dwordx4 v[0:3], v[8:9], off offset:128
	s_waitcnt vmcnt(0)
	ds_write_b128 v47, v[0:3]
	s_waitcnt lgkmcnt(0)
	s_barrier
	ds_read_b128 v[112:115], v92
	ds_read_b128 v[0:3], v92 offset:2560
	ds_read_b128 v[116:119], v41 offset:128
	;; [unrolled: 1-line block ×9, first 2 shown]
	s_waitcnt lgkmcnt(7)
	;;#ASMSTART
	v_dot2_f32_f16 v109, v112, v116, v109
	;;#ASMEND
	s_nop 0
	;;#ASMSTART
	v_dot2_f32_f16 v109, v113, v117, v109
	;;#ASMEND
	s_nop 0
	;;#ASMSTART
	v_dot2_f32_f16 v109, v114, v118, v109
	;;#ASMEND
	s_nop 0
	;;#ASMSTART
	v_dot2_f32_f16 v109, v115, v119, v109
	;;#ASMEND
	s_waitcnt lgkmcnt(6)
	;;#ASMSTART
	v_dot2_f32_f16 v36, v112, v120, v36
	;;#ASMEND
	s_nop 0
	;;#ASMSTART
	v_dot2_f32_f16 v36, v113, v121, v36
	;;#ASMEND
	s_nop 0
	;;#ASMSTART
	v_dot2_f32_f16 v36, v114, v122, v36
	;;#ASMEND
	s_nop 0
	;;#ASMSTART
	v_dot2_f32_f16 v36, v115, v123, v36
	;;#ASMEND
	;; [unrolled: 16-line block ×8, first 2 shown]
	;;#ASMSTART
	v_dot2_f32_f16 v110, v0, v116, v110
	;;#ASMEND
	s_nop 0
	;;#ASMSTART
	v_dot2_f32_f16 v110, v1, v117, v110
	;;#ASMEND
	s_nop 0
	;;#ASMSTART
	v_dot2_f32_f16 v110, v2, v118, v110
	;;#ASMEND
	s_nop 0
	;;#ASMSTART
	v_dot2_f32_f16 v110, v3, v119, v110
	;;#ASMEND
	;;#ASMSTART
	v_dot2_f32_f16 v37, v0, v120, v37
	;;#ASMEND
	s_nop 0
	;;#ASMSTART
	v_dot2_f32_f16 v37, v1, v121, v37
	;;#ASMEND
	s_nop 0
	;;#ASMSTART
	v_dot2_f32_f16 v37, v2, v122, v37
	;;#ASMEND
	s_nop 0
	;;#ASMSTART
	v_dot2_f32_f16 v37, v3, v123, v37
	;;#ASMEND
	;; [unrolled: 15-line block ×8, first 2 shown]
	ds_read_b128 v[112:115], v92 offset:16
	ds_read_b128 v[0:3], v92 offset:2576
	;; [unrolled: 1-line block ×10, first 2 shown]
	s_waitcnt lgkmcnt(7)
	;;#ASMSTART
	v_dot2_f32_f16 v109, v112, v116, v109
	;;#ASMEND
	s_nop 0
	;;#ASMSTART
	v_dot2_f32_f16 v109, v113, v117, v109
	;;#ASMEND
	s_nop 0
	;;#ASMSTART
	v_dot2_f32_f16 v109, v114, v118, v109
	;;#ASMEND
	s_nop 0
	;;#ASMSTART
	v_dot2_f32_f16 v109, v115, v119, v109
	;;#ASMEND
	s_waitcnt lgkmcnt(6)
	;;#ASMSTART
	v_dot2_f32_f16 v36, v112, v120, v36
	;;#ASMEND
	s_nop 0
	;;#ASMSTART
	v_dot2_f32_f16 v36, v113, v121, v36
	;;#ASMEND
	s_nop 0
	;;#ASMSTART
	v_dot2_f32_f16 v36, v114, v122, v36
	;;#ASMEND
	s_nop 0
	;;#ASMSTART
	v_dot2_f32_f16 v36, v115, v123, v36
	;;#ASMEND
	;; [unrolled: 16-line block ×8, first 2 shown]
	;;#ASMSTART
	v_dot2_f32_f16 v110, v0, v116, v110
	;;#ASMEND
	s_nop 0
	;;#ASMSTART
	v_dot2_f32_f16 v110, v1, v117, v110
	;;#ASMEND
	s_nop 0
	;;#ASMSTART
	v_dot2_f32_f16 v110, v2, v118, v110
	;;#ASMEND
	s_nop 0
	;;#ASMSTART
	v_dot2_f32_f16 v110, v3, v119, v110
	;;#ASMEND
	;;#ASMSTART
	v_dot2_f32_f16 v37, v0, v120, v37
	;;#ASMEND
	s_nop 0
	;;#ASMSTART
	v_dot2_f32_f16 v37, v1, v121, v37
	;;#ASMEND
	s_nop 0
	;;#ASMSTART
	v_dot2_f32_f16 v37, v2, v122, v37
	;;#ASMEND
	s_nop 0
	;;#ASMSTART
	v_dot2_f32_f16 v37, v3, v123, v37
	;;#ASMEND
	;; [unrolled: 15-line block ×8, first 2 shown]
	ds_read_b128 v[112:115], v92 offset:32
	ds_read_b128 v[0:3], v92 offset:2592
	;; [unrolled: 1-line block ×10, first 2 shown]
	s_waitcnt lgkmcnt(7)
	;;#ASMSTART
	v_dot2_f32_f16 v109, v112, v116, v109
	;;#ASMEND
	s_nop 0
	;;#ASMSTART
	v_dot2_f32_f16 v109, v113, v117, v109
	;;#ASMEND
	s_nop 0
	;;#ASMSTART
	v_dot2_f32_f16 v109, v114, v118, v109
	;;#ASMEND
	s_nop 0
	;;#ASMSTART
	v_dot2_f32_f16 v109, v115, v119, v109
	;;#ASMEND
	s_waitcnt lgkmcnt(6)
	;;#ASMSTART
	v_dot2_f32_f16 v36, v112, v120, v36
	;;#ASMEND
	s_nop 0
	;;#ASMSTART
	v_dot2_f32_f16 v36, v113, v121, v36
	;;#ASMEND
	s_nop 0
	;;#ASMSTART
	v_dot2_f32_f16 v36, v114, v122, v36
	;;#ASMEND
	s_nop 0
	;;#ASMSTART
	v_dot2_f32_f16 v36, v115, v123, v36
	;;#ASMEND
	;; [unrolled: 16-line block ×8, first 2 shown]
	;;#ASMSTART
	v_dot2_f32_f16 v110, v0, v116, v110
	;;#ASMEND
	s_nop 0
	;;#ASMSTART
	v_dot2_f32_f16 v110, v1, v117, v110
	;;#ASMEND
	s_nop 0
	;;#ASMSTART
	v_dot2_f32_f16 v110, v2, v118, v110
	;;#ASMEND
	s_nop 0
	;;#ASMSTART
	v_dot2_f32_f16 v110, v3, v119, v110
	;;#ASMEND
	;;#ASMSTART
	v_dot2_f32_f16 v37, v0, v120, v37
	;;#ASMEND
	s_nop 0
	;;#ASMSTART
	v_dot2_f32_f16 v37, v1, v121, v37
	;;#ASMEND
	s_nop 0
	;;#ASMSTART
	v_dot2_f32_f16 v37, v2, v122, v37
	;;#ASMEND
	s_nop 0
	;;#ASMSTART
	v_dot2_f32_f16 v37, v3, v123, v37
	;;#ASMEND
	;; [unrolled: 15-line block ×8, first 2 shown]
	ds_read_b128 v[112:115], v92 offset:48
	ds_read_b128 v[0:3], v92 offset:2608
	;; [unrolled: 1-line block ×10, first 2 shown]
	s_waitcnt lgkmcnt(7)
	;;#ASMSTART
	v_dot2_f32_f16 v109, v112, v116, v109
	;;#ASMEND
	s_nop 0
	;;#ASMSTART
	v_dot2_f32_f16 v109, v113, v117, v109
	;;#ASMEND
	s_nop 0
	;;#ASMSTART
	v_dot2_f32_f16 v109, v114, v118, v109
	;;#ASMEND
	s_nop 0
	;;#ASMSTART
	v_dot2_f32_f16 v109, v115, v119, v109
	;;#ASMEND
	s_waitcnt lgkmcnt(6)
	;;#ASMSTART
	v_dot2_f32_f16 v36, v112, v120, v36
	;;#ASMEND
	s_nop 0
	;;#ASMSTART
	v_dot2_f32_f16 v36, v113, v121, v36
	;;#ASMEND
	s_nop 0
	;;#ASMSTART
	v_dot2_f32_f16 v36, v114, v122, v36
	;;#ASMEND
	s_nop 0
	;;#ASMSTART
	v_dot2_f32_f16 v36, v115, v123, v36
	;;#ASMEND
	;; [unrolled: 16-line block ×8, first 2 shown]
	;;#ASMSTART
	v_dot2_f32_f16 v110, v0, v116, v110
	;;#ASMEND
	s_nop 0
	;;#ASMSTART
	v_dot2_f32_f16 v110, v1, v117, v110
	;;#ASMEND
	s_nop 0
	;;#ASMSTART
	v_dot2_f32_f16 v110, v2, v118, v110
	;;#ASMEND
	s_nop 0
	;;#ASMSTART
	v_dot2_f32_f16 v110, v3, v119, v110
	;;#ASMEND
	;;#ASMSTART
	v_dot2_f32_f16 v37, v0, v120, v37
	;;#ASMEND
	s_nop 0
	;;#ASMSTART
	v_dot2_f32_f16 v37, v1, v121, v37
	;;#ASMEND
	s_nop 0
	;;#ASMSTART
	v_dot2_f32_f16 v37, v2, v122, v37
	;;#ASMEND
	s_nop 0
	;;#ASMSTART
	v_dot2_f32_f16 v37, v3, v123, v37
	;;#ASMEND
	;; [unrolled: 15-line block ×8, first 2 shown]
	s_barrier
	global_load_dwordx4 v[0:3], v[8:9], off offset:192
                                        ; implicit-def: $vgpr8
	s_waitcnt vmcnt(0)
	ds_write_b128 v47, v[0:3]
	s_waitcnt lgkmcnt(0)
	s_barrier
	ds_read_b128 v[112:115], v92
	ds_read_b128 v[0:3], v92 offset:2560
	ds_read_b128 v[116:119], v41 offset:192
	;; [unrolled: 1-line block ×9, first 2 shown]
	s_waitcnt lgkmcnt(7)
	;;#ASMSTART
	v_dot2_f32_f16 v109, v112, v116, v109
	;;#ASMEND
	s_nop 0
	;;#ASMSTART
	v_dot2_f32_f16 v109, v113, v117, v109
	;;#ASMEND
	s_nop 0
	;;#ASMSTART
	v_dot2_f32_f16 v109, v114, v118, v109
	;;#ASMEND
	s_nop 0
	;;#ASMSTART
	v_dot2_f32_f16 v109, v115, v119, v109
	;;#ASMEND
	s_waitcnt lgkmcnt(6)
	;;#ASMSTART
	v_dot2_f32_f16 v36, v112, v120, v36
	;;#ASMEND
	s_nop 0
	;;#ASMSTART
	v_dot2_f32_f16 v36, v113, v121, v36
	;;#ASMEND
	s_nop 0
	;;#ASMSTART
	v_dot2_f32_f16 v36, v114, v122, v36
	;;#ASMEND
	s_nop 0
	;;#ASMSTART
	v_dot2_f32_f16 v36, v115, v123, v36
	;;#ASMEND
	;; [unrolled: 16-line block ×8, first 2 shown]
	;;#ASMSTART
	v_dot2_f32_f16 v110, v0, v116, v110
	;;#ASMEND
	s_nop 0
	;;#ASMSTART
	v_dot2_f32_f16 v110, v1, v117, v110
	;;#ASMEND
	s_nop 0
	;;#ASMSTART
	v_dot2_f32_f16 v110, v2, v118, v110
	;;#ASMEND
	s_nop 0
	;;#ASMSTART
	v_dot2_f32_f16 v110, v3, v119, v110
	;;#ASMEND
	;;#ASMSTART
	v_dot2_f32_f16 v37, v0, v120, v37
	;;#ASMEND
	s_nop 0
	;;#ASMSTART
	v_dot2_f32_f16 v37, v1, v121, v37
	;;#ASMEND
	s_nop 0
	;;#ASMSTART
	v_dot2_f32_f16 v37, v2, v122, v37
	;;#ASMEND
	s_nop 0
	;;#ASMSTART
	v_dot2_f32_f16 v37, v3, v123, v37
	;;#ASMEND
	;; [unrolled: 15-line block ×8, first 2 shown]
	ds_read_b128 v[112:115], v92 offset:16
	ds_read_b128 v[0:3], v92 offset:2576
	;; [unrolled: 1-line block ×10, first 2 shown]
	s_waitcnt lgkmcnt(7)
	;;#ASMSTART
	v_dot2_f32_f16 v109, v112, v116, v109
	;;#ASMEND
	s_nop 0
	;;#ASMSTART
	v_dot2_f32_f16 v109, v113, v117, v109
	;;#ASMEND
	s_nop 0
	;;#ASMSTART
	v_dot2_f32_f16 v109, v114, v118, v109
	;;#ASMEND
	s_nop 0
	;;#ASMSTART
	v_dot2_f32_f16 v109, v115, v119, v109
	;;#ASMEND
	s_waitcnt lgkmcnt(6)
	;;#ASMSTART
	v_dot2_f32_f16 v36, v112, v120, v36
	;;#ASMEND
	s_nop 0
	;;#ASMSTART
	v_dot2_f32_f16 v36, v113, v121, v36
	;;#ASMEND
	s_nop 0
	;;#ASMSTART
	v_dot2_f32_f16 v36, v114, v122, v36
	;;#ASMEND
	s_nop 0
	;;#ASMSTART
	v_dot2_f32_f16 v36, v115, v123, v36
	;;#ASMEND
	;; [unrolled: 16-line block ×8, first 2 shown]
	;;#ASMSTART
	v_dot2_f32_f16 v110, v0, v116, v110
	;;#ASMEND
	s_nop 0
	;;#ASMSTART
	v_dot2_f32_f16 v110, v1, v117, v110
	;;#ASMEND
	s_nop 0
	;;#ASMSTART
	v_dot2_f32_f16 v110, v2, v118, v110
	;;#ASMEND
	s_nop 0
	;;#ASMSTART
	v_dot2_f32_f16 v110, v3, v119, v110
	;;#ASMEND
	;;#ASMSTART
	v_dot2_f32_f16 v37, v0, v120, v37
	;;#ASMEND
	s_nop 0
	;;#ASMSTART
	v_dot2_f32_f16 v37, v1, v121, v37
	;;#ASMEND
	s_nop 0
	;;#ASMSTART
	v_dot2_f32_f16 v37, v2, v122, v37
	;;#ASMEND
	s_nop 0
	;;#ASMSTART
	v_dot2_f32_f16 v37, v3, v123, v37
	;;#ASMEND
	;; [unrolled: 15-line block ×8, first 2 shown]
	ds_read_b128 v[112:115], v92 offset:32
	ds_read_b128 v[0:3], v92 offset:2592
	;; [unrolled: 1-line block ×10, first 2 shown]
	s_waitcnt lgkmcnt(7)
	;;#ASMSTART
	v_dot2_f32_f16 v109, v112, v116, v109
	;;#ASMEND
	s_nop 0
	;;#ASMSTART
	v_dot2_f32_f16 v109, v113, v117, v109
	;;#ASMEND
	s_nop 0
	;;#ASMSTART
	v_dot2_f32_f16 v109, v114, v118, v109
	;;#ASMEND
	s_nop 0
	;;#ASMSTART
	v_dot2_f32_f16 v109, v115, v119, v109
	;;#ASMEND
	s_waitcnt lgkmcnt(6)
	;;#ASMSTART
	v_dot2_f32_f16 v36, v112, v120, v36
	;;#ASMEND
	s_nop 0
	;;#ASMSTART
	v_dot2_f32_f16 v36, v113, v121, v36
	;;#ASMEND
	s_nop 0
	;;#ASMSTART
	v_dot2_f32_f16 v36, v114, v122, v36
	;;#ASMEND
	s_nop 0
	;;#ASMSTART
	v_dot2_f32_f16 v36, v115, v123, v36
	;;#ASMEND
	;; [unrolled: 16-line block ×8, first 2 shown]
	;;#ASMSTART
	v_dot2_f32_f16 v110, v0, v116, v110
	;;#ASMEND
	s_nop 0
	;;#ASMSTART
	v_dot2_f32_f16 v110, v1, v117, v110
	;;#ASMEND
	s_nop 0
	;;#ASMSTART
	v_dot2_f32_f16 v110, v2, v118, v110
	;;#ASMEND
	s_nop 0
	;;#ASMSTART
	v_dot2_f32_f16 v110, v3, v119, v110
	;;#ASMEND
	;;#ASMSTART
	v_dot2_f32_f16 v37, v0, v120, v37
	;;#ASMEND
	s_nop 0
	;;#ASMSTART
	v_dot2_f32_f16 v37, v1, v121, v37
	;;#ASMEND
	s_nop 0
	;;#ASMSTART
	v_dot2_f32_f16 v37, v2, v122, v37
	;;#ASMEND
	s_nop 0
	;;#ASMSTART
	v_dot2_f32_f16 v37, v3, v123, v37
	;;#ASMEND
	;; [unrolled: 15-line block ×8, first 2 shown]
	ds_read_b128 v[112:115], v92 offset:48
	ds_read_b128 v[0:3], v92 offset:2608
	ds_read_b128 v[116:119], v41 offset:240
	ds_read_b128 v[120:123], v41 offset:496
	ds_read_b128 v[124:127], v41 offset:752
	ds_read_b128 v[128:131], v41 offset:1008
	ds_read_b128 v[132:135], v41 offset:1264
	ds_read_b128 v[136:139], v41 offset:1520
	ds_read_b128 v[140:143], v41 offset:1776
	ds_read_b128 v[144:147], v41 offset:2032
	s_waitcnt lgkmcnt(7)
	;;#ASMSTART
	v_dot2_f32_f16 v109, v112, v116, v109
	;;#ASMEND
	s_nop 0
	;;#ASMSTART
	v_dot2_f32_f16 v109, v113, v117, v109
	;;#ASMEND
	s_nop 0
	;; [unrolled: 4-line block ×3, first 2 shown]
	;;#ASMSTART
	v_dot2_f32_f16 v109, v115, v119, v109
	;;#ASMEND
	s_waitcnt lgkmcnt(6)
	;;#ASMSTART
	v_dot2_f32_f16 v36, v112, v120, v36
	;;#ASMEND
	s_nop 0
	;;#ASMSTART
	v_dot2_f32_f16 v36, v113, v121, v36
	;;#ASMEND
	v_cmp_nlt_f32_e64 s[4:5], |v109|, s37
	;;#ASMSTART
	v_dot2_f32_f16 v36, v114, v122, v36
	;;#ASMEND
	s_nop 0
	;;#ASMSTART
	v_dot2_f32_f16 v36, v115, v123, v36
	;;#ASMEND
	s_waitcnt lgkmcnt(5)
	;;#ASMSTART
	v_dot2_f32_f16 v34, v112, v124, v34
	;;#ASMEND
	s_nop 0
	;;#ASMSTART
	v_dot2_f32_f16 v34, v113, v125, v34
	;;#ASMEND
	s_nop 0
	;;#ASMSTART
	v_dot2_f32_f16 v34, v114, v126, v34
	;;#ASMEND
	s_nop 0
	;;#ASMSTART
	v_dot2_f32_f16 v34, v115, v127, v34
	;;#ASMEND
	s_waitcnt lgkmcnt(4)
	;;#ASMSTART
	v_dot2_f32_f16 v30, v112, v128, v30
	;;#ASMEND
	s_nop 0
	;;#ASMSTART
	v_dot2_f32_f16 v30, v113, v129, v30
	;;#ASMEND
	s_nop 0
	;; [unrolled: 16-line block ×6, first 2 shown]
	;;#ASMSTART
	v_dot2_f32_f16 v14, v114, v146, v14
	;;#ASMEND
	s_nop 0
	;;#ASMSTART
	v_dot2_f32_f16 v14, v115, v147, v14
	;;#ASMEND
	;;#ASMSTART
	v_dot2_f32_f16 v110, v0, v116, v110
	;;#ASMEND
	s_nop 0
	;;#ASMSTART
	v_dot2_f32_f16 v110, v1, v117, v110
	;;#ASMEND
	s_nop 0
	;;#ASMSTART
	v_dot2_f32_f16 v110, v2, v118, v110
	;;#ASMEND
	s_nop 0
	;;#ASMSTART
	v_dot2_f32_f16 v110, v3, v119, v110
	;;#ASMEND
	;;#ASMSTART
	v_dot2_f32_f16 v37, v0, v120, v37
	;;#ASMEND
	s_nop 0
	;;#ASMSTART
	v_dot2_f32_f16 v37, v1, v121, v37
	;;#ASMEND
	s_nop 0
	;; [unrolled: 15-line block ×8, first 2 shown]
	;;#ASMSTART
	v_dot2_f32_f16 v15, v2, v146, v15
	;;#ASMEND
	s_nop 0
	;;#ASMSTART
	v_dot2_f32_f16 v15, v3, v147, v15
	;;#ASMEND
	s_and_saveexec_b64 s[18:19], s[4:5]
	s_xor_b64 s[4:5], exec, s[18:19]
	s_cbranch_execz .LBB86_11
; %bb.10:                               ;   in Loop: Header=BB86_9 Depth=1
	v_add_f32_e64 v0, |v109|, |v109|
	v_mul_f32_e32 v1, 0x3fb8aa3b, v0
	v_rndne_f32_e32 v2, v1
	v_sub_f32_e32 v3, v1, v2
	v_fma_f32 v1, v0, s38, -v1
	v_fmac_f32_e32 v1, 0x32a5705f, v0
	v_add_f32_e32 v1, v3, v1
	v_cvt_i32_f32_e32 v2, v2
	v_exp_f32_e32 v1, v1
	v_cmp_ngt_f32_e32 vcc, s39, v0
	v_ldexp_f32 v1, v1, v2
	s_nop 0
	v_cndmask_b32_e32 v1, 0, v1, vcc
	v_cmp_nlt_f32_e32 vcc, s40, v0
	s_nop 1
	v_cndmask_b32_e32 v0, v105, v1, vcc
	v_add_f32_e32 v0, 1.0, v0
	v_rcp_f32_e32 v0, v0
	s_nop 0
	v_fma_f32 v8, v0, -2.0, 1.0
.LBB86_11:                              ;   in Loop: Header=BB86_9 Depth=1
	s_andn2_saveexec_b64 s[4:5], s[4:5]
; %bb.12:                               ;   in Loop: Header=BB86_9 Depth=1
	v_mul_f32_e32 v0, v109, v109
	v_fmamk_f32 v1, v0, 0xbbbac73d, v103
	v_fmaak_f32 v1, v0, v1, 0xbd5c1c4e
	v_fmaak_f32 v1, v0, v1, 0x3e088382
	;; [unrolled: 1-line block ×3, first 2 shown]
	v_mul_f32_e64 v1, |v109|, v1
	v_fma_f32 v8, v0, v1, |v109|
; %bb.13:                               ;   in Loop: Header=BB86_9 Depth=1
	s_or_b64 exec, exec, s[4:5]
	v_add_u32_e32 v111, s28, v40
	v_add_u32_e32 v0, v111, v46
	v_cndmask_b32_e64 v1, 0, 1, s[6:7]
	v_cmp_ne_u32_e64 s[4:5], 1, v1
	s_andn2_b64 vcc, exec, s[6:7]
	v_ashrrev_i32_e32 v1, 31, v0
	s_cbranch_vccnz .LBB86_107
; %bb.14:                               ;   in Loop: Header=BB86_9 Depth=1
	v_lshl_add_u64 v[2:3], v[0:1], 1, v[42:43]
	global_load_ushort v2, v[2:3], off
	s_waitcnt vmcnt(0)
	v_cvt_f32_f16_e32 v2, v2
	v_mul_f32_e32 v2, v69, v2
	v_cmp_nlt_f32_e64 s[18:19], |v110|, s37
                                        ; implicit-def: $vgpr9
	s_and_saveexec_b64 s[44:45], s[18:19]
	s_xor_b64 s[18:19], exec, s[44:45]
	s_cbranch_execz .LBB86_16
.LBB86_15:                              ;   in Loop: Header=BB86_9 Depth=1
	v_add_f32_e64 v3, |v110|, |v110|
	v_mul_f32_e32 v9, 0x3fb8aa3b, v3
	v_rndne_f32_e32 v112, v9
	v_sub_f32_e32 v113, v9, v112
	v_fma_f32 v9, v3, s38, -v9
	v_fmac_f32_e32 v9, 0x32a5705f, v3
	v_add_f32_e32 v9, v113, v9
	v_cvt_i32_f32_e32 v112, v112
	v_exp_f32_e32 v9, v9
	v_cmp_ngt_f32_e32 vcc, s39, v3
	v_ldexp_f32 v9, v9, v112
	s_nop 0
	v_cndmask_b32_e32 v9, 0, v9, vcc
	v_cmp_nlt_f32_e32 vcc, s40, v3
	s_nop 1
	v_cndmask_b32_e32 v3, v105, v9, vcc
	v_add_f32_e32 v3, 1.0, v3
	v_rcp_f32_e32 v3, v3
	s_nop 0
	v_fma_f32 v9, v3, -2.0, 1.0
.LBB86_16:                              ;   in Loop: Header=BB86_9 Depth=1
	s_andn2_saveexec_b64 s[18:19], s[18:19]
	s_cbranch_execz .LBB86_19
; %bb.17:                               ;   in Loop: Header=BB86_9 Depth=1
	v_mul_f32_e32 v3, v110, v110
	v_fmamk_f32 v9, v3, 0xbbbac73d, v103
	v_fmaak_f32 v9, v3, v9, 0xbd5c1c4e
	v_fmaak_f32 v9, v3, v9, 0x3e088382
	;; [unrolled: 1-line block ×3, first 2 shown]
	v_mul_f32_e64 v9, |v110|, v9
	v_fma_f32 v9, v3, v9, |v110|
	s_or_b64 exec, exec, s[18:19]
	s_and_b64 vcc, exec, s[4:5]
	s_cbranch_vccz .LBB86_20
.LBB86_18:                              ;   in Loop: Header=BB86_9 Depth=1
	v_mov_b32_e32 v3, 0
	s_branch .LBB86_21
.LBB86_19:                              ;   in Loop: Header=BB86_9 Depth=1
	s_or_b64 exec, exec, s[18:19]
	s_and_b64 vcc, exec, s[4:5]
	s_cbranch_vccnz .LBB86_18
.LBB86_20:                              ;   in Loop: Header=BB86_9 Depth=1
	v_lshl_add_u64 v[0:1], v[0:1], 1, v[42:43]
	global_load_ushort v0, v[0:1], off offset:64
	s_waitcnt vmcnt(0)
	v_cvt_f32_f16_e32 v0, v0
	v_mul_f32_e32 v3, v69, v0
.LBB86_21:                              ;   in Loop: Header=BB86_9 Depth=1
	v_bfi_b32 v1, s41, v8, v109
	v_and_b32_e32 v8, 0x60, v106
	v_bfi_b32 v0, s41, v9, v110
	v_add_u32_e32 v9, 32, v8
	v_xor_b32_e32 v8, 16, v106
	v_fmac_f32_e32 v2, s15, v1
	v_cmp_lt_i32_e32 vcc, v8, v9
	v_fmac_f32_e32 v3, s15, v0
	v_add_f32_e32 v1, 0x40051340, v2
	v_cndmask_b32_e32 v8, v106, v8, vcc
	v_add_f32_e32 v0, 0x40051340, v3
	v_lshlrev_b32_e32 v8, 2, v8
	v_max3_f32 v0, v13, v1, v0
	ds_bpermute_b32 v1, v8, v0
	v_xor_b32_e32 v109, 8, v106
	v_cmp_lt_i32_e32 vcc, v109, v9
	v_cmp_nlt_f32_e64 s[18:19], |v36|, s37
                                        ; implicit-def: $vgpr117
	s_waitcnt lgkmcnt(0)
	v_max_f32_e32 v1, v1, v1
	v_cndmask_b32_e32 v109, v106, v109, vcc
	v_lshlrev_b32_e32 v110, 2, v109
	v_max_f32_e32 v0, v0, v1
	ds_bpermute_b32 v1, v110, v0
	v_xor_b32_e32 v109, 4, v106
	v_cmp_lt_i32_e32 vcc, v109, v9
	s_waitcnt lgkmcnt(0)
	v_max_f32_e32 v1, v1, v1
	v_cndmask_b32_e32 v109, v106, v109, vcc
	v_lshlrev_b32_e32 v112, 2, v109
	v_max_f32_e32 v0, v0, v1
	ds_bpermute_b32 v1, v112, v0
	v_xor_b32_e32 v109, 2, v106
	v_cmp_lt_i32_e32 vcc, v109, v9
	;; [unrolled: 8-line block ×3, first 2 shown]
	s_waitcnt lgkmcnt(0)
	v_max_f32_e32 v1, v1, v1
	v_cndmask_b32_e32 v9, v106, v109, vcc
	v_lshlrev_b32_e32 v114, 2, v9
	v_max_f32_e32 v109, v0, v1
	ds_bpermute_b32 v115, v114, v109
	s_and_saveexec_b64 s[44:45], s[18:19]
	s_xor_b64 s[18:19], exec, s[44:45]
	s_cbranch_execz .LBB86_23
; %bb.22:                               ;   in Loop: Header=BB86_9 Depth=1
	v_add_f32_e64 v0, |v36|, |v36|
	v_mul_f32_e32 v1, 0x3fb8aa3b, v0
	v_rndne_f32_e32 v9, v1
	v_sub_f32_e32 v116, v1, v9
	v_fma_f32 v1, v0, s38, -v1
	v_fmac_f32_e32 v1, 0x32a5705f, v0
	v_add_f32_e32 v1, v116, v1
	v_cvt_i32_f32_e32 v9, v9
	v_exp_f32_e32 v1, v1
	v_cmp_ngt_f32_e32 vcc, s39, v0
	v_ldexp_f32 v1, v1, v9
	s_nop 0
	v_cndmask_b32_e32 v1, 0, v1, vcc
	v_cmp_nlt_f32_e32 vcc, s40, v0
	s_nop 1
	v_cndmask_b32_e32 v0, v105, v1, vcc
	v_add_f32_e32 v0, 1.0, v0
	v_rcp_f32_e32 v0, v0
	s_nop 0
	v_fma_f32 v117, v0, -2.0, 1.0
.LBB86_23:                              ;   in Loop: Header=BB86_9 Depth=1
	s_andn2_saveexec_b64 s[18:19], s[18:19]
; %bb.24:                               ;   in Loop: Header=BB86_9 Depth=1
	v_mul_f32_e32 v0, v36, v36
	v_fmamk_f32 v1, v0, 0xbbbac73d, v103
	v_fmaak_f32 v1, v0, v1, 0xbd5c1c4e
	v_fmaak_f32 v1, v0, v1, 0x3e088382
	;; [unrolled: 1-line block ×3, first 2 shown]
	v_mul_f32_e64 v1, |v36|, v1
	v_fma_f32 v117, v0, v1, |v36|
; %bb.25:                               ;   in Loop: Header=BB86_9 Depth=1
	s_or_b64 exec, exec, s[18:19]
	v_add_u32_e32 v0, v111, v93
	s_and_b64 vcc, exec, s[4:5]
	v_ashrrev_i32_e32 v1, 31, v0
	s_cbranch_vccnz .LBB86_108
; %bb.26:                               ;   in Loop: Header=BB86_9 Depth=1
	v_lshl_add_u64 v[118:119], v[0:1], 1, v[42:43]
	global_load_ushort v9, v[118:119], off
	s_waitcnt vmcnt(0)
	v_cvt_f32_f16_e32 v9, v9
	v_mul_f32_e32 v9, v69, v9
	v_cmp_nlt_f32_e64 s[18:19], |v37|, s37
                                        ; implicit-def: $vgpr118
	s_and_saveexec_b64 s[44:45], s[18:19]
	s_xor_b64 s[18:19], exec, s[44:45]
	s_cbranch_execz .LBB86_28
.LBB86_27:                              ;   in Loop: Header=BB86_9 Depth=1
	v_add_f32_e64 v116, |v37|, |v37|
	v_mul_f32_e32 v118, 0x3fb8aa3b, v116
	v_rndne_f32_e32 v119, v118
	v_sub_f32_e32 v120, v118, v119
	v_fma_f32 v118, v116, s38, -v118
	v_fmac_f32_e32 v118, 0x32a5705f, v116
	v_add_f32_e32 v118, v120, v118
	v_cvt_i32_f32_e32 v119, v119
	v_exp_f32_e32 v118, v118
	v_cmp_ngt_f32_e32 vcc, s39, v116
	v_ldexp_f32 v118, v118, v119
	s_nop 0
	v_cndmask_b32_e32 v118, 0, v118, vcc
	v_cmp_nlt_f32_e32 vcc, s40, v116
	s_nop 1
	v_cndmask_b32_e32 v116, v105, v118, vcc
	v_add_f32_e32 v116, 1.0, v116
	v_rcp_f32_e32 v116, v116
	s_nop 0
	v_fma_f32 v118, v116, -2.0, 1.0
.LBB86_28:                              ;   in Loop: Header=BB86_9 Depth=1
	s_andn2_saveexec_b64 s[18:19], s[18:19]
	s_cbranch_execz .LBB86_31
; %bb.29:                               ;   in Loop: Header=BB86_9 Depth=1
	v_mul_f32_e32 v116, v37, v37
	v_fmamk_f32 v118, v116, 0xbbbac73d, v103
	v_fmaak_f32 v118, v116, v118, 0xbd5c1c4e
	v_fmaak_f32 v118, v116, v118, 0x3e088382
	;; [unrolled: 1-line block ×3, first 2 shown]
	v_mul_f32_e64 v118, |v37|, v118
	v_fma_f32 v118, v116, v118, |v37|
	s_or_b64 exec, exec, s[18:19]
	s_and_b64 vcc, exec, s[4:5]
	s_cbranch_vccz .LBB86_32
.LBB86_30:                              ;   in Loop: Header=BB86_9 Depth=1
	v_mov_b32_e32 v116, 0
	s_branch .LBB86_33
.LBB86_31:                              ;   in Loop: Header=BB86_9 Depth=1
	s_or_b64 exec, exec, s[18:19]
	s_and_b64 vcc, exec, s[4:5]
	s_cbranch_vccnz .LBB86_30
.LBB86_32:                              ;   in Loop: Header=BB86_9 Depth=1
	v_lshl_add_u64 v[0:1], v[0:1], 1, v[42:43]
	global_load_ushort v0, v[0:1], off offset:64
	s_waitcnt vmcnt(0)
	v_cvt_f32_f16_e32 v0, v0
	v_mul_f32_e32 v116, v69, v0
.LBB86_33:                              ;   in Loop: Header=BB86_9 Depth=1
	v_bfi_b32 v0, s41, v118, v37
	v_bfi_b32 v1, s41, v117, v36
	v_fmac_f32_e32 v9, s15, v1
	v_fmac_f32_e32 v116, s15, v0
	v_add_f32_e32 v1, 0x40051340, v9
	v_add_f32_e32 v0, 0x40051340, v116
	v_max3_f32 v0, v12, v1, v0
	ds_bpermute_b32 v1, v8, v0
	v_cmp_nlt_f32_e64 s[18:19], |v34|, s37
                                        ; implicit-def: $vgpr119
	s_waitcnt lgkmcnt(0)
	v_max_f32_e32 v1, v1, v1
	v_max_f32_e32 v0, v0, v1
	ds_bpermute_b32 v1, v110, v0
	s_waitcnt lgkmcnt(0)
	v_max_f32_e32 v1, v1, v1
	v_max_f32_e32 v0, v0, v1
	ds_bpermute_b32 v1, v112, v0
	;; [unrolled: 4-line block ×4, first 2 shown]
	s_and_saveexec_b64 s[44:45], s[18:19]
	s_xor_b64 s[18:19], exec, s[44:45]
	s_cbranch_execz .LBB86_35
; %bb.34:                               ;   in Loop: Header=BB86_9 Depth=1
	v_add_f32_e64 v0, |v34|, |v34|
	v_mul_f32_e32 v1, 0x3fb8aa3b, v0
	v_rndne_f32_e32 v36, v1
	v_sub_f32_e32 v37, v1, v36
	v_fma_f32 v1, v0, s38, -v1
	v_fmac_f32_e32 v1, 0x32a5705f, v0
	v_add_f32_e32 v1, v37, v1
	v_cvt_i32_f32_e32 v36, v36
	v_exp_f32_e32 v1, v1
	v_cmp_ngt_f32_e32 vcc, s39, v0
	v_ldexp_f32 v1, v1, v36
	s_nop 0
	v_cndmask_b32_e32 v1, 0, v1, vcc
	v_cmp_nlt_f32_e32 vcc, s40, v0
	s_nop 1
	v_cndmask_b32_e32 v0, v105, v1, vcc
	v_add_f32_e32 v0, 1.0, v0
	v_rcp_f32_e32 v0, v0
	s_nop 0
	v_fma_f32 v119, v0, -2.0, 1.0
.LBB86_35:                              ;   in Loop: Header=BB86_9 Depth=1
	s_andn2_saveexec_b64 s[18:19], s[18:19]
; %bb.36:                               ;   in Loop: Header=BB86_9 Depth=1
	v_mul_f32_e32 v0, v34, v34
	v_fmamk_f32 v1, v0, 0xbbbac73d, v103
	v_fmaak_f32 v1, v0, v1, 0xbd5c1c4e
	v_fmaak_f32 v1, v0, v1, 0x3e088382
	;; [unrolled: 1-line block ×3, first 2 shown]
	v_mul_f32_e64 v1, |v34|, v1
	v_fma_f32 v119, v0, v1, |v34|
; %bb.37:                               ;   in Loop: Header=BB86_9 Depth=1
	s_or_b64 exec, exec, s[18:19]
	v_add_u32_e32 v0, v111, v94
	s_and_b64 vcc, exec, s[4:5]
	v_ashrrev_i32_e32 v1, 31, v0
	s_cbranch_vccnz .LBB86_109
; %bb.38:                               ;   in Loop: Header=BB86_9 Depth=1
	v_lshl_add_u64 v[36:37], v[0:1], 1, v[42:43]
	global_load_ushort v36, v[36:37], off
	s_waitcnt vmcnt(0)
	v_cvt_f32_f16_e32 v36, v36
	v_mul_f32_e32 v36, v69, v36
	v_cmp_nlt_f32_e64 s[18:19], |v35|, s37
                                        ; implicit-def: $vgpr120
	s_and_saveexec_b64 s[44:45], s[18:19]
	s_xor_b64 s[18:19], exec, s[44:45]
	s_cbranch_execz .LBB86_40
.LBB86_39:                              ;   in Loop: Header=BB86_9 Depth=1
	v_add_f32_e64 v37, |v35|, |v35|
	v_mul_f32_e32 v120, 0x3fb8aa3b, v37
	v_rndne_f32_e32 v121, v120
	v_sub_f32_e32 v122, v120, v121
	v_fma_f32 v120, v37, s38, -v120
	v_fmac_f32_e32 v120, 0x32a5705f, v37
	v_add_f32_e32 v120, v122, v120
	v_cvt_i32_f32_e32 v121, v121
	v_exp_f32_e32 v120, v120
	v_cmp_ngt_f32_e32 vcc, s39, v37
	v_ldexp_f32 v120, v120, v121
	s_nop 0
	v_cndmask_b32_e32 v120, 0, v120, vcc
	v_cmp_nlt_f32_e32 vcc, s40, v37
	s_nop 1
	v_cndmask_b32_e32 v37, v105, v120, vcc
	v_add_f32_e32 v37, 1.0, v37
	v_rcp_f32_e32 v37, v37
	s_nop 0
	v_fma_f32 v120, v37, -2.0, 1.0
.LBB86_40:                              ;   in Loop: Header=BB86_9 Depth=1
	s_andn2_saveexec_b64 s[18:19], s[18:19]
	s_cbranch_execz .LBB86_43
; %bb.41:                               ;   in Loop: Header=BB86_9 Depth=1
	v_mul_f32_e32 v37, v35, v35
	v_fmamk_f32 v120, v37, 0xbbbac73d, v103
	v_fmaak_f32 v120, v37, v120, 0xbd5c1c4e
	v_fmaak_f32 v120, v37, v120, 0x3e088382
	;; [unrolled: 1-line block ×3, first 2 shown]
	v_mul_f32_e64 v120, |v35|, v120
	v_fma_f32 v120, v37, v120, |v35|
	s_or_b64 exec, exec, s[18:19]
	s_and_b64 vcc, exec, s[4:5]
	s_cbranch_vccz .LBB86_44
.LBB86_42:                              ;   in Loop: Header=BB86_9 Depth=1
	v_mov_b32_e32 v37, 0
	s_branch .LBB86_45
.LBB86_43:                              ;   in Loop: Header=BB86_9 Depth=1
	s_or_b64 exec, exec, s[18:19]
	s_and_b64 vcc, exec, s[4:5]
	s_cbranch_vccnz .LBB86_42
.LBB86_44:                              ;   in Loop: Header=BB86_9 Depth=1
	v_lshl_add_u64 v[0:1], v[0:1], 1, v[42:43]
	global_load_ushort v0, v[0:1], off offset:64
	s_waitcnt vmcnt(0)
	v_cvt_f32_f16_e32 v0, v0
	v_mul_f32_e32 v37, v69, v0
.LBB86_45:                              ;   in Loop: Header=BB86_9 Depth=1
	v_bfi_b32 v0, s41, v120, v35
	v_bfi_b32 v1, s41, v119, v34
	v_fmac_f32_e32 v36, s15, v1
	v_fmac_f32_e32 v37, s15, v0
	v_add_f32_e32 v1, 0x40051340, v36
	v_add_f32_e32 v0, 0x40051340, v37
	v_max3_f32 v0, v10, v1, v0
	ds_bpermute_b32 v1, v8, v0
	v_cmp_nlt_f32_e64 s[18:19], |v30|, s37
                                        ; implicit-def: $vgpr119
	s_waitcnt lgkmcnt(0)
	v_max_f32_e32 v1, v1, v1
	v_max_f32_e32 v0, v0, v1
	ds_bpermute_b32 v1, v110, v0
	s_waitcnt lgkmcnt(0)
	v_max_f32_e32 v1, v1, v1
	v_max_f32_e32 v0, v0, v1
	ds_bpermute_b32 v1, v112, v0
	s_waitcnt lgkmcnt(0)
	v_max_f32_e32 v1, v1, v1
	v_max_f32_e32 v0, v0, v1
	ds_bpermute_b32 v1, v113, v0
	s_waitcnt lgkmcnt(0)
	v_max_f32_e32 v1, v1, v1
	v_max_f32_e32 v120, v0, v1
	ds_bpermute_b32 v122, v114, v120
	s_and_saveexec_b64 s[44:45], s[18:19]
	s_xor_b64 s[18:19], exec, s[44:45]
	s_cbranch_execz .LBB86_47
; %bb.46:                               ;   in Loop: Header=BB86_9 Depth=1
	v_add_f32_e64 v0, |v30|, |v30|
	v_mul_f32_e32 v1, 0x3fb8aa3b, v0
	v_rndne_f32_e32 v34, v1
	v_sub_f32_e32 v35, v1, v34
	v_fma_f32 v1, v0, s38, -v1
	v_fmac_f32_e32 v1, 0x32a5705f, v0
	v_add_f32_e32 v1, v35, v1
	v_cvt_i32_f32_e32 v34, v34
	v_exp_f32_e32 v1, v1
	v_cmp_ngt_f32_e32 vcc, s39, v0
	v_ldexp_f32 v1, v1, v34
	s_nop 0
	v_cndmask_b32_e32 v1, 0, v1, vcc
	v_cmp_nlt_f32_e32 vcc, s40, v0
	s_nop 1
	v_cndmask_b32_e32 v0, v105, v1, vcc
	v_add_f32_e32 v0, 1.0, v0
	v_rcp_f32_e32 v0, v0
	s_nop 0
	v_fma_f32 v119, v0, -2.0, 1.0
.LBB86_47:                              ;   in Loop: Header=BB86_9 Depth=1
	s_andn2_saveexec_b64 s[18:19], s[18:19]
; %bb.48:                               ;   in Loop: Header=BB86_9 Depth=1
	v_mul_f32_e32 v0, v30, v30
	v_fmamk_f32 v1, v0, 0xbbbac73d, v103
	v_fmaak_f32 v1, v0, v1, 0xbd5c1c4e
	v_fmaak_f32 v1, v0, v1, 0x3e088382
	;; [unrolled: 1-line block ×3, first 2 shown]
	v_mul_f32_e64 v1, |v30|, v1
	v_fma_f32 v119, v0, v1, |v30|
; %bb.49:                               ;   in Loop: Header=BB86_9 Depth=1
	s_or_b64 exec, exec, s[18:19]
	v_add_u32_e32 v0, v111, v95
	s_and_b64 vcc, exec, s[4:5]
	v_ashrrev_i32_e32 v1, 31, v0
	s_cbranch_vccnz .LBB86_110
; %bb.50:                               ;   in Loop: Header=BB86_9 Depth=1
	v_lshl_add_u64 v[34:35], v[0:1], 1, v[42:43]
	global_load_ushort v34, v[34:35], off
	s_waitcnt vmcnt(0)
	v_cvt_f32_f16_e32 v34, v34
	v_mul_f32_e32 v34, v69, v34
	v_cmp_nlt_f32_e64 s[18:19], |v31|, s37
                                        ; implicit-def: $vgpr121
	s_and_saveexec_b64 s[44:45], s[18:19]
	s_xor_b64 s[18:19], exec, s[44:45]
	s_cbranch_execz .LBB86_52
.LBB86_51:                              ;   in Loop: Header=BB86_9 Depth=1
	v_add_f32_e64 v35, |v31|, |v31|
	v_mul_f32_e32 v121, 0x3fb8aa3b, v35
	v_rndne_f32_e32 v123, v121
	v_sub_f32_e32 v124, v121, v123
	v_fma_f32 v121, v35, s38, -v121
	v_fmac_f32_e32 v121, 0x32a5705f, v35
	v_add_f32_e32 v121, v124, v121
	v_cvt_i32_f32_e32 v123, v123
	v_exp_f32_e32 v121, v121
	v_cmp_ngt_f32_e32 vcc, s39, v35
	v_ldexp_f32 v121, v121, v123
	s_nop 0
	v_cndmask_b32_e32 v121, 0, v121, vcc
	v_cmp_nlt_f32_e32 vcc, s40, v35
	s_nop 1
	v_cndmask_b32_e32 v35, v105, v121, vcc
	v_add_f32_e32 v35, 1.0, v35
	v_rcp_f32_e32 v35, v35
	s_nop 0
	v_fma_f32 v121, v35, -2.0, 1.0
.LBB86_52:                              ;   in Loop: Header=BB86_9 Depth=1
	s_andn2_saveexec_b64 s[18:19], s[18:19]
	s_cbranch_execz .LBB86_55
; %bb.53:                               ;   in Loop: Header=BB86_9 Depth=1
	v_mul_f32_e32 v35, v31, v31
	v_fmamk_f32 v121, v35, 0xbbbac73d, v103
	v_fmaak_f32 v121, v35, v121, 0xbd5c1c4e
	v_fmaak_f32 v121, v35, v121, 0x3e088382
	;; [unrolled: 1-line block ×3, first 2 shown]
	v_mul_f32_e64 v121, |v31|, v121
	v_fma_f32 v121, v35, v121, |v31|
	s_or_b64 exec, exec, s[18:19]
	s_and_b64 vcc, exec, s[4:5]
	s_cbranch_vccz .LBB86_56
.LBB86_54:                              ;   in Loop: Header=BB86_9 Depth=1
	v_mov_b32_e32 v35, 0
	s_branch .LBB86_57
.LBB86_55:                              ;   in Loop: Header=BB86_9 Depth=1
	s_or_b64 exec, exec, s[18:19]
	s_and_b64 vcc, exec, s[4:5]
	s_cbranch_vccnz .LBB86_54
.LBB86_56:                              ;   in Loop: Header=BB86_9 Depth=1
	v_lshl_add_u64 v[0:1], v[0:1], 1, v[42:43]
	global_load_ushort v0, v[0:1], off offset:64
	s_waitcnt vmcnt(0)
	v_cvt_f32_f16_e32 v0, v0
	v_mul_f32_e32 v35, v69, v0
.LBB86_57:                              ;   in Loop: Header=BB86_9 Depth=1
	v_bfi_b32 v0, s41, v121, v31
	v_bfi_b32 v1, s41, v119, v30
	v_fmac_f32_e32 v34, s15, v1
	v_fmac_f32_e32 v35, s15, v0
	v_add_f32_e32 v1, 0x40051340, v34
	v_add_f32_e32 v0, 0x40051340, v35
	v_max3_f32 v0, v11, v1, v0
	ds_bpermute_b32 v1, v8, v0
	v_cmp_nlt_f32_e64 s[18:19], |v28|, s37
                                        ; implicit-def: $vgpr30
	s_waitcnt lgkmcnt(0)
	v_max_f32_e32 v1, v1, v1
	v_max_f32_e32 v0, v0, v1
	ds_bpermute_b32 v1, v110, v0
	s_waitcnt lgkmcnt(0)
	v_max_f32_e32 v1, v1, v1
	v_max_f32_e32 v0, v0, v1
	ds_bpermute_b32 v1, v112, v0
	;; [unrolled: 4-line block ×4, first 2 shown]
	s_and_saveexec_b64 s[44:45], s[18:19]
	s_xor_b64 s[18:19], exec, s[44:45]
	s_cbranch_execz .LBB86_59
; %bb.58:                               ;   in Loop: Header=BB86_9 Depth=1
	v_add_f32_e64 v0, |v28|, |v28|
	v_mul_f32_e32 v1, 0x3fb8aa3b, v0
	v_rndne_f32_e32 v30, v1
	v_sub_f32_e32 v119, v1, v30
	v_fma_f32 v1, v0, s38, -v1
	v_fmac_f32_e32 v1, 0x32a5705f, v0
	v_add_f32_e32 v1, v119, v1
	v_cvt_i32_f32_e32 v30, v30
	v_exp_f32_e32 v1, v1
	v_cmp_ngt_f32_e32 vcc, s39, v0
	v_ldexp_f32 v1, v1, v30
	s_nop 0
	v_cndmask_b32_e32 v1, 0, v1, vcc
	v_cmp_nlt_f32_e32 vcc, s40, v0
	s_nop 1
	v_cndmask_b32_e32 v0, v105, v1, vcc
	v_add_f32_e32 v0, 1.0, v0
	v_rcp_f32_e32 v0, v0
	s_nop 0
	v_fma_f32 v30, v0, -2.0, 1.0
.LBB86_59:                              ;   in Loop: Header=BB86_9 Depth=1
	s_andn2_saveexec_b64 s[18:19], s[18:19]
; %bb.60:                               ;   in Loop: Header=BB86_9 Depth=1
	v_mul_f32_e32 v0, v28, v28
	v_fmamk_f32 v1, v0, 0xbbbac73d, v103
	v_fmaak_f32 v1, v0, v1, 0xbd5c1c4e
	v_fmaak_f32 v1, v0, v1, 0x3e088382
	;; [unrolled: 1-line block ×3, first 2 shown]
	v_mul_f32_e64 v1, |v28|, v1
	v_fma_f32 v30, v0, v1, |v28|
; %bb.61:                               ;   in Loop: Header=BB86_9 Depth=1
	s_or_b64 exec, exec, s[18:19]
	v_add_u32_e32 v0, v111, v96
	s_and_b64 vcc, exec, s[4:5]
	v_ashrrev_i32_e32 v1, 31, v0
	s_cbranch_vccnz .LBB86_111
; %bb.62:                               ;   in Loop: Header=BB86_9 Depth=1
	v_lshl_add_u64 v[124:125], v[0:1], 1, v[42:43]
	global_load_ushort v119, v[124:125], off
	s_waitcnt vmcnt(0)
	v_cvt_f32_f16_e32 v119, v119
	v_mul_f32_e32 v119, v69, v119
	v_cmp_nlt_f32_e64 s[18:19], |v29|, s37
                                        ; implicit-def: $vgpr123
	s_and_saveexec_b64 s[44:45], s[18:19]
	s_xor_b64 s[18:19], exec, s[44:45]
	s_cbranch_execz .LBB86_64
.LBB86_63:                              ;   in Loop: Header=BB86_9 Depth=1
	v_add_f32_e64 v121, |v29|, |v29|
	v_mul_f32_e32 v123, 0x3fb8aa3b, v121
	v_rndne_f32_e32 v124, v123
	v_sub_f32_e32 v125, v123, v124
	v_fma_f32 v123, v121, s38, -v123
	v_fmac_f32_e32 v123, 0x32a5705f, v121
	v_add_f32_e32 v123, v125, v123
	v_cvt_i32_f32_e32 v124, v124
	v_exp_f32_e32 v123, v123
	v_cmp_ngt_f32_e32 vcc, s39, v121
	v_ldexp_f32 v123, v123, v124
	s_nop 0
	v_cndmask_b32_e32 v123, 0, v123, vcc
	v_cmp_nlt_f32_e32 vcc, s40, v121
	s_nop 1
	v_cndmask_b32_e32 v121, v105, v123, vcc
	v_add_f32_e32 v121, 1.0, v121
	v_rcp_f32_e32 v121, v121
	s_nop 0
	v_fma_f32 v123, v121, -2.0, 1.0
.LBB86_64:                              ;   in Loop: Header=BB86_9 Depth=1
	s_andn2_saveexec_b64 s[18:19], s[18:19]
	s_cbranch_execz .LBB86_67
; %bb.65:                               ;   in Loop: Header=BB86_9 Depth=1
	v_mul_f32_e32 v121, v29, v29
	v_fmamk_f32 v123, v121, 0xbbbac73d, v103
	v_fmaak_f32 v123, v121, v123, 0xbd5c1c4e
	v_fmaak_f32 v123, v121, v123, 0x3e088382
	;; [unrolled: 1-line block ×3, first 2 shown]
	v_mul_f32_e64 v123, |v29|, v123
	v_fma_f32 v123, v121, v123, |v29|
	s_or_b64 exec, exec, s[18:19]
	s_and_b64 vcc, exec, s[4:5]
	s_cbranch_vccz .LBB86_68
.LBB86_66:                              ;   in Loop: Header=BB86_9 Depth=1
	v_mov_b32_e32 v121, 0
	s_branch .LBB86_69
.LBB86_67:                              ;   in Loop: Header=BB86_9 Depth=1
	s_or_b64 exec, exec, s[18:19]
	s_and_b64 vcc, exec, s[4:5]
	s_cbranch_vccnz .LBB86_66
.LBB86_68:                              ;   in Loop: Header=BB86_9 Depth=1
	v_lshl_add_u64 v[0:1], v[0:1], 1, v[42:43]
	global_load_ushort v0, v[0:1], off offset:64
	s_waitcnt vmcnt(0)
	v_cvt_f32_f16_e32 v0, v0
	v_mul_f32_e32 v121, v69, v0
.LBB86_69:                              ;   in Loop: Header=BB86_9 Depth=1
	v_bfi_b32 v0, s41, v123, v29
	v_bfi_b32 v1, s41, v30, v28
	v_fmac_f32_e32 v119, s15, v1
	v_fmac_f32_e32 v121, s15, v0
	v_add_f32_e32 v1, 0x40051340, v119
	v_add_f32_e32 v0, 0x40051340, v121
	v_max3_f32 v0, v32, v1, v0
	ds_bpermute_b32 v1, v8, v0
	v_cmp_nlt_f32_e64 s[18:19], |v26|, s37
                                        ; implicit-def: $vgpr29
	s_waitcnt lgkmcnt(0)
	v_max_f32_e32 v1, v1, v1
	v_max_f32_e32 v0, v0, v1
	ds_bpermute_b32 v1, v110, v0
	s_waitcnt lgkmcnt(0)
	v_max_f32_e32 v1, v1, v1
	v_max_f32_e32 v0, v0, v1
	ds_bpermute_b32 v1, v112, v0
	;; [unrolled: 4-line block ×4, first 2 shown]
	s_and_saveexec_b64 s[44:45], s[18:19]
	s_xor_b64 s[18:19], exec, s[44:45]
	s_cbranch_execz .LBB86_71
; %bb.70:                               ;   in Loop: Header=BB86_9 Depth=1
	v_add_f32_e64 v0, |v26|, |v26|
	v_mul_f32_e32 v1, 0x3fb8aa3b, v0
	v_rndne_f32_e32 v29, v1
	v_sub_f32_e32 v30, v1, v29
	v_fma_f32 v1, v0, s38, -v1
	v_fmac_f32_e32 v1, 0x32a5705f, v0
	v_add_f32_e32 v1, v30, v1
	v_cvt_i32_f32_e32 v29, v29
	v_exp_f32_e32 v1, v1
	v_cmp_ngt_f32_e32 vcc, s39, v0
	v_ldexp_f32 v1, v1, v29
	s_nop 0
	v_cndmask_b32_e32 v1, 0, v1, vcc
	v_cmp_nlt_f32_e32 vcc, s40, v0
	s_nop 1
	v_cndmask_b32_e32 v0, v105, v1, vcc
	v_add_f32_e32 v0, 1.0, v0
	v_rcp_f32_e32 v0, v0
	s_nop 0
	v_fma_f32 v29, v0, -2.0, 1.0
.LBB86_71:                              ;   in Loop: Header=BB86_9 Depth=1
	s_andn2_saveexec_b64 s[18:19], s[18:19]
; %bb.72:                               ;   in Loop: Header=BB86_9 Depth=1
	v_mul_f32_e32 v0, v26, v26
	v_fmamk_f32 v1, v0, 0xbbbac73d, v103
	v_fmaak_f32 v1, v0, v1, 0xbd5c1c4e
	v_fmaak_f32 v1, v0, v1, 0x3e088382
	;; [unrolled: 1-line block ×3, first 2 shown]
	v_mul_f32_e64 v1, |v26|, v1
	v_fma_f32 v29, v0, v1, |v26|
; %bb.73:                               ;   in Loop: Header=BB86_9 Depth=1
	s_or_b64 exec, exec, s[18:19]
	v_add_u32_e32 v0, v111, v97
	s_and_b64 vcc, exec, s[4:5]
	v_ashrrev_i32_e32 v1, 31, v0
	s_cbranch_vccnz .LBB86_112
; %bb.74:                               ;   in Loop: Header=BB86_9 Depth=1
	v_lshl_add_u64 v[124:125], v[0:1], 1, v[42:43]
	global_load_ushort v30, v[124:125], off
	s_waitcnt vmcnt(0)
	v_cvt_f32_f16_e32 v30, v30
	v_mul_f32_e32 v123, v69, v30
	v_cmp_nlt_f32_e64 s[18:19], |v27|, s37
                                        ; implicit-def: $vgpr30
	s_and_saveexec_b64 s[44:45], s[18:19]
	s_xor_b64 s[18:19], exec, s[44:45]
	s_cbranch_execz .LBB86_76
.LBB86_75:                              ;   in Loop: Header=BB86_9 Depth=1
	v_add_f32_e64 v30, |v27|, |v27|
	v_mul_f32_e32 v124, 0x3fb8aa3b, v30
	v_rndne_f32_e32 v125, v124
	v_sub_f32_e32 v127, v124, v125
	v_fma_f32 v124, v30, s38, -v124
	v_fmac_f32_e32 v124, 0x32a5705f, v30
	v_add_f32_e32 v124, v127, v124
	v_cvt_i32_f32_e32 v125, v125
	v_exp_f32_e32 v124, v124
	v_cmp_ngt_f32_e32 vcc, s39, v30
	v_ldexp_f32 v124, v124, v125
	s_nop 0
	v_cndmask_b32_e32 v124, 0, v124, vcc
	v_cmp_nlt_f32_e32 vcc, s40, v30
	s_nop 1
	v_cndmask_b32_e32 v30, v105, v124, vcc
	v_add_f32_e32 v30, 1.0, v30
	v_rcp_f32_e32 v30, v30
	s_nop 0
	v_fma_f32 v30, v30, -2.0, 1.0
.LBB86_76:                              ;   in Loop: Header=BB86_9 Depth=1
	s_andn2_saveexec_b64 s[18:19], s[18:19]
	s_cbranch_execz .LBB86_79
; %bb.77:                               ;   in Loop: Header=BB86_9 Depth=1
	v_mul_f32_e32 v30, v27, v27
	v_fmamk_f32 v124, v30, 0xbbbac73d, v103
	v_fmaak_f32 v124, v30, v124, 0xbd5c1c4e
	v_fmaak_f32 v124, v30, v124, 0x3e088382
	;; [unrolled: 1-line block ×3, first 2 shown]
	v_mul_f32_e64 v124, |v27|, v124
	v_fma_f32 v30, v30, v124, |v27|
	s_or_b64 exec, exec, s[18:19]
	s_and_b64 vcc, exec, s[4:5]
	s_cbranch_vccz .LBB86_80
.LBB86_78:                              ;   in Loop: Header=BB86_9 Depth=1
	v_mov_b32_e32 v124, 0
	s_branch .LBB86_81
.LBB86_79:                              ;   in Loop: Header=BB86_9 Depth=1
	s_or_b64 exec, exec, s[18:19]
	s_and_b64 vcc, exec, s[4:5]
	s_cbranch_vccnz .LBB86_78
.LBB86_80:                              ;   in Loop: Header=BB86_9 Depth=1
	v_lshl_add_u64 v[0:1], v[0:1], 1, v[42:43]
	global_load_ushort v0, v[0:1], off offset:64
	s_waitcnt vmcnt(0)
	v_cvt_f32_f16_e32 v0, v0
	v_mul_f32_e32 v124, v69, v0
.LBB86_81:                              ;   in Loop: Header=BB86_9 Depth=1
	v_bfi_b32 v0, s41, v30, v27
	v_bfi_b32 v1, s41, v29, v26
	v_fmac_f32_e32 v123, s15, v1
	v_fmac_f32_e32 v124, s15, v0
	v_add_f32_e32 v1, 0x40051340, v123
	v_add_f32_e32 v0, 0x40051340, v124
	v_max3_f32 v0, v33, v1, v0
	ds_bpermute_b32 v1, v8, v0
	v_cmp_nlt_f32_e64 s[18:19], |v24|, s37
                                        ; implicit-def: $vgpr29
	s_waitcnt lgkmcnt(0)
	v_max_f32_e32 v1, v1, v1
	v_max_f32_e32 v0, v0, v1
	ds_bpermute_b32 v1, v110, v0
	s_waitcnt lgkmcnt(0)
	v_max_f32_e32 v1, v1, v1
	v_max_f32_e32 v0, v0, v1
	ds_bpermute_b32 v1, v112, v0
	;; [unrolled: 4-line block ×4, first 2 shown]
	s_and_saveexec_b64 s[44:45], s[18:19]
	s_xor_b64 s[18:19], exec, s[44:45]
	s_cbranch_execz .LBB86_83
; %bb.82:                               ;   in Loop: Header=BB86_9 Depth=1
	v_add_f32_e64 v0, |v24|, |v24|
	v_mul_f32_e32 v1, 0x3fb8aa3b, v0
	v_rndne_f32_e32 v29, v1
	v_sub_f32_e32 v30, v1, v29
	v_fma_f32 v1, v0, s38, -v1
	v_fmac_f32_e32 v1, 0x32a5705f, v0
	v_add_f32_e32 v1, v30, v1
	v_cvt_i32_f32_e32 v29, v29
	v_exp_f32_e32 v1, v1
	v_cmp_ngt_f32_e32 vcc, s39, v0
	v_ldexp_f32 v1, v1, v29
	s_nop 0
	v_cndmask_b32_e32 v1, 0, v1, vcc
	v_cmp_nlt_f32_e32 vcc, s40, v0
	s_nop 1
	v_cndmask_b32_e32 v0, v105, v1, vcc
	v_add_f32_e32 v0, 1.0, v0
	v_rcp_f32_e32 v0, v0
	s_nop 0
	v_fma_f32 v29, v0, -2.0, 1.0
.LBB86_83:                              ;   in Loop: Header=BB86_9 Depth=1
	s_andn2_saveexec_b64 s[18:19], s[18:19]
; %bb.84:                               ;   in Loop: Header=BB86_9 Depth=1
	v_mul_f32_e32 v0, v24, v24
	v_fmamk_f32 v1, v0, 0xbbbac73d, v103
	v_fmaak_f32 v1, v0, v1, 0xbd5c1c4e
	v_fmaak_f32 v1, v0, v1, 0x3e088382
	;; [unrolled: 1-line block ×3, first 2 shown]
	v_mul_f32_e64 v1, |v24|, v1
	v_fma_f32 v29, v0, v1, |v24|
; %bb.85:                               ;   in Loop: Header=BB86_9 Depth=1
	s_or_b64 exec, exec, s[18:19]
	v_add_u32_e32 v0, v111, v98
	s_and_b64 vcc, exec, s[4:5]
	v_ashrrev_i32_e32 v1, 31, v0
	s_cbranch_vccnz .LBB86_113
; %bb.86:                               ;   in Loop: Header=BB86_9 Depth=1
	v_lshl_add_u64 v[130:131], v[0:1], 1, v[42:43]
	global_load_ushort v30, v[130:131], off
	s_waitcnt vmcnt(0)
	v_cvt_f32_f16_e32 v30, v30
	v_mul_f32_e32 v125, v69, v30
	v_cmp_nlt_f32_e64 s[18:19], |v25|, s37
                                        ; implicit-def: $vgpr30
	s_and_saveexec_b64 s[44:45], s[18:19]
	s_xor_b64 s[18:19], exec, s[44:45]
	s_cbranch_execz .LBB86_88
.LBB86_87:                              ;   in Loop: Header=BB86_9 Depth=1
	v_add_f32_e64 v30, |v25|, |v25|
	v_mul_f32_e32 v127, 0x3fb8aa3b, v30
	v_rndne_f32_e32 v128, v127
	v_sub_f32_e32 v130, v127, v128
	v_fma_f32 v127, v30, s38, -v127
	v_fmac_f32_e32 v127, 0x32a5705f, v30
	v_add_f32_e32 v127, v130, v127
	v_cvt_i32_f32_e32 v128, v128
	v_exp_f32_e32 v127, v127
	v_cmp_ngt_f32_e32 vcc, s39, v30
	v_ldexp_f32 v127, v127, v128
	s_nop 0
	v_cndmask_b32_e32 v127, 0, v127, vcc
	v_cmp_nlt_f32_e32 vcc, s40, v30
	s_nop 1
	v_cndmask_b32_e32 v30, v105, v127, vcc
	v_add_f32_e32 v30, 1.0, v30
	v_rcp_f32_e32 v30, v30
	s_nop 0
	v_fma_f32 v30, v30, -2.0, 1.0
.LBB86_88:                              ;   in Loop: Header=BB86_9 Depth=1
	s_andn2_saveexec_b64 s[18:19], s[18:19]
	s_cbranch_execz .LBB86_91
; %bb.89:                               ;   in Loop: Header=BB86_9 Depth=1
	v_mul_f32_e32 v30, v25, v25
	v_fmamk_f32 v127, v30, 0xbbbac73d, v103
	v_fmaak_f32 v127, v30, v127, 0xbd5c1c4e
	v_fmaak_f32 v127, v30, v127, 0x3e088382
	;; [unrolled: 1-line block ×3, first 2 shown]
	v_mul_f32_e64 v127, |v25|, v127
	v_fma_f32 v30, v30, v127, |v25|
	s_or_b64 exec, exec, s[18:19]
	s_and_b64 vcc, exec, s[4:5]
	s_cbranch_vccz .LBB86_92
.LBB86_90:                              ;   in Loop: Header=BB86_9 Depth=1
	v_mov_b32_e32 v128, 0
	s_branch .LBB86_93
.LBB86_91:                              ;   in Loop: Header=BB86_9 Depth=1
	s_or_b64 exec, exec, s[18:19]
	s_and_b64 vcc, exec, s[4:5]
	s_cbranch_vccnz .LBB86_90
.LBB86_92:                              ;   in Loop: Header=BB86_9 Depth=1
	v_lshl_add_u64 v[0:1], v[0:1], 1, v[42:43]
	global_load_ushort v0, v[0:1], off offset:64
	s_waitcnt vmcnt(0)
	v_cvt_f32_f16_e32 v0, v0
	v_mul_f32_e32 v128, v69, v0
.LBB86_93:                              ;   in Loop: Header=BB86_9 Depth=1
	v_bfi_b32 v0, s41, v30, v25
	v_bfi_b32 v1, s41, v29, v24
	v_fmac_f32_e32 v125, s15, v1
	v_fmac_f32_e32 v128, s15, v0
	v_add_f32_e32 v1, 0x40051340, v125
	v_add_f32_e32 v0, 0x40051340, v128
	v_max3_f32 v0, v108, v1, v0
	ds_bpermute_b32 v1, v8, v0
	v_cmp_nlt_f32_e64 s[18:19], |v14|, s37
                                        ; implicit-def: $vgpr29
	s_waitcnt lgkmcnt(0)
	v_max_f32_e32 v1, v1, v1
	v_max_f32_e32 v0, v0, v1
	ds_bpermute_b32 v1, v110, v0
	s_waitcnt lgkmcnt(0)
	v_max_f32_e32 v1, v1, v1
	v_max_f32_e32 v0, v0, v1
	ds_bpermute_b32 v1, v112, v0
	;; [unrolled: 4-line block ×4, first 2 shown]
	s_and_saveexec_b64 s[44:45], s[18:19]
	s_xor_b64 s[18:19], exec, s[44:45]
	s_cbranch_execz .LBB86_95
; %bb.94:                               ;   in Loop: Header=BB86_9 Depth=1
	v_add_f32_e64 v0, |v14|, |v14|
	v_mul_f32_e32 v1, 0x3fb8aa3b, v0
	v_rndne_f32_e32 v29, v1
	v_sub_f32_e32 v30, v1, v29
	v_fma_f32 v1, v0, s38, -v1
	v_fmac_f32_e32 v1, 0x32a5705f, v0
	v_add_f32_e32 v1, v30, v1
	v_cvt_i32_f32_e32 v29, v29
	v_exp_f32_e32 v1, v1
	v_cmp_ngt_f32_e32 vcc, s39, v0
	v_ldexp_f32 v1, v1, v29
	s_nop 0
	v_cndmask_b32_e32 v1, 0, v1, vcc
	v_cmp_nlt_f32_e32 vcc, s40, v0
	s_nop 1
	v_cndmask_b32_e32 v0, v105, v1, vcc
	v_add_f32_e32 v0, 1.0, v0
	v_rcp_f32_e32 v0, v0
	s_nop 0
	v_fma_f32 v29, v0, -2.0, 1.0
.LBB86_95:                              ;   in Loop: Header=BB86_9 Depth=1
	s_andn2_saveexec_b64 s[18:19], s[18:19]
; %bb.96:                               ;   in Loop: Header=BB86_9 Depth=1
	v_mul_f32_e32 v0, v14, v14
	v_fmamk_f32 v1, v0, 0xbbbac73d, v103
	v_fmaak_f32 v1, v0, v1, 0xbd5c1c4e
	v_fmaak_f32 v1, v0, v1, 0x3e088382
	v_fmaak_f32 v1, v0, v1, 0xbeaaaa99
	v_mul_f32_e64 v1, |v14|, v1
	v_fma_f32 v29, v0, v1, |v14|
; %bb.97:                               ;   in Loop: Header=BB86_9 Depth=1
	s_or_b64 exec, exec, s[18:19]
	v_add_u32_e32 v0, v111, v99
	s_and_b64 vcc, exec, s[4:5]
	v_ashrrev_i32_e32 v1, 31, v0
	s_cbranch_vccnz .LBB86_114
; %bb.98:                               ;   in Loop: Header=BB86_9 Depth=1
	v_lshl_add_u64 v[130:131], v[0:1], 1, v[42:43]
	global_load_ushort v30, v[130:131], off
	s_waitcnt vmcnt(0)
	v_cvt_f32_f16_e32 v30, v30
	v_mul_f32_e32 v111, v69, v30
	v_cmp_nlt_f32_e64 s[18:19], |v15|, s37
                                        ; implicit-def: $vgpr30
	s_and_saveexec_b64 s[44:45], s[18:19]
	s_xor_b64 s[18:19], exec, s[44:45]
	s_cbranch_execz .LBB86_100
.LBB86_99:                              ;   in Loop: Header=BB86_9 Depth=1
	v_add_f32_e64 v30, |v15|, |v15|
	v_mul_f32_e32 v127, 0x3fb8aa3b, v30
	v_rndne_f32_e32 v130, v127
	v_sub_f32_e32 v131, v127, v130
	v_fma_f32 v127, v30, s38, -v127
	v_fmac_f32_e32 v127, 0x32a5705f, v30
	v_add_f32_e32 v127, v131, v127
	v_cvt_i32_f32_e32 v130, v130
	v_exp_f32_e32 v127, v127
	v_cmp_ngt_f32_e32 vcc, s39, v30
	v_ldexp_f32 v127, v127, v130
	s_nop 0
	v_cndmask_b32_e32 v127, 0, v127, vcc
	v_cmp_nlt_f32_e32 vcc, s40, v30
	s_nop 1
	v_cndmask_b32_e32 v30, v105, v127, vcc
	v_add_f32_e32 v30, 1.0, v30
	v_rcp_f32_e32 v30, v30
	s_nop 0
	v_fma_f32 v30, v30, -2.0, 1.0
.LBB86_100:                             ;   in Loop: Header=BB86_9 Depth=1
	s_andn2_saveexec_b64 s[18:19], s[18:19]
	s_cbranch_execz .LBB86_103
; %bb.101:                              ;   in Loop: Header=BB86_9 Depth=1
	v_mul_f32_e32 v30, v15, v15
	v_fmamk_f32 v127, v30, 0xbbbac73d, v103
	v_fmaak_f32 v127, v30, v127, 0xbd5c1c4e
	v_fmaak_f32 v127, v30, v127, 0x3e088382
	;; [unrolled: 1-line block ×3, first 2 shown]
	v_mul_f32_e64 v127, |v15|, v127
	v_fma_f32 v30, v30, v127, |v15|
	s_or_b64 exec, exec, s[18:19]
	s_and_b64 vcc, exec, s[4:5]
	s_cbranch_vccz .LBB86_104
.LBB86_102:                             ;   in Loop: Header=BB86_9 Depth=1
	v_mov_b32_e32 v127, 0
	s_branch .LBB86_105
.LBB86_103:                             ;   in Loop: Header=BB86_9 Depth=1
	s_or_b64 exec, exec, s[18:19]
	s_and_b64 vcc, exec, s[4:5]
	s_cbranch_vccnz .LBB86_102
.LBB86_104:                             ;   in Loop: Header=BB86_9 Depth=1
	v_lshl_add_u64 v[0:1], v[0:1], 1, v[42:43]
	global_load_ushort v0, v[0:1], off offset:64
	s_waitcnt vmcnt(0)
	v_cvt_f32_f16_e32 v0, v0
	v_mul_f32_e32 v127, v69, v0
.LBB86_105:                             ;   in Loop: Header=BB86_9 Depth=1
	v_bfi_b32 v0, s41, v30, v15
	v_bfi_b32 v1, s41, v29, v14
	v_fmac_f32_e32 v111, s15, v1
	v_fmac_f32_e32 v127, s15, v0
	v_add_f32_e32 v1, 0x40051340, v111
	v_add_f32_e32 v0, 0x40051340, v127
	v_max3_f32 v0, v107, v1, v0
	ds_bpermute_b32 v1, v8, v0
	s_waitcnt lgkmcnt(1)
	v_max_f32_e32 v14, v25, v25
	v_max_f32_e32 v8, v24, v24
	v_max_f32_e32 v30, v8, v14
	v_max_f32_e32 v8, v27, v27
	s_waitcnt lgkmcnt(0)
	v_max_f32_e32 v1, v1, v1
	v_max_f32_e32 v0, v0, v1
	ds_bpermute_b32 v1, v110, v0
	v_max_f32_e32 v14, v26, v26
	v_max_f32_e32 v29, v14, v8
	v_max_f32_e32 v8, v129, v129
	v_max_f32_e32 v14, v28, v28
	s_waitcnt lgkmcnt(0)
	v_max_f32_e32 v1, v1, v1
	v_max_f32_e32 v0, v0, v1
	ds_bpermute_b32 v1, v112, v0
	v_max_f32_e32 v28, v14, v8
	v_max_f32_e32 v8, v126, v126
	v_max_f32_e32 v14, v31, v31
	v_max_f32_e32 v27, v14, v8
	s_waitcnt lgkmcnt(0)
	v_max_f32_e32 v1, v1, v1
	v_max_f32_e32 v0, v0, v1
	ds_bpermute_b32 v1, v113, v0
	v_max_f32_e32 v8, v122, v122
	v_max_f32_e32 v14, v120, v120
	v_max_f32_e32 v26, v14, v8
	v_max_f32_e32 v8, v118, v118
	s_waitcnt lgkmcnt(0)
	v_max_f32_e32 v1, v1, v1
	v_max_f32_e32 v0, v0, v1
	ds_bpermute_b32 v1, v114, v0
	v_max_f32_e32 v14, v117, v117
	v_max_f32_e32 v25, v14, v8
	;; [unrolled: 1-line block ×5, first 2 shown]
	s_waitcnt lgkmcnt(0)
	v_max_f32_e32 v1, v1, v1
	v_max_f32_e32 v31, v0, v1
	v_sub_f32_e32 v0, v2, v24
	v_mul_f32_e32 v1, 0x3fb8aa3b, v0
	v_fma_f32 v2, v0, s38, -v1
	v_rndne_f32_e32 v8, v1
	v_fmac_f32_e32 v2, 0x32a5705f, v0
	v_sub_f32_e32 v1, v1, v8
	v_add_f32_e32 v1, v1, v2
	v_exp_f32_e32 v1, v1
	v_cvt_i32_f32_e32 v2, v8
	v_sub_f32_e32 v8, v13, v24
	v_cmp_ngt_f32_e32 vcc, s39, v0
	v_sub_f32_e32 v12, v12, v25
	v_ldexp_f32 v1, v1, v2
	v_sub_f32_e32 v2, v3, v24
	v_mul_f32_e32 v3, 0x3fb8aa3b, v2
	v_fma_f32 v13, v2, s38, -v3
	v_rndne_f32_e32 v14, v3
	v_fmac_f32_e32 v13, 0x32a5705f, v2
	v_sub_f32_e32 v3, v3, v14
	v_add_f32_e32 v3, v3, v13
	v_cvt_i32_f32_e32 v13, v14
	v_mul_f32_e32 v14, 0x3fb8aa3b, v8
	v_fma_f32 v15, v8, s38, -v14
	v_rndne_f32_e32 v109, v14
	v_fmac_f32_e32 v15, 0x32a5705f, v8
	v_sub_f32_e32 v14, v14, v109
	v_add_f32_e32 v14, v14, v15
	v_exp_f32_e32 v3, v3
	v_exp_f32_e32 v14, v14
	v_cvt_i32_f32_e32 v15, v109
	v_cndmask_b32_e32 v1, 0, v1, vcc
	v_cmp_nlt_f32_e32 vcc, s40, v0
	s_mul_hi_i32 s5, s28, s2
	s_mul_i32 s4, s28, s2
	v_cndmask_b32_e32 v0, v105, v1, vcc
	v_ldexp_f32 v1, v3, v13
	v_ldexp_f32 v3, v14, v15
	v_cmp_ngt_f32_e32 vcc, s39, v8
	s_barrier
	s_nop 0
	v_cndmask_b32_e32 v3, 0, v3, vcc
	v_cmp_nlt_f32_e32 vcc, s40, v8
	s_nop 1
	v_cndmask_b32_e32 v8, v105, v3, vcc
	v_cvt_f16_f32_e32 v3, v8
	v_cmp_ngt_f32_e32 vcc, s39, v2
	s_nop 1
	v_cndmask_b32_e32 v1, 0, v1, vcc
	v_cmp_nlt_f32_e32 vcc, s40, v2
	s_nop 1
	v_cndmask_b32_e32 v2, v105, v1, vcc
	v_mul_u32_u24_e32 v1, 0x10001, v3
	v_sub_f32_e32 v3, v9, v25
	v_mul_f32_e32 v9, 0x3fb8aa3b, v3
	v_fma_f32 v13, v3, s38, -v9
	v_rndne_f32_e32 v14, v9
	v_fmac_f32_e32 v13, 0x32a5705f, v3
	v_sub_f32_e32 v9, v9, v14
	v_add_f32_e32 v9, v9, v13
	v_exp_f32_e32 v9, v9
	v_cvt_i32_f32_e32 v13, v14
	v_pk_mul_f16 v109, v90, v1
	v_pk_mul_f16 v90, v91, v1
	v_cmp_ngt_f32_e32 vcc, s39, v3
	v_ldexp_f32 v1, v9, v13
	v_sub_f32_e32 v13, v116, v25
	v_mul_f32_e32 v9, 0x3fb8aa3b, v13
	v_fma_f32 v14, v13, s38, -v9
	v_rndne_f32_e32 v15, v9
	v_fmac_f32_e32 v14, 0x32a5705f, v13
	v_sub_f32_e32 v9, v9, v15
	v_add_f32_e32 v9, v9, v14
	v_cvt_i32_f32_e32 v14, v15
	v_mul_f32_e32 v15, 0x3fb8aa3b, v12
	v_fma_f32 v91, v12, s38, -v15
	v_rndne_f32_e32 v110, v15
	v_fmac_f32_e32 v91, 0x32a5705f, v12
	v_sub_f32_e32 v15, v15, v110
	v_add_f32_e32 v15, v15, v91
	v_exp_f32_e32 v9, v9
	v_exp_f32_e32 v15, v15
	v_cvt_i32_f32_e32 v91, v110
	v_cndmask_b32_e32 v1, 0, v1, vcc
	v_cmp_nlt_f32_e32 vcc, s40, v3
	v_ldexp_f32 v3, v9, v14
	v_ldexp_f32 v9, v15, v91
	v_cndmask_b32_e32 v1, v105, v1, vcc
	v_cmp_ngt_f32_e32 vcc, s39, v12
	s_nop 1
	v_cndmask_b32_e32 v9, 0, v9, vcc
	v_cmp_nlt_f32_e32 vcc, s40, v12
	s_nop 1
	v_cndmask_b32_e32 v9, v105, v9, vcc
	v_cmp_ngt_f32_e32 vcc, s39, v13
	v_cvt_f16_f32_e32 v12, v9
	v_mul_u32_u24_e32 v12, 0x10001, v12
	v_cndmask_b32_e32 v3, 0, v3, vcc
	v_cmp_nlt_f32_e32 vcc, s40, v13
	v_sub_f32_e32 v13, v36, v26
	v_mul_f32_e32 v14, 0x3fb8aa3b, v13
	v_fma_f32 v15, v13, s38, -v14
	v_rndne_f32_e32 v36, v14
	v_fmac_f32_e32 v15, 0x32a5705f, v13
	v_sub_f32_e32 v14, v14, v36
	v_add_f32_e32 v14, v14, v15
	v_exp_f32_e32 v14, v14
	v_cvt_i32_f32_e32 v15, v36
	v_pk_mul_f16 v91, v88, v12
	v_pk_mul_f16 v120, v89, v12
	v_sub_f32_e32 v12, v10, v26
	v_ldexp_f32 v10, v14, v15
	v_sub_f32_e32 v15, v37, v26
	v_mul_f32_e32 v14, 0x3fb8aa3b, v15
	v_fma_f32 v36, v15, s38, -v14
	v_rndne_f32_e32 v37, v14
	v_fmac_f32_e32 v36, 0x32a5705f, v15
	v_sub_f32_e32 v14, v14, v37
	v_add_f32_e32 v14, v14, v36
	v_cvt_i32_f32_e32 v36, v37
	v_mul_f32_e32 v37, 0x3fb8aa3b, v12
	v_fma_f32 v88, v12, s38, -v37
	v_rndne_f32_e32 v89, v37
	v_fmac_f32_e32 v88, 0x32a5705f, v12
	v_sub_f32_e32 v37, v37, v89
	v_add_f32_e32 v37, v37, v88
	v_exp_f32_e32 v14, v14
	v_exp_f32_e32 v37, v37
	v_cvt_i32_f32_e32 v88, v89
	v_cndmask_b32_e32 v3, v105, v3, vcc
	v_cmp_ngt_f32_e32 vcc, s39, v13
	s_nop 1
	v_cndmask_b32_e32 v10, 0, v10, vcc
	v_cmp_nlt_f32_e32 vcc, s40, v13
	v_ldexp_f32 v13, v14, v36
	v_ldexp_f32 v14, v37, v88
	v_cndmask_b32_e32 v10, v105, v10, vcc
	v_cmp_ngt_f32_e32 vcc, s39, v12
	s_nop 1
	v_cndmask_b32_e32 v14, 0, v14, vcc
	v_cmp_nlt_f32_e32 vcc, s40, v12
	s_nop 1
	v_cndmask_b32_e32 v14, v105, v14, vcc
	v_cvt_f16_f32_e32 v36, v14
	v_cmp_ngt_f32_e32 vcc, s39, v15
	s_nop 1
	v_cndmask_b32_e32 v12, 0, v13, vcc
	v_cmp_nlt_f32_e32 vcc, s40, v15
	v_sub_f32_e32 v15, v34, v27
	v_mul_f32_e32 v34, 0x3fb8aa3b, v15
	v_mul_u32_u24_e32 v13, 0x10001, v36
	v_fma_f32 v36, v15, s38, -v34
	v_rndne_f32_e32 v37, v34
	v_fmac_f32_e32 v36, 0x32a5705f, v15
	v_sub_f32_e32 v34, v34, v37
	v_add_f32_e32 v34, v34, v36
	v_exp_f32_e32 v34, v34
	v_cvt_i32_f32_e32 v36, v37
	v_pk_mul_f16 v122, v84, v13
	v_pk_mul_f16 v126, v85, v13
	v_sub_f32_e32 v13, v11, v27
	v_ldexp_f32 v11, v34, v36
	v_sub_f32_e32 v34, v35, v27
	v_mul_f32_e32 v35, 0x3fb8aa3b, v34
	v_fma_f32 v36, v34, s38, -v35
	v_rndne_f32_e32 v37, v35
	v_fmac_f32_e32 v36, 0x32a5705f, v34
	v_sub_f32_e32 v35, v35, v37
	v_add_f32_e32 v35, v35, v36
	v_cvt_i32_f32_e32 v36, v37
	v_mul_f32_e32 v37, 0x3fb8aa3b, v13
	v_fma_f32 v84, v13, s38, -v37
	v_rndne_f32_e32 v85, v37
	v_fmac_f32_e32 v84, 0x32a5705f, v13
	v_sub_f32_e32 v37, v37, v85
	v_add_f32_e32 v37, v37, v84
	v_exp_f32_e32 v37, v37
	v_cvt_i32_f32_e32 v84, v85
	v_cndmask_b32_e32 v12, v105, v12, vcc
	v_cmp_ngt_f32_e32 vcc, s39, v15
	v_exp_f32_e32 v35, v35
	s_nop 0
	v_cndmask_b32_e32 v11, 0, v11, vcc
	v_cmp_nlt_f32_e32 vcc, s40, v15
	v_ldexp_f32 v15, v37, v84
	v_ldexp_f32 v35, v35, v36
	v_cndmask_b32_e32 v11, v105, v11, vcc
	v_cmp_ngt_f32_e32 vcc, s39, v13
	s_nop 1
	v_cndmask_b32_e32 v15, 0, v15, vcc
	v_cmp_nlt_f32_e32 vcc, s40, v13
	s_nop 1
	v_cndmask_b32_e32 v15, v105, v15, vcc
	v_cvt_f16_f32_e32 v36, v15
	v_cmp_ngt_f32_e32 vcc, s39, v34
	s_nop 1
	v_cndmask_b32_e32 v13, 0, v35, vcc
	v_sub_f32_e32 v35, v119, v28
	v_cmp_nlt_f32_e32 vcc, s40, v34
	v_mul_u32_u24_e32 v34, 0x10001, v36
	v_mul_f32_e32 v36, 0x3fb8aa3b, v35
	v_fma_f32 v37, v35, s38, -v36
	v_rndne_f32_e32 v84, v36
	v_fmac_f32_e32 v37, 0x32a5705f, v35
	v_sub_f32_e32 v36, v36, v84
	v_add_f32_e32 v36, v36, v37
	v_exp_f32_e32 v36, v36
	v_cvt_i32_f32_e32 v37, v84
	v_pk_mul_f16 v80, v80, v34
	v_pk_mul_f16 v82, v82, v34
	v_sub_f32_e32 v34, v32, v28
	v_ldexp_f32 v32, v36, v37
	v_sub_f32_e32 v37, v121, v28
	v_mul_f32_e32 v36, 0x3fb8aa3b, v37
	v_fma_f32 v84, v37, s38, -v36
	v_rndne_f32_e32 v85, v36
	v_fmac_f32_e32 v84, 0x32a5705f, v37
	v_sub_f32_e32 v36, v36, v85
	v_add_f32_e32 v36, v36, v84
	v_cvt_i32_f32_e32 v84, v85
	v_mul_f32_e32 v85, 0x3fb8aa3b, v34
	v_fma_f32 v88, v34, s38, -v85
	v_rndne_f32_e32 v89, v85
	v_fmac_f32_e32 v88, 0x32a5705f, v34
	v_sub_f32_e32 v85, v85, v89
	v_add_f32_e32 v85, v85, v88
	v_exp_f32_e32 v36, v36
	v_exp_f32_e32 v85, v85
	v_cvt_i32_f32_e32 v88, v89
	v_cndmask_b32_e32 v13, v105, v13, vcc
	v_cmp_ngt_f32_e32 vcc, s39, v35
	s_nop 1
	v_cndmask_b32_e32 v32, 0, v32, vcc
	v_cmp_nlt_f32_e32 vcc, s40, v35
	v_ldexp_f32 v35, v36, v84
	v_ldexp_f32 v36, v85, v88
	v_cndmask_b32_e32 v32, v105, v32, vcc
	v_cmp_ngt_f32_e32 vcc, s39, v34
	s_nop 1
	v_cndmask_b32_e32 v36, 0, v36, vcc
	v_cmp_nlt_f32_e32 vcc, s40, v34
	s_nop 1
	v_cndmask_b32_e32 v36, v105, v36, vcc
	v_cvt_f16_f32_e32 v84, v36
	v_cmp_ngt_f32_e32 vcc, s39, v37
	s_nop 1
	v_cndmask_b32_e32 v34, 0, v35, vcc
	v_cmp_nlt_f32_e32 vcc, s40, v37
	v_sub_f32_e32 v37, v123, v29
	v_mul_u32_u24_e32 v35, 0x10001, v84
	v_mul_f32_e32 v84, 0x3fb8aa3b, v37
	v_fma_f32 v85, v37, s38, -v84
	v_rndne_f32_e32 v88, v84
	v_fmac_f32_e32 v85, 0x32a5705f, v37
	v_sub_f32_e32 v84, v84, v88
	v_add_f32_e32 v84, v84, v85
	v_exp_f32_e32 v84, v84
	v_cvt_i32_f32_e32 v85, v88
	v_pk_mul_f16 v121, v78, v35
	v_sub_f32_e32 v78, v124, v29
	v_pk_mul_f16 v123, v79, v35
	v_mul_f32_e32 v79, 0x3fb8aa3b, v78
	v_sub_f32_e32 v35, v33, v29
	v_ldexp_f32 v33, v84, v85
	v_fma_f32 v84, v78, s38, -v79
	v_rndne_f32_e32 v85, v79
	v_fmac_f32_e32 v84, 0x32a5705f, v78
	v_sub_f32_e32 v79, v79, v85
	v_add_f32_e32 v79, v79, v84
	v_cvt_i32_f32_e32 v84, v85
	v_mul_f32_e32 v85, 0x3fb8aa3b, v35
	v_fma_f32 v88, v35, s38, -v85
	v_rndne_f32_e32 v89, v85
	v_fmac_f32_e32 v88, 0x32a5705f, v35
	v_sub_f32_e32 v85, v85, v89
	v_add_f32_e32 v85, v85, v88
	v_exp_f32_e32 v85, v85
	v_cvt_i32_f32_e32 v88, v89
	v_cndmask_b32_e32 v34, v105, v34, vcc
	v_cmp_ngt_f32_e32 vcc, s39, v37
	v_exp_f32_e32 v79, v79
	v_sub_f32_e32 v89, v128, v30
	v_cndmask_b32_e32 v33, 0, v33, vcc
	v_cmp_nlt_f32_e32 vcc, s40, v37
	v_ldexp_f32 v37, v85, v88
	v_ldexp_f32 v79, v79, v84
	v_cndmask_b32_e32 v33, v105, v33, vcc
	v_cmp_ngt_f32_e32 vcc, s39, v35
	s_nop 1
	v_cndmask_b32_e32 v37, 0, v37, vcc
	v_cmp_nlt_f32_e32 vcc, s40, v35
	s_nop 1
	v_cndmask_b32_e32 v37, v105, v37, vcc
	v_cvt_f16_f32_e32 v84, v37
	v_cmp_ngt_f32_e32 vcc, s39, v78
	s_nop 1
	v_cndmask_b32_e32 v35, 0, v79, vcc
	v_cmp_nlt_f32_e32 vcc, s40, v78
	v_mul_u32_u24_e32 v78, 0x10001, v84
	v_sub_f32_e32 v84, v125, v30
	v_mul_f32_e32 v79, 0x3fb8aa3b, v84
	v_fma_f32 v85, v84, s38, -v79
	v_rndne_f32_e32 v88, v79
	v_fmac_f32_e32 v85, 0x32a5705f, v84
	v_sub_f32_e32 v79, v79, v88
	v_add_f32_e32 v79, v79, v85
	v_exp_f32_e32 v79, v79
	v_cvt_i32_f32_e32 v85, v88
	v_cndmask_b32_e32 v35, v105, v35, vcc
	v_pk_mul_f16 v75, v75, v78
	v_pk_mul_f16 v76, v76, v78
	v_ldexp_f32 v78, v79, v85
	v_cmp_ngt_f32_e32 vcc, s39, v84
	v_sub_f32_e32 v88, v108, v30
	s_nop 0
	v_cndmask_b32_e32 v85, 0, v78, vcc
	v_mul_f32_e32 v78, 0x3fb8aa3b, v89
	v_fma_f32 v79, v89, s38, -v78
	v_rndne_f32_e32 v108, v78
	v_fmac_f32_e32 v79, 0x32a5705f, v89
	v_sub_f32_e32 v78, v78, v108
	v_add_f32_e32 v78, v78, v79
	v_exp_f32_e32 v110, v78
	v_mul_f32_e32 v78, 0x3fb8aa3b, v88
	v_fma_f32 v79, v88, s38, -v78
	v_rndne_f32_e32 v112, v78
	v_fmac_f32_e32 v79, 0x32a5705f, v88
	v_sub_f32_e32 v78, v78, v112
	v_add_f32_e32 v78, v78, v79
	v_exp_f32_e32 v116, v78
	v_lshl_add_u64 v[78:79], s[4:5], 2, v[6:7]
	v_cvt_i32_f32_e32 v117, v112
	global_load_dwordx4 v[112:115], v[78:79], off
	v_cmp_nlt_f32_e32 vcc, s40, v84
	v_cvt_i32_f32_e32 v108, v108
	v_ldexp_f32 v84, v116, v117
	v_cndmask_b32_e32 v78, v105, v85, vcc
	v_cmp_ngt_f32_e32 vcc, s39, v88
	v_ldexp_f32 v79, v110, v108
	v_pk_add_f32 v[116:117], v[32:33], v[34:35]
	v_cndmask_b32_e32 v84, 0, v84, vcc
	v_cmp_nlt_f32_e32 vcc, s40, v88
	v_pk_fma_f32 v[20:21], v[20:21], v[36:37], v[116:117]
	v_cvt_pk_f16_f32 v117, v10, v11
	v_cndmask_b32_e32 v84, v105, v84, vcc
	v_cvt_f16_f32_e32 v85, v84
	v_cmp_ngt_f32_e32 vcc, s39, v89
	v_cvt_pk_f16_f32 v116, v0, v1
	s_or_b32 s4, s28, 16
	v_cndmask_b32_e32 v79, 0, v79, vcc
	v_cmp_nlt_f32_e32 vcc, s40, v89
	s_mul_hi_i32 s5, s4, s2
	s_mul_i32 s4, s4, s2
	v_cndmask_b32_e32 v88, v105, v79, vcc
	v_mul_u32_u24_e32 v79, 0x10001, v85
	v_sub_f32_e32 v85, v111, v31
	v_mul_f32_e32 v89, 0x3fb8aa3b, v85
	v_fma_f32 v108, v85, s38, -v89
	v_rndne_f32_e32 v110, v89
	v_fmac_f32_e32 v108, 0x32a5705f, v85
	v_sub_f32_e32 v89, v89, v110
	v_add_f32_e32 v89, v89, v108
	v_exp_f32_e32 v89, v89
	v_cvt_i32_f32_e32 v108, v110
	v_pk_mul_f16 v125, v73, v79
	v_pk_mul_f16 v124, v72, v79
	v_sub_f32_e32 v72, v107, v31
	v_ldexp_f32 v73, v89, v108
	v_sub_f32_e32 v89, v127, v31
	v_mul_f32_e32 v79, 0x3fb8aa3b, v89
	v_fma_f32 v107, v89, s38, -v79
	v_rndne_f32_e32 v108, v79
	v_fmac_f32_e32 v107, 0x32a5705f, v89
	v_sub_f32_e32 v79, v79, v108
	v_add_f32_e32 v79, v79, v107
	v_exp_f32_e32 v107, v79
	v_cvt_i32_f32_e32 v108, v108
	v_cmp_ngt_f32_e32 vcc, s39, v85
	v_pk_add_f32 v[110:111], v[10:11], v[12:13]
	v_cvt_pk_f16_f32 v10, v34, v35
	v_cndmask_b32_e32 v73, 0, v73, vcc
	v_cmp_nlt_f32_e32 vcc, s40, v85
	v_mul_f32_e32 v85, 0x3fb8aa3b, v72
	v_pk_fma_f32 v[18:19], v[18:19], v[14:15], v[110:111]
	v_cndmask_b32_e32 v79, v105, v73, vcc
	v_ldexp_f32 v73, v107, v108
	v_fma_f32 v107, v72, s38, -v85
	v_rndne_f32_e32 v108, v85
	v_fmac_f32_e32 v107, 0x32a5705f, v72
	v_sub_f32_e32 v85, v85, v108
	v_add_f32_e32 v85, v85, v107
	v_exp_f32_e32 v85, v85
	v_cvt_i32_f32_e32 v107, v108
	v_cmp_ngt_f32_e32 vcc, s39, v89
	s_nop 1
	v_cndmask_b32_e32 v73, 0, v73, vcc
	v_cmp_nlt_f32_e32 vcc, s40, v89
	s_nop 1
	v_cndmask_b32_e32 v89, v105, v73, vcc
	v_ldexp_f32 v73, v85, v107
	v_cmp_ngt_f32_e32 vcc, s39, v72
	v_pk_add_f32 v[118:119], v[78:79], v[88:89]
	v_cvt_pk_f16_f32 v11, v88, v89
	v_cndmask_b32_e32 v73, 0, v73, vcc
	v_cmp_nlt_f32_e32 vcc, s40, v72
	s_nop 1
	v_cndmask_b32_e32 v85, v105, v73, vcc
	v_pk_fma_f32 v[22:23], v[22:23], v[84:85], v[118:119]
	v_cvt_f16_f32_e32 v84, v85
	v_pk_add_f32 v[72:73], v[0:1], v[2:3]
	v_cvt_pk_f16_f32 v119, v78, v79
	v_pk_fma_f32 v[16:17], v[16:17], v[8:9], v[72:73]
	v_mul_u32_u24_e32 v8, 0x10001, v84
	v_pk_mul_f16 v36, v44, v8
	v_pk_mul_f16 v37, v45, v8
	v_cvt_pk_f16_f32 v118, v32, v33
	v_cvt_pk_f16_f32 v9, v12, v13
	;; [unrolled: 1-line block ×3, first 2 shown]
	ds_write_b128 v104, v[116:119]
	ds_write_b128 v104, v[8:11] offset:512
	s_waitcnt vmcnt(0)
	ds_write_b128 v101, v[112:115]
	s_waitcnt lgkmcnt(0)
	s_barrier
	ds_read_b128 v[0:3], v100
	ds_read2_b64 v[8:11], v102 offset1:32
	ds_read_b128 v[12:15], v100 offset:16
	ds_read_b128 v[32:35], v100 offset:32
	;; [unrolled: 1-line block ×3, first 2 shown]
	s_waitcnt lgkmcnt(4)
	v_mul_u32_u24_sdwa v44, v0, s42 dst_sel:DWORD dst_unused:UNUSED_PAD src0_sel:WORD_0 src1_sel:DWORD
	v_mul_u32_u24_sdwa v0, v0, s42 dst_sel:DWORD dst_unused:UNUSED_PAD src0_sel:WORD_1 src1_sel:DWORD
	v_mul_u32_u24_sdwa v45, v1, s42 dst_sel:DWORD dst_unused:UNUSED_PAD src0_sel:WORD_0 src1_sel:DWORD
	v_mul_u32_u24_sdwa v1, v1, s42 dst_sel:DWORD dst_unused:UNUSED_PAD src0_sel:WORD_1 src1_sel:DWORD
	v_mul_u32_u24_sdwa v72, v2, s42 dst_sel:DWORD dst_unused:UNUSED_PAD src0_sel:WORD_0 src1_sel:DWORD
	v_mul_u32_u24_sdwa v2, v2, s42 dst_sel:DWORD dst_unused:UNUSED_PAD src0_sel:WORD_1 src1_sel:DWORD
	v_mul_u32_u24_sdwa v73, v3, s42 dst_sel:DWORD dst_unused:UNUSED_PAD src0_sel:WORD_0 src1_sel:DWORD
	v_mul_u32_u24_sdwa v3, v3, s42 dst_sel:DWORD dst_unused:UNUSED_PAD src0_sel:WORD_1 src1_sel:DWORD
	s_waitcnt lgkmcnt(3)
	v_pk_fma_f16 v78, v8, v44, v109
	v_pk_fma_f16 v79, v8, v0, v91
	;; [unrolled: 1-line block ×16, first 2 shown]
	s_waitcnt lgkmcnt(2)
	v_mul_u32_u24_sdwa v9, v12, s42 dst_sel:DWORD dst_unused:UNUSED_PAD src0_sel:WORD_0 src1_sel:DWORD
	v_mul_u32_u24_sdwa v12, v12, s42 dst_sel:DWORD dst_unused:UNUSED_PAD src0_sel:WORD_1 src1_sel:DWORD
	v_mul_u32_u24_sdwa v37, v13, s42 dst_sel:DWORD dst_unused:UNUSED_PAD src0_sel:WORD_0 src1_sel:DWORD
	v_mul_u32_u24_sdwa v13, v13, s42 dst_sel:DWORD dst_unused:UNUSED_PAD src0_sel:WORD_1 src1_sel:DWORD
	;; [unrolled: 2-line block ×4, first 2 shown]
	v_pk_fma_f16 v78, v10, v9, v78
	v_pk_fma_f16 v79, v10, v12, v79
	;; [unrolled: 1-line block ×16, first 2 shown]
	ds_read2_b64 v[0:3], v102 offset0:64 offset1:96
	s_waitcnt lgkmcnt(2)
	v_mul_u32_u24_sdwa v15, v32, s42 dst_sel:DWORD dst_unused:UNUSED_PAD src0_sel:WORD_0 src1_sel:DWORD
	v_mul_u32_u24_sdwa v32, v32, s42 dst_sel:DWORD dst_unused:UNUSED_PAD src0_sel:WORD_1 src1_sel:DWORD
	v_mul_u32_u24_sdwa v44, v33, s42 dst_sel:DWORD dst_unused:UNUSED_PAD src0_sel:WORD_0 src1_sel:DWORD
	v_mul_u32_u24_sdwa v33, v33, s42 dst_sel:DWORD dst_unused:UNUSED_PAD src0_sel:WORD_1 src1_sel:DWORD
	;; [unrolled: 2-line block ×4, first 2 shown]
	s_waitcnt lgkmcnt(0)
	v_pk_fma_f16 v73, v0, v15, v78
	v_pk_fma_f16 v76, v0, v32, v79
	;; [unrolled: 1-line block ×16, first 2 shown]
	v_mul_u32_u24_sdwa v11, v110, s42 dst_sel:DWORD dst_unused:UNUSED_PAD src0_sel:WORD_0 src1_sel:DWORD
	v_mul_u32_u24_sdwa v32, v110, s42 dst_sel:DWORD dst_unused:UNUSED_PAD src0_sel:WORD_1 src1_sel:DWORD
	v_mul_u32_u24_sdwa v33, v111, s42 dst_sel:DWORD dst_unused:UNUSED_PAD src0_sel:WORD_0 src1_sel:DWORD
	v_mul_u32_u24_sdwa v34, v111, s42 dst_sel:DWORD dst_unused:UNUSED_PAD src0_sel:WORD_1 src1_sel:DWORD
	v_mul_u32_u24_sdwa v37, v113, s42 dst_sel:DWORD dst_unused:UNUSED_PAD src0_sel:WORD_0 src1_sel:DWORD
	v_mul_u32_u24_sdwa v35, v112, s42 dst_sel:DWORD dst_unused:UNUSED_PAD src0_sel:WORD_0 src1_sel:DWORD
	v_mul_u32_u24_sdwa v36, v112, s42 dst_sel:DWORD dst_unused:UNUSED_PAD src0_sel:WORD_1 src1_sel:DWORD
	v_mul_u32_u24_sdwa v44, v113, s42 dst_sel:DWORD dst_unused:UNUSED_PAD src0_sel:WORD_1 src1_sel:DWORD
	v_pk_fma_f16 v45, v2, v11, v73
	v_pk_fma_f16 v72, v2, v32, v76
	;; [unrolled: 1-line block ×8, first 2 shown]
	ds_read_b128 v[8:11], v100 offset:64
	v_pk_fma_f16 v78, v2, v35, v80
	v_pk_fma_f16 v75, v2, v36, v75
	v_pk_fma_f16 v80, v2, v44, v0
	v_pk_fma_f16 v34, v3, v34, v12
	v_pk_fma_f16 v35, v3, v35, v13
	v_pk_fma_f16 v36, v3, v36, v14
	v_pk_fma_f16 v37, v3, v37, v15
	v_pk_fma_f16 v44, v3, v44, v1
	ds_read2_b64 v[0:3], v102 offset0:128 offset1:160
	ds_read_b128 v[12:15], v100 offset:80
	s_waitcnt lgkmcnt(2)
	v_mul_u32_u24_sdwa v84, v8, s42 dst_sel:DWORD dst_unused:UNUSED_PAD src0_sel:WORD_0 src1_sel:DWORD
	v_mul_u32_u24_sdwa v8, v8, s42 dst_sel:DWORD dst_unused:UNUSED_PAD src0_sel:WORD_1 src1_sel:DWORD
	v_mul_u32_u24_sdwa v85, v9, s42 dst_sel:DWORD dst_unused:UNUSED_PAD src0_sel:WORD_0 src1_sel:DWORD
	v_mul_u32_u24_sdwa v9, v9, s42 dst_sel:DWORD dst_unused:UNUSED_PAD src0_sel:WORD_1 src1_sel:DWORD
	;; [unrolled: 2-line block ×4, first 2 shown]
	s_waitcnt lgkmcnt(1)
	v_pk_fma_f16 v45, v0, v84, v45
	v_pk_fma_f16 v72, v0, v8, v72
	;; [unrolled: 1-line block ×16, first 2 shown]
	s_waitcnt lgkmcnt(0)
	v_mul_u32_u24_sdwa v11, v12, s42 dst_sel:DWORD dst_unused:UNUSED_PAD src0_sel:WORD_0 src1_sel:DWORD
	v_mul_u32_u24_sdwa v12, v12, s42 dst_sel:DWORD dst_unused:UNUSED_PAD src0_sel:WORD_1 src1_sel:DWORD
	v_mul_u32_u24_sdwa v35, v13, s42 dst_sel:DWORD dst_unused:UNUSED_PAD src0_sel:WORD_0 src1_sel:DWORD
	v_mul_u32_u24_sdwa v13, v13, s42 dst_sel:DWORD dst_unused:UNUSED_PAD src0_sel:WORD_1 src1_sel:DWORD
	;; [unrolled: 2-line block ×4, first 2 shown]
	v_pk_fma_f16 v44, v2, v11, v45
	v_pk_fma_f16 v45, v2, v12, v72
	v_pk_fma_f16 v72, v2, v35, v73
	v_pk_fma_f16 v73, v2, v13, v76
	v_pk_fma_f16 v76, v2, v36, v78
	v_pk_fma_f16 v80, v3, v11, v80
	v_pk_fma_f16 v82, v3, v12, v8
	v_pk_fma_f16 v32, v3, v35, v32
	v_pk_fma_f16 v35, v3, v13, v9
	v_pk_fma_f16 v33, v3, v36, v33
	v_pk_fma_f16 v36, v3, v14, v10
	ds_read_b128 v[8:11], v100 offset:96
	v_pk_fma_f16 v75, v2, v14, v75
	v_pk_fma_f16 v78, v2, v37, v79
	;; [unrolled: 1-line block ×5, first 2 shown]
	ds_read2_b64 v[0:3], v102 offset0:192 offset1:224
	ds_read_b128 v[12:15], v100 offset:112
	s_waitcnt lgkmcnt(2)
	v_mul_u32_u24_sdwa v84, v8, s42 dst_sel:DWORD dst_unused:UNUSED_PAD src0_sel:WORD_0 src1_sel:DWORD
	v_mul_u32_u24_sdwa v8, v8, s42 dst_sel:DWORD dst_unused:UNUSED_PAD src0_sel:WORD_1 src1_sel:DWORD
	v_mul_u32_u24_sdwa v85, v9, s42 dst_sel:DWORD dst_unused:UNUSED_PAD src0_sel:WORD_0 src1_sel:DWORD
	v_mul_u32_u24_sdwa v9, v9, s42 dst_sel:DWORD dst_unused:UNUSED_PAD src0_sel:WORD_1 src1_sel:DWORD
	;; [unrolled: 2-line block ×4, first 2 shown]
	s_waitcnt lgkmcnt(1)
	v_pk_fma_f16 v44, v0, v84, v44
	v_pk_fma_f16 v45, v0, v8, v45
	;; [unrolled: 1-line block ×16, first 2 shown]
	s_waitcnt lgkmcnt(0)
	v_mul_u32_u24_sdwa v11, v12, s42 dst_sel:DWORD dst_unused:UNUSED_PAD src0_sel:WORD_0 src1_sel:DWORD
	v_mul_u32_u24_sdwa v12, v12, s42 dst_sel:DWORD dst_unused:UNUSED_PAD src0_sel:WORD_1 src1_sel:DWORD
	v_mul_u32_u24_sdwa v35, v13, s42 dst_sel:DWORD dst_unused:UNUSED_PAD src0_sel:WORD_0 src1_sel:DWORD
	v_mul_u32_u24_sdwa v13, v13, s42 dst_sel:DWORD dst_unused:UNUSED_PAD src0_sel:WORD_1 src1_sel:DWORD
	;; [unrolled: 2-line block ×4, first 2 shown]
	v_pk_fma_f16 v44, v2, v11, v44
	v_pk_fma_f16 v45, v2, v12, v45
	;; [unrolled: 1-line block ×12, first 2 shown]
	ds_read_b128 v[8:11], v100 offset:128
	v_add_u32_e32 v0, 0x800, v102
	v_pk_fma_f16 v82, v3, v35, v32
	v_pk_fma_f16 v36, v3, v36, v33
	;; [unrolled: 1-line block ×4, first 2 shown]
	ds_read2_b64 v[12:15], v0 offset1:32
	ds_read_b128 v[32:35], v100 offset:144
	s_waitcnt lgkmcnt(2)
	v_mul_u32_u24_sdwa v3, v8, s42 dst_sel:DWORD dst_unused:UNUSED_PAD src0_sel:WORD_0 src1_sel:DWORD
	v_mul_u32_u24_sdwa v8, v8, s42 dst_sel:DWORD dst_unused:UNUSED_PAD src0_sel:WORD_1 src1_sel:DWORD
	v_mul_u32_u24_sdwa v88, v9, s42 dst_sel:DWORD dst_unused:UNUSED_PAD src0_sel:WORD_0 src1_sel:DWORD
	v_mul_u32_u24_sdwa v9, v9, s42 dst_sel:DWORD dst_unused:UNUSED_PAD src0_sel:WORD_1 src1_sel:DWORD
	;; [unrolled: 2-line block ×4, first 2 shown]
	s_waitcnt lgkmcnt(1)
	v_pk_fma_f16 v44, v12, v3, v44
	v_pk_fma_f16 v45, v12, v8, v45
	v_pk_fma_f16 v72, v12, v88, v72
	v_pk_fma_f16 v73, v12, v9, v73
	v_pk_fma_f16 v76, v12, v89, v76
	v_pk_fma_f16 v75, v12, v10, v75
	v_pk_fma_f16 v78, v12, v90, v78
	v_pk_fma_f16 v2, v12, v11, v2
	v_pk_fma_f16 v3, v13, v3, v79
	v_pk_fma_f16 v8, v13, v8, v80
	v_pk_fma_f16 v12, v13, v88, v82
	v_pk_fma_f16 v9, v13, v9, v84
	v_pk_fma_f16 v36, v13, v89, v36
	v_pk_fma_f16 v10, v13, v10, v85
	v_pk_fma_f16 v37, v13, v90, v37
	v_pk_fma_f16 v1, v13, v11, v1
	s_waitcnt lgkmcnt(0)
	v_mul_u32_u24_sdwa v11, v32, s42 dst_sel:DWORD dst_unused:UNUSED_PAD src0_sel:WORD_0 src1_sel:DWORD
	v_mul_u32_u24_sdwa v13, v32, s42 dst_sel:DWORD dst_unused:UNUSED_PAD src0_sel:WORD_1 src1_sel:DWORD
	v_mul_u32_u24_sdwa v32, v33, s42 dst_sel:DWORD dst_unused:UNUSED_PAD src0_sel:WORD_0 src1_sel:DWORD
	v_mul_u32_u24_sdwa v33, v33, s42 dst_sel:DWORD dst_unused:UNUSED_PAD src0_sel:WORD_1 src1_sel:DWORD
	;; [unrolled: 2-line block ×4, first 2 shown]
	v_pk_fma_f16 v44, v14, v11, v44
	v_pk_fma_f16 v76, v14, v79, v76
	;; [unrolled: 1-line block ×7, first 2 shown]
	ds_read_b128 v[8:11], v100 offset:160
	v_pk_fma_f16 v45, v14, v13, v45
	v_pk_fma_f16 v72, v14, v32, v72
	;; [unrolled: 1-line block ×9, first 2 shown]
	ds_read2_b64 v[12:15], v0 offset0:64 offset1:96
	ds_read_b128 v[32:35], v100 offset:176
	s_waitcnt lgkmcnt(2)
	v_mul_u32_u24_sdwa v80, v8, s42 dst_sel:DWORD dst_unused:UNUSED_PAD src0_sel:WORD_0 src1_sel:DWORD
	v_mul_u32_u24_sdwa v8, v8, s42 dst_sel:DWORD dst_unused:UNUSED_PAD src0_sel:WORD_1 src1_sel:DWORD
	v_mul_u32_u24_sdwa v88, v9, s42 dst_sel:DWORD dst_unused:UNUSED_PAD src0_sel:WORD_0 src1_sel:DWORD
	v_mul_u32_u24_sdwa v9, v9, s42 dst_sel:DWORD dst_unused:UNUSED_PAD src0_sel:WORD_1 src1_sel:DWORD
	;; [unrolled: 2-line block ×4, first 2 shown]
	s_waitcnt lgkmcnt(1)
	v_pk_fma_f16 v44, v12, v80, v44
	v_pk_fma_f16 v45, v12, v8, v45
	;; [unrolled: 1-line block ×16, first 2 shown]
	s_waitcnt lgkmcnt(0)
	v_mul_u32_u24_sdwa v11, v32, s42 dst_sel:DWORD dst_unused:UNUSED_PAD src0_sel:WORD_0 src1_sel:DWORD
	v_mul_u32_u24_sdwa v13, v32, s42 dst_sel:DWORD dst_unused:UNUSED_PAD src0_sel:WORD_1 src1_sel:DWORD
	v_mul_u32_u24_sdwa v32, v33, s42 dst_sel:DWORD dst_unused:UNUSED_PAD src0_sel:WORD_0 src1_sel:DWORD
	v_mul_u32_u24_sdwa v33, v33, s42 dst_sel:DWORD dst_unused:UNUSED_PAD src0_sel:WORD_1 src1_sel:DWORD
	;; [unrolled: 2-line block ×3, first 2 shown]
	v_pk_fma_f16 v44, v14, v11, v44
	v_pk_fma_f16 v76, v14, v79, v76
	;; [unrolled: 1-line block ×7, first 2 shown]
	ds_read_b128 v[8:11], v100 offset:192
	v_mul_u32_u24_sdwa v80, v35, s42 dst_sel:DWORD dst_unused:UNUSED_PAD src0_sel:WORD_0 src1_sel:DWORD
	v_mul_u32_u24_sdwa v35, v35, s42 dst_sel:DWORD dst_unused:UNUSED_PAD src0_sel:WORD_1 src1_sel:DWORD
	v_pk_fma_f16 v45, v14, v13, v45
	v_pk_fma_f16 v72, v14, v32, v72
	;; [unrolled: 1-line block ×9, first 2 shown]
	ds_read2_b64 v[12:15], v0 offset0:128 offset1:160
	ds_read_b128 v[32:35], v100 offset:208
	s_waitcnt lgkmcnt(2)
	v_mul_u32_u24_sdwa v80, v8, s42 dst_sel:DWORD dst_unused:UNUSED_PAD src0_sel:WORD_0 src1_sel:DWORD
	v_mul_u32_u24_sdwa v107, v8, s42 dst_sel:DWORD dst_unused:UNUSED_PAD src0_sel:WORD_1 src1_sel:DWORD
	v_mul_u32_u24_sdwa v116, v9, s42 dst_sel:DWORD dst_unused:UNUSED_PAD src0_sel:WORD_0 src1_sel:DWORD
	v_mul_u32_u24_sdwa v117, v9, s42 dst_sel:DWORD dst_unused:UNUSED_PAD src0_sel:WORD_1 src1_sel:DWORD
	;; [unrolled: 2-line block ×4, first 2 shown]
	s_waitcnt lgkmcnt(1)
	v_pk_fma_f16 v44, v12, v80, v44
	v_pk_fma_f16 v45, v12, v107, v45
	;; [unrolled: 1-line block ×9, first 2 shown]
	v_lshl_add_u64 v[2:3], s[4:5], 2, v[6:7]
	ds_read2_b64 v[8:11], v0 offset0:192 offset1:224
	ds_read_b128 v[88:91], v100 offset:224
	ds_read_b128 v[108:111], v100 offset:240
	s_waitcnt lgkmcnt(0)
	s_barrier
	global_load_dwordx4 v[112:115], v[2:3], off
	v_pk_fma_f16 v2, v13, v107, v82
	v_pk_fma_f16 v3, v13, v116, v84
	v_pk_fma_f16 v82, v13, v117, v85
	v_pk_fma_f16 v36, v13, v118, v36
	v_pk_fma_f16 v79, v13, v119, v79
	v_pk_fma_f16 v37, v13, v120, v37
	v_pk_fma_f16 v1, v13, v121, v1
	v_mul_u32_u24_sdwa v13, v32, s42 dst_sel:DWORD dst_unused:UNUSED_PAD src0_sel:WORD_0 src1_sel:DWORD
	v_mul_u32_u24_sdwa v32, v32, s42 dst_sel:DWORD dst_unused:UNUSED_PAD src0_sel:WORD_1 src1_sel:DWORD
	v_mul_u32_u24_sdwa v84, v33, s42 dst_sel:DWORD dst_unused:UNUSED_PAD src0_sel:WORD_0 src1_sel:DWORD
	v_mul_u32_u24_sdwa v33, v33, s42 dst_sel:DWORD dst_unused:UNUSED_PAD src0_sel:WORD_1 src1_sel:DWORD
	v_mul_u32_u24_sdwa v85, v34, s42 dst_sel:DWORD dst_unused:UNUSED_PAD src0_sel:WORD_0 src1_sel:DWORD
	v_mul_u32_u24_sdwa v34, v34, s42 dst_sel:DWORD dst_unused:UNUSED_PAD src0_sel:WORD_1 src1_sel:DWORD
	v_mul_u32_u24_sdwa v107, v35, s42 dst_sel:DWORD dst_unused:UNUSED_PAD src0_sel:WORD_0 src1_sel:DWORD
	v_mul_u32_u24_sdwa v35, v35, s42 dst_sel:DWORD dst_unused:UNUSED_PAD src0_sel:WORD_1 src1_sel:DWORD
	v_pk_fma_f16 v44, v14, v13, v44
	v_pk_fma_f16 v45, v14, v32, v45
	v_pk_fma_f16 v72, v14, v84, v72
	v_pk_fma_f16 v73, v14, v33, v73
	v_pk_fma_f16 v76, v14, v85, v76
	v_pk_fma_f16 v75, v14, v34, v75
	v_pk_fma_f16 v78, v14, v107, v78
	v_pk_fma_f16 v12, v14, v35, v12
	v_pk_fma_f16 v13, v15, v13, v80
	v_pk_fma_f16 v2, v15, v32, v2
	v_pk_fma_f16 v3, v15, v84, v3
	v_pk_fma_f16 v14, v15, v33, v82
	v_pk_fma_f16 v32, v15, v85, v36
	v_pk_fma_f16 v33, v15, v34, v79
	v_pk_fma_f16 v34, v15, v107, v37
	v_pk_fma_f16 v1, v15, v35, v1
	v_mul_u32_u24_sdwa v15, v88, s42 dst_sel:DWORD dst_unused:UNUSED_PAD src0_sel:WORD_0 src1_sel:DWORD
	v_mul_u32_u24_sdwa v35, v88, s42 dst_sel:DWORD dst_unused:UNUSED_PAD src0_sel:WORD_1 src1_sel:DWORD
	v_mul_u32_u24_sdwa v36, v89, s42 dst_sel:DWORD dst_unused:UNUSED_PAD src0_sel:WORD_0 src1_sel:DWORD
	v_mul_u32_u24_sdwa v37, v89, s42 dst_sel:DWORD dst_unused:UNUSED_PAD src0_sel:WORD_1 src1_sel:DWORD
	v_mul_u32_u24_sdwa v79, v90, s42 dst_sel:DWORD dst_unused:UNUSED_PAD src0_sel:WORD_0 src1_sel:DWORD
	v_mul_u32_u24_sdwa v80, v90, s42 dst_sel:DWORD dst_unused:UNUSED_PAD src0_sel:WORD_1 src1_sel:DWORD
	v_mul_u32_u24_sdwa v82, v91, s42 dst_sel:DWORD dst_unused:UNUSED_PAD src0_sel:WORD_0 src1_sel:DWORD
	v_mul_u32_u24_sdwa v84, v91, s42 dst_sel:DWORD dst_unused:UNUSED_PAD src0_sel:WORD_1 src1_sel:DWORD
	v_pk_fma_f16 v44, v8, v15, v44
	v_pk_fma_f16 v45, v8, v35, v45
	v_pk_fma_f16 v72, v8, v36, v72
	v_pk_fma_f16 v73, v8, v37, v73
	v_pk_fma_f16 v76, v8, v79, v76
	v_pk_fma_f16 v75, v8, v80, v75
	v_pk_fma_f16 v78, v8, v82, v78
	v_pk_fma_f16 v8, v8, v84, v12
	v_pk_fma_f16 v12, v9, v15, v13
	;; [unrolled: 24-line block ×3, first 2 shown]
	v_pk_fma_f16 v2, v11, v33, v2
	v_pk_fma_f16 v3, v11, v34, v3
	;; [unrolled: 1-line block ×7, first 2 shown]
	s_waitcnt vmcnt(0)
	ds_write_b128 v101, v[112:115]
	s_waitcnt lgkmcnt(0)
	s_barrier
	ds_read_b128 v[8:11], v100 offset:256
	ds_read2_b64 v[12:15], v102 offset1:32
	ds_read_b128 v[32:35], v100 offset:272
	ds_read_b128 v[88:91], v100 offset:288
	;; [unrolled: 1-line block ×3, first 2 shown]
	s_waitcnt lgkmcnt(4)
	v_mul_u32_u24_sdwa v80, v8, s42 dst_sel:DWORD dst_unused:UNUSED_PAD src0_sel:WORD_0 src1_sel:DWORD
	v_mul_u32_u24_sdwa v8, v8, s42 dst_sel:DWORD dst_unused:UNUSED_PAD src0_sel:WORD_1 src1_sel:DWORD
	v_mul_u32_u24_sdwa v107, v9, s42 dst_sel:DWORD dst_unused:UNUSED_PAD src0_sel:WORD_0 src1_sel:DWORD
	v_mul_u32_u24_sdwa v9, v9, s42 dst_sel:DWORD dst_unused:UNUSED_PAD src0_sel:WORD_1 src1_sel:DWORD
	;; [unrolled: 2-line block ×4, first 2 shown]
	s_waitcnt lgkmcnt(3)
	v_pk_fma_f16 v44, v12, v80, v44
	v_pk_fma_f16 v45, v12, v8, v45
	;; [unrolled: 1-line block ×16, first 2 shown]
	s_waitcnt lgkmcnt(2)
	v_mul_u32_u24_sdwa v11, v32, s42 dst_sel:DWORD dst_unused:UNUSED_PAD src0_sel:WORD_0 src1_sel:DWORD
	v_mul_u32_u24_sdwa v13, v32, s42 dst_sel:DWORD dst_unused:UNUSED_PAD src0_sel:WORD_1 src1_sel:DWORD
	v_mul_u32_u24_sdwa v32, v33, s42 dst_sel:DWORD dst_unused:UNUSED_PAD src0_sel:WORD_0 src1_sel:DWORD
	v_mul_u32_u24_sdwa v33, v33, s42 dst_sel:DWORD dst_unused:UNUSED_PAD src0_sel:WORD_1 src1_sel:DWORD
	;; [unrolled: 2-line block ×4, first 2 shown]
	v_pk_fma_f16 v44, v14, v11, v44
	v_pk_fma_f16 v45, v14, v13, v45
	;; [unrolled: 1-line block ×14, first 2 shown]
	ds_read2_b64 v[8:11], v102 offset0:64 offset1:96
	v_pk_fma_f16 v34, v15, v79, v36
	v_pk_fma_f16 v1, v15, v35, v1
	s_waitcnt lgkmcnt(2)
	v_mul_u32_u24_sdwa v15, v88, s42 dst_sel:DWORD dst_unused:UNUSED_PAD src0_sel:WORD_0 src1_sel:DWORD
	v_mul_u32_u24_sdwa v35, v88, s42 dst_sel:DWORD dst_unused:UNUSED_PAD src0_sel:WORD_1 src1_sel:DWORD
	v_mul_u32_u24_sdwa v36, v89, s42 dst_sel:DWORD dst_unused:UNUSED_PAD src0_sel:WORD_0 src1_sel:DWORD
	v_mul_u32_u24_sdwa v37, v89, s42 dst_sel:DWORD dst_unused:UNUSED_PAD src0_sel:WORD_1 src1_sel:DWORD
	;; [unrolled: 2-line block ×4, first 2 shown]
	s_waitcnt lgkmcnt(0)
	v_pk_fma_f16 v44, v8, v15, v44
	v_pk_fma_f16 v45, v8, v35, v45
	;; [unrolled: 1-line block ×16, first 2 shown]
	v_mul_u32_u24_sdwa v9, v108, s42 dst_sel:DWORD dst_unused:UNUSED_PAD src0_sel:WORD_0 src1_sel:DWORD
	v_mul_u32_u24_sdwa v35, v109, s42 dst_sel:DWORD dst_unused:UNUSED_PAD src0_sel:WORD_1 src1_sel:DWORD
	v_mul_u32_u24_sdwa v36, v110, s42 dst_sel:DWORD dst_unused:UNUSED_PAD src0_sel:WORD_0 src1_sel:DWORD
	v_mul_u32_u24_sdwa v37, v110, s42 dst_sel:DWORD dst_unused:UNUSED_PAD src0_sel:WORD_1 src1_sel:DWORD
	v_mul_u32_u24_sdwa v33, v108, s42 dst_sel:DWORD dst_unused:UNUSED_PAD src0_sel:WORD_1 src1_sel:DWORD
	v_mul_u32_u24_sdwa v34, v109, s42 dst_sel:DWORD dst_unused:UNUSED_PAD src0_sel:WORD_0 src1_sel:DWORD
	v_mul_u32_u24_sdwa v79, v111, s42 dst_sel:DWORD dst_unused:UNUSED_PAD src0_sel:WORD_0 src1_sel:DWORD
	v_mul_u32_u24_sdwa v80, v111, s42 dst_sel:DWORD dst_unused:UNUSED_PAD src0_sel:WORD_1 src1_sel:DWORD
	v_pk_fma_f16 v76, v10, v36, v76
	v_pk_fma_f16 v75, v10, v37, v75
	;; [unrolled: 1-line block ×6, first 2 shown]
	ds_read_b128 v[12:15], v100 offset:320
	v_pk_fma_f16 v44, v10, v9, v44
	v_pk_fma_f16 v45, v10, v33, v45
	;; [unrolled: 1-line block ×10, first 2 shown]
	ds_read2_b64 v[8:11], v102 offset0:128 offset1:160
	ds_read_b128 v[32:35], v100 offset:336
	s_waitcnt lgkmcnt(2)
	v_mul_u32_u24_sdwa v80, v12, s42 dst_sel:DWORD dst_unused:UNUSED_PAD src0_sel:WORD_0 src1_sel:DWORD
	v_mul_u32_u24_sdwa v12, v12, s42 dst_sel:DWORD dst_unused:UNUSED_PAD src0_sel:WORD_1 src1_sel:DWORD
	v_mul_u32_u24_sdwa v88, v13, s42 dst_sel:DWORD dst_unused:UNUSED_PAD src0_sel:WORD_0 src1_sel:DWORD
	v_mul_u32_u24_sdwa v13, v13, s42 dst_sel:DWORD dst_unused:UNUSED_PAD src0_sel:WORD_1 src1_sel:DWORD
	;; [unrolled: 2-line block ×4, first 2 shown]
	s_waitcnt lgkmcnt(1)
	v_pk_fma_f16 v44, v8, v80, v44
	v_pk_fma_f16 v45, v8, v12, v45
	;; [unrolled: 1-line block ×16, first 2 shown]
	s_waitcnt lgkmcnt(0)
	v_mul_u32_u24_sdwa v9, v32, s42 dst_sel:DWORD dst_unused:UNUSED_PAD src0_sel:WORD_0 src1_sel:DWORD
	v_mul_u32_u24_sdwa v15, v32, s42 dst_sel:DWORD dst_unused:UNUSED_PAD src0_sel:WORD_1 src1_sel:DWORD
	v_mul_u32_u24_sdwa v32, v33, s42 dst_sel:DWORD dst_unused:UNUSED_PAD src0_sel:WORD_0 src1_sel:DWORD
	v_mul_u32_u24_sdwa v33, v33, s42 dst_sel:DWORD dst_unused:UNUSED_PAD src0_sel:WORD_1 src1_sel:DWORD
	;; [unrolled: 2-line block ×4, first 2 shown]
	v_pk_fma_f16 v45, v10, v15, v45
	v_pk_fma_f16 v76, v10, v37, v76
	;; [unrolled: 1-line block ×6, first 2 shown]
	ds_read_b128 v[12:15], v100 offset:352
	v_pk_fma_f16 v44, v10, v9, v44
	v_pk_fma_f16 v72, v10, v32, v72
	;; [unrolled: 1-line block ×10, first 2 shown]
	ds_read2_b64 v[8:11], v102 offset0:192 offset1:224
	ds_read_b128 v[32:35], v100 offset:368
	s_waitcnt lgkmcnt(2)
	v_mul_u32_u24_sdwa v79, v12, s42 dst_sel:DWORD dst_unused:UNUSED_PAD src0_sel:WORD_0 src1_sel:DWORD
	v_mul_u32_u24_sdwa v12, v12, s42 dst_sel:DWORD dst_unused:UNUSED_PAD src0_sel:WORD_1 src1_sel:DWORD
	v_mul_u32_u24_sdwa v88, v13, s42 dst_sel:DWORD dst_unused:UNUSED_PAD src0_sel:WORD_0 src1_sel:DWORD
	v_mul_u32_u24_sdwa v13, v13, s42 dst_sel:DWORD dst_unused:UNUSED_PAD src0_sel:WORD_1 src1_sel:DWORD
	;; [unrolled: 2-line block ×4, first 2 shown]
	s_waitcnt lgkmcnt(1)
	v_pk_fma_f16 v44, v8, v79, v44
	v_pk_fma_f16 v45, v8, v12, v45
	;; [unrolled: 1-line block ×16, first 2 shown]
	s_waitcnt lgkmcnt(0)
	v_mul_u32_u24_sdwa v9, v32, s42 dst_sel:DWORD dst_unused:UNUSED_PAD src0_sel:WORD_0 src1_sel:DWORD
	v_mul_u32_u24_sdwa v15, v32, s42 dst_sel:DWORD dst_unused:UNUSED_PAD src0_sel:WORD_1 src1_sel:DWORD
	v_mul_u32_u24_sdwa v32, v33, s42 dst_sel:DWORD dst_unused:UNUSED_PAD src0_sel:WORD_0 src1_sel:DWORD
	v_mul_u32_u24_sdwa v33, v33, s42 dst_sel:DWORD dst_unused:UNUSED_PAD src0_sel:WORD_1 src1_sel:DWORD
	;; [unrolled: 2-line block ×4, first 2 shown]
	v_pk_fma_f16 v45, v10, v15, v45
	v_pk_fma_f16 v76, v10, v37, v76
	;; [unrolled: 1-line block ×6, first 2 shown]
	ds_read_b128 v[12:15], v100 offset:384
	v_pk_fma_f16 v44, v10, v9, v44
	v_pk_fma_f16 v72, v10, v32, v72
	;; [unrolled: 1-line block ×10, first 2 shown]
	ds_read2_b64 v[8:11], v0 offset1:32
	ds_read_b128 v[32:35], v100 offset:400
	s_waitcnt lgkmcnt(2)
	v_mul_u32_u24_sdwa v80, v12, s42 dst_sel:DWORD dst_unused:UNUSED_PAD src0_sel:WORD_0 src1_sel:DWORD
	v_mul_u32_u24_sdwa v12, v12, s42 dst_sel:DWORD dst_unused:UNUSED_PAD src0_sel:WORD_1 src1_sel:DWORD
	v_mul_u32_u24_sdwa v88, v13, s42 dst_sel:DWORD dst_unused:UNUSED_PAD src0_sel:WORD_0 src1_sel:DWORD
	v_mul_u32_u24_sdwa v13, v13, s42 dst_sel:DWORD dst_unused:UNUSED_PAD src0_sel:WORD_1 src1_sel:DWORD
	;; [unrolled: 2-line block ×4, first 2 shown]
	s_waitcnt lgkmcnt(1)
	v_pk_fma_f16 v44, v8, v80, v44
	v_pk_fma_f16 v45, v8, v12, v45
	;; [unrolled: 1-line block ×16, first 2 shown]
	s_waitcnt lgkmcnt(0)
	v_mul_u32_u24_sdwa v9, v32, s42 dst_sel:DWORD dst_unused:UNUSED_PAD src0_sel:WORD_0 src1_sel:DWORD
	v_mul_u32_u24_sdwa v15, v32, s42 dst_sel:DWORD dst_unused:UNUSED_PAD src0_sel:WORD_1 src1_sel:DWORD
	v_mul_u32_u24_sdwa v32, v33, s42 dst_sel:DWORD dst_unused:UNUSED_PAD src0_sel:WORD_0 src1_sel:DWORD
	v_mul_u32_u24_sdwa v33, v33, s42 dst_sel:DWORD dst_unused:UNUSED_PAD src0_sel:WORD_1 src1_sel:DWORD
	v_mul_u32_u24_sdwa v37, v34, s42 dst_sel:DWORD dst_unused:UNUSED_PAD src0_sel:WORD_0 src1_sel:DWORD
	v_mul_u32_u24_sdwa v34, v34, s42 dst_sel:DWORD dst_unused:UNUSED_PAD src0_sel:WORD_1 src1_sel:DWORD
	v_mul_u32_u24_sdwa v80, v35, s42 dst_sel:DWORD dst_unused:UNUSED_PAD src0_sel:WORD_0 src1_sel:DWORD
	v_mul_u32_u24_sdwa v35, v35, s42 dst_sel:DWORD dst_unused:UNUSED_PAD src0_sel:WORD_1 src1_sel:DWORD
	v_pk_fma_f16 v45, v10, v15, v45
	v_pk_fma_f16 v76, v10, v37, v76
	;; [unrolled: 1-line block ×6, first 2 shown]
	ds_read_b128 v[12:15], v100 offset:416
	v_pk_fma_f16 v44, v10, v9, v44
	v_pk_fma_f16 v72, v10, v32, v72
	;; [unrolled: 1-line block ×10, first 2 shown]
	ds_read2_b64 v[8:11], v0 offset0:64 offset1:96
	ds_read_b128 v[32:35], v100 offset:432
	s_waitcnt lgkmcnt(2)
	v_mul_u32_u24_sdwa v80, v12, s42 dst_sel:DWORD dst_unused:UNUSED_PAD src0_sel:WORD_0 src1_sel:DWORD
	v_mul_u32_u24_sdwa v12, v12, s42 dst_sel:DWORD dst_unused:UNUSED_PAD src0_sel:WORD_1 src1_sel:DWORD
	v_mul_u32_u24_sdwa v88, v13, s42 dst_sel:DWORD dst_unused:UNUSED_PAD src0_sel:WORD_0 src1_sel:DWORD
	v_mul_u32_u24_sdwa v13, v13, s42 dst_sel:DWORD dst_unused:UNUSED_PAD src0_sel:WORD_1 src1_sel:DWORD
	;; [unrolled: 2-line block ×4, first 2 shown]
	s_waitcnt lgkmcnt(1)
	v_pk_fma_f16 v44, v8, v80, v44
	v_pk_fma_f16 v45, v8, v12, v45
	v_pk_fma_f16 v72, v8, v88, v72
	v_pk_fma_f16 v73, v8, v13, v73
	v_pk_fma_f16 v76, v8, v89, v76
	v_pk_fma_f16 v75, v8, v14, v75
	v_pk_fma_f16 v78, v8, v90, v78
	v_pk_fma_f16 v8, v8, v15, v82
	v_pk_fma_f16 v79, v9, v80, v79
	v_pk_fma_f16 v2, v9, v12, v2
	v_pk_fma_f16 v3, v9, v88, v3
	v_pk_fma_f16 v12, v9, v13, v84
	v_pk_fma_f16 v13, v9, v89, v37
	v_pk_fma_f16 v14, v9, v14, v85
	v_pk_fma_f16 v36, v9, v90, v36
	v_pk_fma_f16 v1, v9, v15, v1
	s_waitcnt lgkmcnt(0)
	v_mul_u32_u24_sdwa v9, v32, s42 dst_sel:DWORD dst_unused:UNUSED_PAD src0_sel:WORD_0 src1_sel:DWORD
	v_mul_u32_u24_sdwa v15, v32, s42 dst_sel:DWORD dst_unused:UNUSED_PAD src0_sel:WORD_1 src1_sel:DWORD
	v_mul_u32_u24_sdwa v32, v33, s42 dst_sel:DWORD dst_unused:UNUSED_PAD src0_sel:WORD_0 src1_sel:DWORD
	v_mul_u32_u24_sdwa v33, v33, s42 dst_sel:DWORD dst_unused:UNUSED_PAD src0_sel:WORD_1 src1_sel:DWORD
	;; [unrolled: 2-line block ×3, first 2 shown]
	v_pk_fma_f16 v45, v10, v15, v45
	v_pk_fma_f16 v76, v10, v37, v76
	;; [unrolled: 1-line block ×6, first 2 shown]
	ds_read_b128 v[12:15], v100 offset:448
	v_mul_u32_u24_sdwa v80, v35, s42 dst_sel:DWORD dst_unused:UNUSED_PAD src0_sel:WORD_0 src1_sel:DWORD
	v_mul_u32_u24_sdwa v35, v35, s42 dst_sel:DWORD dst_unused:UNUSED_PAD src0_sel:WORD_1 src1_sel:DWORD
	v_pk_fma_f16 v44, v10, v9, v44
	v_pk_fma_f16 v72, v10, v32, v72
	;; [unrolled: 1-line block ×10, first 2 shown]
	ds_read2_b64 v[8:11], v0 offset0:128 offset1:160
	ds_read_b128 v[32:35], v100 offset:464
	s_or_b32 s4, s28, 32
	s_waitcnt lgkmcnt(2)
	v_mul_u32_u24_sdwa v2, v12, s42 dst_sel:DWORD dst_unused:UNUSED_PAD src0_sel:WORD_0 src1_sel:DWORD
	s_mul_hi_i32 s5, s4, s2
	s_mul_i32 s4, s4, s2
	s_waitcnt lgkmcnt(1)
	v_pk_fma_f16 v44, v8, v2, v44
	v_pk_fma_f16 v79, v9, v2, v79
	v_lshl_add_u64 v[2:3], s[4:5], 2, v[6:7]
	v_mul_u32_u24_sdwa v80, v12, s42 dst_sel:DWORD dst_unused:UNUSED_PAD src0_sel:WORD_1 src1_sel:DWORD
	v_mul_u32_u24_sdwa v117, v13, s42 dst_sel:DWORD dst_unused:UNUSED_PAD src0_sel:WORD_0 src1_sel:DWORD
	v_mul_u32_u24_sdwa v118, v13, s42 dst_sel:DWORD dst_unused:UNUSED_PAD src0_sel:WORD_1 src1_sel:DWORD
	v_mul_u32_u24_sdwa v119, v14, s42 dst_sel:DWORD dst_unused:UNUSED_PAD src0_sel:WORD_0 src1_sel:DWORD
	;; [unrolled: 2-line block ×3, first 2 shown]
	v_mul_u32_u24_sdwa v122, v15, s42 dst_sel:DWORD dst_unused:UNUSED_PAD src0_sel:WORD_1 src1_sel:DWORD
	ds_read2_b64 v[12:15], v0 offset0:192 offset1:224
	ds_read_b128 v[88:91], v100 offset:480
	ds_read_b128 v[108:111], v100 offset:496
	s_waitcnt lgkmcnt(0)
	s_barrier
	global_load_dwordx4 v[112:115], v[2:3], off
	v_pk_fma_f16 v45, v8, v80, v45
	v_pk_fma_f16 v72, v8, v117, v72
	v_pk_fma_f16 v73, v8, v118, v73
	v_pk_fma_f16 v76, v8, v119, v76
	v_pk_fma_f16 v75, v8, v120, v75
	v_pk_fma_f16 v78, v8, v121, v78
	v_pk_fma_f16 v8, v8, v122, v82
	v_pk_fma_f16 v2, v9, v80, v84
	v_pk_fma_f16 v3, v9, v117, v85
	v_pk_fma_f16 v80, v9, v118, v107
	v_pk_fma_f16 v37, v9, v119, v37
	v_pk_fma_f16 v82, v9, v120, v116
	v_pk_fma_f16 v36, v9, v121, v36
	v_pk_fma_f16 v1, v9, v122, v1
	v_mul_u32_u24_sdwa v9, v32, s42 dst_sel:DWORD dst_unused:UNUSED_PAD src0_sel:WORD_0 src1_sel:DWORD
	v_mul_u32_u24_sdwa v32, v32, s42 dst_sel:DWORD dst_unused:UNUSED_PAD src0_sel:WORD_1 src1_sel:DWORD
	v_mul_u32_u24_sdwa v84, v33, s42 dst_sel:DWORD dst_unused:UNUSED_PAD src0_sel:WORD_0 src1_sel:DWORD
	v_mul_u32_u24_sdwa v33, v33, s42 dst_sel:DWORD dst_unused:UNUSED_PAD src0_sel:WORD_1 src1_sel:DWORD
	v_mul_u32_u24_sdwa v85, v34, s42 dst_sel:DWORD dst_unused:UNUSED_PAD src0_sel:WORD_0 src1_sel:DWORD
	v_mul_u32_u24_sdwa v34, v34, s42 dst_sel:DWORD dst_unused:UNUSED_PAD src0_sel:WORD_1 src1_sel:DWORD
	v_mul_u32_u24_sdwa v107, v35, s42 dst_sel:DWORD dst_unused:UNUSED_PAD src0_sel:WORD_0 src1_sel:DWORD
	v_mul_u32_u24_sdwa v35, v35, s42 dst_sel:DWORD dst_unused:UNUSED_PAD src0_sel:WORD_1 src1_sel:DWORD
	v_pk_fma_f16 v44, v10, v9, v44
	v_pk_fma_f16 v45, v10, v32, v45
	v_pk_fma_f16 v72, v10, v84, v72
	v_pk_fma_f16 v73, v10, v33, v73
	v_pk_fma_f16 v76, v10, v85, v76
	v_pk_fma_f16 v75, v10, v34, v75
	v_pk_fma_f16 v78, v10, v107, v78
	v_pk_fma_f16 v8, v10, v35, v8
	v_pk_fma_f16 v9, v11, v9, v79
	v_pk_fma_f16 v2, v11, v32, v2
	v_pk_fma_f16 v3, v11, v84, v3
	v_pk_fma_f16 v10, v11, v33, v80
	v_pk_fma_f16 v32, v11, v85, v37
	v_pk_fma_f16 v33, v11, v34, v82
	v_pk_fma_f16 v34, v11, v107, v36
	v_pk_fma_f16 v1, v11, v35, v1
	v_mul_u32_u24_sdwa v11, v88, s42 dst_sel:DWORD dst_unused:UNUSED_PAD src0_sel:WORD_0 src1_sel:DWORD
	v_mul_u32_u24_sdwa v35, v88, s42 dst_sel:DWORD dst_unused:UNUSED_PAD src0_sel:WORD_1 src1_sel:DWORD
	v_mul_u32_u24_sdwa v36, v89, s42 dst_sel:DWORD dst_unused:UNUSED_PAD src0_sel:WORD_0 src1_sel:DWORD
	v_mul_u32_u24_sdwa v37, v89, s42 dst_sel:DWORD dst_unused:UNUSED_PAD src0_sel:WORD_1 src1_sel:DWORD
	v_mul_u32_u24_sdwa v79, v90, s42 dst_sel:DWORD dst_unused:UNUSED_PAD src0_sel:WORD_0 src1_sel:DWORD
	v_mul_u32_u24_sdwa v80, v90, s42 dst_sel:DWORD dst_unused:UNUSED_PAD src0_sel:WORD_1 src1_sel:DWORD
	v_mul_u32_u24_sdwa v82, v91, s42 dst_sel:DWORD dst_unused:UNUSED_PAD src0_sel:WORD_0 src1_sel:DWORD
	v_mul_u32_u24_sdwa v84, v91, s42 dst_sel:DWORD dst_unused:UNUSED_PAD src0_sel:WORD_1 src1_sel:DWORD
	v_pk_fma_f16 v44, v12, v11, v44
	v_pk_fma_f16 v45, v12, v35, v45
	;; [unrolled: 24-line block ×3, first 2 shown]
	v_pk_fma_f16 v72, v14, v34, v72
	v_pk_fma_f16 v73, v14, v35, v73
	;; [unrolled: 1-line block ×14, first 2 shown]
	s_waitcnt vmcnt(0)
	ds_write_b128 v101, v[112:115]
	s_waitcnt lgkmcnt(0)
	s_barrier
	ds_read_b128 v[8:11], v100 offset:512
	ds_read2_b64 v[12:15], v102 offset1:32
	ds_read_b128 v[32:35], v100 offset:528
	ds_read_b128 v[88:91], v100 offset:544
	;; [unrolled: 1-line block ×3, first 2 shown]
	s_waitcnt lgkmcnt(4)
	v_mul_u32_u24_sdwa v80, v8, s42 dst_sel:DWORD dst_unused:UNUSED_PAD src0_sel:WORD_0 src1_sel:DWORD
	v_mul_u32_u24_sdwa v8, v8, s42 dst_sel:DWORD dst_unused:UNUSED_PAD src0_sel:WORD_1 src1_sel:DWORD
	v_mul_u32_u24_sdwa v107, v9, s42 dst_sel:DWORD dst_unused:UNUSED_PAD src0_sel:WORD_0 src1_sel:DWORD
	v_mul_u32_u24_sdwa v9, v9, s42 dst_sel:DWORD dst_unused:UNUSED_PAD src0_sel:WORD_1 src1_sel:DWORD
	;; [unrolled: 2-line block ×4, first 2 shown]
	s_waitcnt lgkmcnt(3)
	v_pk_fma_f16 v44, v12, v80, v44
	v_pk_fma_f16 v45, v12, v8, v45
	;; [unrolled: 1-line block ×16, first 2 shown]
	s_waitcnt lgkmcnt(2)
	v_mul_u32_u24_sdwa v11, v32, s42 dst_sel:DWORD dst_unused:UNUSED_PAD src0_sel:WORD_0 src1_sel:DWORD
	v_mul_u32_u24_sdwa v13, v32, s42 dst_sel:DWORD dst_unused:UNUSED_PAD src0_sel:WORD_1 src1_sel:DWORD
	v_mul_u32_u24_sdwa v32, v33, s42 dst_sel:DWORD dst_unused:UNUSED_PAD src0_sel:WORD_0 src1_sel:DWORD
	v_mul_u32_u24_sdwa v33, v33, s42 dst_sel:DWORD dst_unused:UNUSED_PAD src0_sel:WORD_1 src1_sel:DWORD
	;; [unrolled: 2-line block ×4, first 2 shown]
	v_pk_fma_f16 v44, v14, v11, v44
	v_pk_fma_f16 v45, v14, v13, v45
	;; [unrolled: 1-line block ×14, first 2 shown]
	ds_read2_b64 v[8:11], v102 offset0:64 offset1:96
	v_pk_fma_f16 v34, v15, v79, v36
	v_pk_fma_f16 v1, v15, v35, v1
	s_waitcnt lgkmcnt(2)
	v_mul_u32_u24_sdwa v15, v88, s42 dst_sel:DWORD dst_unused:UNUSED_PAD src0_sel:WORD_0 src1_sel:DWORD
	v_mul_u32_u24_sdwa v35, v88, s42 dst_sel:DWORD dst_unused:UNUSED_PAD src0_sel:WORD_1 src1_sel:DWORD
	v_mul_u32_u24_sdwa v36, v89, s42 dst_sel:DWORD dst_unused:UNUSED_PAD src0_sel:WORD_0 src1_sel:DWORD
	v_mul_u32_u24_sdwa v37, v89, s42 dst_sel:DWORD dst_unused:UNUSED_PAD src0_sel:WORD_1 src1_sel:DWORD
	;; [unrolled: 2-line block ×4, first 2 shown]
	s_waitcnt lgkmcnt(0)
	v_pk_fma_f16 v44, v8, v15, v44
	v_pk_fma_f16 v45, v8, v35, v45
	;; [unrolled: 1-line block ×16, first 2 shown]
	v_mul_u32_u24_sdwa v9, v108, s42 dst_sel:DWORD dst_unused:UNUSED_PAD src0_sel:WORD_0 src1_sel:DWORD
	v_mul_u32_u24_sdwa v35, v109, s42 dst_sel:DWORD dst_unused:UNUSED_PAD src0_sel:WORD_1 src1_sel:DWORD
	v_mul_u32_u24_sdwa v36, v110, s42 dst_sel:DWORD dst_unused:UNUSED_PAD src0_sel:WORD_0 src1_sel:DWORD
	v_mul_u32_u24_sdwa v37, v110, s42 dst_sel:DWORD dst_unused:UNUSED_PAD src0_sel:WORD_1 src1_sel:DWORD
	v_mul_u32_u24_sdwa v33, v108, s42 dst_sel:DWORD dst_unused:UNUSED_PAD src0_sel:WORD_1 src1_sel:DWORD
	v_mul_u32_u24_sdwa v34, v109, s42 dst_sel:DWORD dst_unused:UNUSED_PAD src0_sel:WORD_0 src1_sel:DWORD
	v_mul_u32_u24_sdwa v79, v111, s42 dst_sel:DWORD dst_unused:UNUSED_PAD src0_sel:WORD_0 src1_sel:DWORD
	v_mul_u32_u24_sdwa v80, v111, s42 dst_sel:DWORD dst_unused:UNUSED_PAD src0_sel:WORD_1 src1_sel:DWORD
	v_pk_fma_f16 v76, v10, v36, v76
	v_pk_fma_f16 v75, v10, v37, v75
	;; [unrolled: 1-line block ×6, first 2 shown]
	ds_read_b128 v[12:15], v100 offset:576
	v_pk_fma_f16 v44, v10, v9, v44
	v_pk_fma_f16 v45, v10, v33, v45
	;; [unrolled: 1-line block ×10, first 2 shown]
	ds_read2_b64 v[8:11], v102 offset0:128 offset1:160
	ds_read_b128 v[32:35], v100 offset:592
	s_waitcnt lgkmcnt(2)
	v_mul_u32_u24_sdwa v80, v12, s42 dst_sel:DWORD dst_unused:UNUSED_PAD src0_sel:WORD_0 src1_sel:DWORD
	v_mul_u32_u24_sdwa v12, v12, s42 dst_sel:DWORD dst_unused:UNUSED_PAD src0_sel:WORD_1 src1_sel:DWORD
	v_mul_u32_u24_sdwa v88, v13, s42 dst_sel:DWORD dst_unused:UNUSED_PAD src0_sel:WORD_0 src1_sel:DWORD
	v_mul_u32_u24_sdwa v13, v13, s42 dst_sel:DWORD dst_unused:UNUSED_PAD src0_sel:WORD_1 src1_sel:DWORD
	;; [unrolled: 2-line block ×4, first 2 shown]
	s_waitcnt lgkmcnt(1)
	v_pk_fma_f16 v44, v8, v80, v44
	v_pk_fma_f16 v45, v8, v12, v45
	;; [unrolled: 1-line block ×16, first 2 shown]
	s_waitcnt lgkmcnt(0)
	v_mul_u32_u24_sdwa v9, v32, s42 dst_sel:DWORD dst_unused:UNUSED_PAD src0_sel:WORD_0 src1_sel:DWORD
	v_mul_u32_u24_sdwa v15, v32, s42 dst_sel:DWORD dst_unused:UNUSED_PAD src0_sel:WORD_1 src1_sel:DWORD
	v_mul_u32_u24_sdwa v32, v33, s42 dst_sel:DWORD dst_unused:UNUSED_PAD src0_sel:WORD_0 src1_sel:DWORD
	v_mul_u32_u24_sdwa v33, v33, s42 dst_sel:DWORD dst_unused:UNUSED_PAD src0_sel:WORD_1 src1_sel:DWORD
	;; [unrolled: 2-line block ×4, first 2 shown]
	v_pk_fma_f16 v45, v10, v15, v45
	v_pk_fma_f16 v76, v10, v37, v76
	;; [unrolled: 1-line block ×6, first 2 shown]
	ds_read_b128 v[12:15], v100 offset:608
	v_pk_fma_f16 v44, v10, v9, v44
	v_pk_fma_f16 v72, v10, v32, v72
	;; [unrolled: 1-line block ×10, first 2 shown]
	ds_read2_b64 v[8:11], v102 offset0:192 offset1:224
	ds_read_b128 v[32:35], v100 offset:624
	s_waitcnt lgkmcnt(2)
	v_mul_u32_u24_sdwa v79, v12, s42 dst_sel:DWORD dst_unused:UNUSED_PAD src0_sel:WORD_0 src1_sel:DWORD
	v_mul_u32_u24_sdwa v12, v12, s42 dst_sel:DWORD dst_unused:UNUSED_PAD src0_sel:WORD_1 src1_sel:DWORD
	v_mul_u32_u24_sdwa v88, v13, s42 dst_sel:DWORD dst_unused:UNUSED_PAD src0_sel:WORD_0 src1_sel:DWORD
	v_mul_u32_u24_sdwa v13, v13, s42 dst_sel:DWORD dst_unused:UNUSED_PAD src0_sel:WORD_1 src1_sel:DWORD
	v_mul_u32_u24_sdwa v89, v14, s42 dst_sel:DWORD dst_unused:UNUSED_PAD src0_sel:WORD_0 src1_sel:DWORD
	v_mul_u32_u24_sdwa v14, v14, s42 dst_sel:DWORD dst_unused:UNUSED_PAD src0_sel:WORD_1 src1_sel:DWORD
	v_mul_u32_u24_sdwa v90, v15, s42 dst_sel:DWORD dst_unused:UNUSED_PAD src0_sel:WORD_0 src1_sel:DWORD
	v_mul_u32_u24_sdwa v15, v15, s42 dst_sel:DWORD dst_unused:UNUSED_PAD src0_sel:WORD_1 src1_sel:DWORD
	s_waitcnt lgkmcnt(1)
	v_pk_fma_f16 v44, v8, v79, v44
	v_pk_fma_f16 v45, v8, v12, v45
	;; [unrolled: 1-line block ×16, first 2 shown]
	s_waitcnt lgkmcnt(0)
	v_mul_u32_u24_sdwa v9, v32, s42 dst_sel:DWORD dst_unused:UNUSED_PAD src0_sel:WORD_0 src1_sel:DWORD
	v_mul_u32_u24_sdwa v15, v32, s42 dst_sel:DWORD dst_unused:UNUSED_PAD src0_sel:WORD_1 src1_sel:DWORD
	v_mul_u32_u24_sdwa v32, v33, s42 dst_sel:DWORD dst_unused:UNUSED_PAD src0_sel:WORD_0 src1_sel:DWORD
	v_mul_u32_u24_sdwa v33, v33, s42 dst_sel:DWORD dst_unused:UNUSED_PAD src0_sel:WORD_1 src1_sel:DWORD
	;; [unrolled: 2-line block ×4, first 2 shown]
	v_pk_fma_f16 v45, v10, v15, v45
	v_pk_fma_f16 v76, v10, v37, v76
	;; [unrolled: 1-line block ×6, first 2 shown]
	ds_read_b128 v[12:15], v100 offset:640
	v_pk_fma_f16 v44, v10, v9, v44
	v_pk_fma_f16 v72, v10, v32, v72
	v_pk_fma_f16 v73, v10, v33, v73
	v_pk_fma_f16 v75, v10, v34, v75
	v_pk_fma_f16 v78, v10, v80, v78
	v_pk_fma_f16 v82, v10, v35, v8
	v_pk_fma_f16 v79, v11, v9, v79
	v_pk_fma_f16 v3, v11, v32, v3
	v_pk_fma_f16 v36, v11, v80, v36
	v_pk_fma_f16 v1, v11, v35, v1
	ds_read2_b64 v[8:11], v0 offset1:32
	ds_read_b128 v[32:35], v100 offset:656
	s_waitcnt lgkmcnt(2)
	v_mul_u32_u24_sdwa v80, v12, s42 dst_sel:DWORD dst_unused:UNUSED_PAD src0_sel:WORD_0 src1_sel:DWORD
	v_mul_u32_u24_sdwa v12, v12, s42 dst_sel:DWORD dst_unused:UNUSED_PAD src0_sel:WORD_1 src1_sel:DWORD
	v_mul_u32_u24_sdwa v88, v13, s42 dst_sel:DWORD dst_unused:UNUSED_PAD src0_sel:WORD_0 src1_sel:DWORD
	v_mul_u32_u24_sdwa v13, v13, s42 dst_sel:DWORD dst_unused:UNUSED_PAD src0_sel:WORD_1 src1_sel:DWORD
	;; [unrolled: 2-line block ×4, first 2 shown]
	s_waitcnt lgkmcnt(1)
	v_pk_fma_f16 v44, v8, v80, v44
	v_pk_fma_f16 v45, v8, v12, v45
	;; [unrolled: 1-line block ×16, first 2 shown]
	s_waitcnt lgkmcnt(0)
	v_mul_u32_u24_sdwa v9, v32, s42 dst_sel:DWORD dst_unused:UNUSED_PAD src0_sel:WORD_0 src1_sel:DWORD
	v_mul_u32_u24_sdwa v15, v32, s42 dst_sel:DWORD dst_unused:UNUSED_PAD src0_sel:WORD_1 src1_sel:DWORD
	v_mul_u32_u24_sdwa v32, v33, s42 dst_sel:DWORD dst_unused:UNUSED_PAD src0_sel:WORD_0 src1_sel:DWORD
	v_mul_u32_u24_sdwa v33, v33, s42 dst_sel:DWORD dst_unused:UNUSED_PAD src0_sel:WORD_1 src1_sel:DWORD
	;; [unrolled: 2-line block ×4, first 2 shown]
	v_pk_fma_f16 v45, v10, v15, v45
	v_pk_fma_f16 v76, v10, v37, v76
	;; [unrolled: 1-line block ×6, first 2 shown]
	ds_read_b128 v[12:15], v100 offset:672
	v_pk_fma_f16 v44, v10, v9, v44
	v_pk_fma_f16 v72, v10, v32, v72
	v_pk_fma_f16 v73, v10, v33, v73
	v_pk_fma_f16 v75, v10, v34, v75
	v_pk_fma_f16 v78, v10, v80, v78
	v_pk_fma_f16 v82, v10, v35, v8
	v_pk_fma_f16 v79, v11, v9, v79
	v_pk_fma_f16 v3, v11, v32, v3
	v_pk_fma_f16 v36, v11, v80, v36
	v_pk_fma_f16 v1, v11, v35, v1
	ds_read2_b64 v[8:11], v0 offset0:64 offset1:96
	ds_read_b128 v[32:35], v100 offset:688
	s_waitcnt lgkmcnt(2)
	v_mul_u32_u24_sdwa v80, v12, s42 dst_sel:DWORD dst_unused:UNUSED_PAD src0_sel:WORD_0 src1_sel:DWORD
	v_mul_u32_u24_sdwa v12, v12, s42 dst_sel:DWORD dst_unused:UNUSED_PAD src0_sel:WORD_1 src1_sel:DWORD
	v_mul_u32_u24_sdwa v88, v13, s42 dst_sel:DWORD dst_unused:UNUSED_PAD src0_sel:WORD_0 src1_sel:DWORD
	v_mul_u32_u24_sdwa v13, v13, s42 dst_sel:DWORD dst_unused:UNUSED_PAD src0_sel:WORD_1 src1_sel:DWORD
	;; [unrolled: 2-line block ×4, first 2 shown]
	s_waitcnt lgkmcnt(1)
	v_pk_fma_f16 v44, v8, v80, v44
	v_pk_fma_f16 v45, v8, v12, v45
	;; [unrolled: 1-line block ×16, first 2 shown]
	s_waitcnt lgkmcnt(0)
	v_mul_u32_u24_sdwa v9, v32, s42 dst_sel:DWORD dst_unused:UNUSED_PAD src0_sel:WORD_0 src1_sel:DWORD
	v_mul_u32_u24_sdwa v15, v32, s42 dst_sel:DWORD dst_unused:UNUSED_PAD src0_sel:WORD_1 src1_sel:DWORD
	v_mul_u32_u24_sdwa v32, v33, s42 dst_sel:DWORD dst_unused:UNUSED_PAD src0_sel:WORD_0 src1_sel:DWORD
	v_mul_u32_u24_sdwa v33, v33, s42 dst_sel:DWORD dst_unused:UNUSED_PAD src0_sel:WORD_1 src1_sel:DWORD
	;; [unrolled: 2-line block ×3, first 2 shown]
	v_pk_fma_f16 v45, v10, v15, v45
	v_pk_fma_f16 v76, v10, v37, v76
	;; [unrolled: 1-line block ×6, first 2 shown]
	ds_read_b128 v[12:15], v100 offset:704
	v_mul_u32_u24_sdwa v80, v35, s42 dst_sel:DWORD dst_unused:UNUSED_PAD src0_sel:WORD_0 src1_sel:DWORD
	v_mul_u32_u24_sdwa v35, v35, s42 dst_sel:DWORD dst_unused:UNUSED_PAD src0_sel:WORD_1 src1_sel:DWORD
	v_pk_fma_f16 v44, v10, v9, v44
	v_pk_fma_f16 v72, v10, v32, v72
	;; [unrolled: 1-line block ×10, first 2 shown]
	ds_read2_b64 v[8:11], v0 offset0:128 offset1:160
	ds_read_b128 v[32:35], v100 offset:720
	s_or_b32 s4, s28, 48
	s_waitcnt lgkmcnt(2)
	v_mul_u32_u24_sdwa v2, v12, s42 dst_sel:DWORD dst_unused:UNUSED_PAD src0_sel:WORD_0 src1_sel:DWORD
	s_mul_hi_i32 s5, s4, s2
	s_mul_i32 s4, s4, s2
	s_waitcnt lgkmcnt(1)
	v_pk_fma_f16 v44, v8, v2, v44
	v_pk_fma_f16 v79, v9, v2, v79
	v_lshl_add_u64 v[2:3], s[4:5], 2, v[6:7]
	v_mul_u32_u24_sdwa v80, v12, s42 dst_sel:DWORD dst_unused:UNUSED_PAD src0_sel:WORD_1 src1_sel:DWORD
	v_mul_u32_u24_sdwa v117, v13, s42 dst_sel:DWORD dst_unused:UNUSED_PAD src0_sel:WORD_0 src1_sel:DWORD
	v_mul_u32_u24_sdwa v118, v13, s42 dst_sel:DWORD dst_unused:UNUSED_PAD src0_sel:WORD_1 src1_sel:DWORD
	v_mul_u32_u24_sdwa v119, v14, s42 dst_sel:DWORD dst_unused:UNUSED_PAD src0_sel:WORD_0 src1_sel:DWORD
	;; [unrolled: 2-line block ×3, first 2 shown]
	v_mul_u32_u24_sdwa v122, v15, s42 dst_sel:DWORD dst_unused:UNUSED_PAD src0_sel:WORD_1 src1_sel:DWORD
	ds_read2_b64 v[12:15], v0 offset0:192 offset1:224
	ds_read_b128 v[88:91], v100 offset:736
	ds_read_b128 v[108:111], v100 offset:752
	s_waitcnt lgkmcnt(0)
	s_barrier
	global_load_dwordx4 v[112:115], v[2:3], off
	v_pk_fma_f16 v45, v8, v80, v45
	v_pk_fma_f16 v72, v8, v117, v72
	v_pk_fma_f16 v73, v8, v118, v73
	v_pk_fma_f16 v76, v8, v119, v76
	v_pk_fma_f16 v75, v8, v120, v75
	v_pk_fma_f16 v78, v8, v121, v78
	v_pk_fma_f16 v8, v8, v122, v82
	v_pk_fma_f16 v2, v9, v80, v84
	v_pk_fma_f16 v3, v9, v117, v85
	v_pk_fma_f16 v80, v9, v118, v107
	v_pk_fma_f16 v37, v9, v119, v37
	v_pk_fma_f16 v82, v9, v120, v116
	v_pk_fma_f16 v36, v9, v121, v36
	v_pk_fma_f16 v1, v9, v122, v1
	v_mul_u32_u24_sdwa v9, v32, s42 dst_sel:DWORD dst_unused:UNUSED_PAD src0_sel:WORD_0 src1_sel:DWORD
	v_mul_u32_u24_sdwa v32, v32, s42 dst_sel:DWORD dst_unused:UNUSED_PAD src0_sel:WORD_1 src1_sel:DWORD
	v_mul_u32_u24_sdwa v84, v33, s42 dst_sel:DWORD dst_unused:UNUSED_PAD src0_sel:WORD_0 src1_sel:DWORD
	v_mul_u32_u24_sdwa v33, v33, s42 dst_sel:DWORD dst_unused:UNUSED_PAD src0_sel:WORD_1 src1_sel:DWORD
	v_mul_u32_u24_sdwa v85, v34, s42 dst_sel:DWORD dst_unused:UNUSED_PAD src0_sel:WORD_0 src1_sel:DWORD
	v_mul_u32_u24_sdwa v34, v34, s42 dst_sel:DWORD dst_unused:UNUSED_PAD src0_sel:WORD_1 src1_sel:DWORD
	v_mul_u32_u24_sdwa v107, v35, s42 dst_sel:DWORD dst_unused:UNUSED_PAD src0_sel:WORD_0 src1_sel:DWORD
	v_mul_u32_u24_sdwa v35, v35, s42 dst_sel:DWORD dst_unused:UNUSED_PAD src0_sel:WORD_1 src1_sel:DWORD
	v_pk_fma_f16 v44, v10, v9, v44
	v_pk_fma_f16 v45, v10, v32, v45
	v_pk_fma_f16 v72, v10, v84, v72
	v_pk_fma_f16 v73, v10, v33, v73
	v_pk_fma_f16 v76, v10, v85, v76
	v_pk_fma_f16 v75, v10, v34, v75
	v_pk_fma_f16 v78, v10, v107, v78
	v_pk_fma_f16 v8, v10, v35, v8
	v_pk_fma_f16 v9, v11, v9, v79
	v_pk_fma_f16 v2, v11, v32, v2
	v_pk_fma_f16 v3, v11, v84, v3
	v_pk_fma_f16 v10, v11, v33, v80
	v_pk_fma_f16 v32, v11, v85, v37
	v_pk_fma_f16 v33, v11, v34, v82
	v_pk_fma_f16 v34, v11, v107, v36
	v_pk_fma_f16 v1, v11, v35, v1
	v_mul_u32_u24_sdwa v11, v88, s42 dst_sel:DWORD dst_unused:UNUSED_PAD src0_sel:WORD_0 src1_sel:DWORD
	v_mul_u32_u24_sdwa v35, v88, s42 dst_sel:DWORD dst_unused:UNUSED_PAD src0_sel:WORD_1 src1_sel:DWORD
	v_mul_u32_u24_sdwa v36, v89, s42 dst_sel:DWORD dst_unused:UNUSED_PAD src0_sel:WORD_0 src1_sel:DWORD
	v_mul_u32_u24_sdwa v37, v89, s42 dst_sel:DWORD dst_unused:UNUSED_PAD src0_sel:WORD_1 src1_sel:DWORD
	v_mul_u32_u24_sdwa v79, v90, s42 dst_sel:DWORD dst_unused:UNUSED_PAD src0_sel:WORD_0 src1_sel:DWORD
	v_mul_u32_u24_sdwa v80, v90, s42 dst_sel:DWORD dst_unused:UNUSED_PAD src0_sel:WORD_1 src1_sel:DWORD
	v_mul_u32_u24_sdwa v82, v91, s42 dst_sel:DWORD dst_unused:UNUSED_PAD src0_sel:WORD_0 src1_sel:DWORD
	v_mul_u32_u24_sdwa v84, v91, s42 dst_sel:DWORD dst_unused:UNUSED_PAD src0_sel:WORD_1 src1_sel:DWORD
	v_pk_fma_f16 v44, v12, v11, v44
	v_pk_fma_f16 v45, v12, v35, v45
	;; [unrolled: 24-line block ×3, first 2 shown]
	v_pk_fma_f16 v72, v14, v34, v72
	v_pk_fma_f16 v73, v14, v35, v73
	v_pk_fma_f16 v76, v14, v36, v76
	v_pk_fma_f16 v75, v14, v37, v75
	v_pk_fma_f16 v78, v14, v79, v78
	v_pk_fma_f16 v82, v14, v80, v8
	v_pk_fma_f16 v84, v15, v13, v9
	v_pk_fma_f16 v2, v15, v33, v2
	v_pk_fma_f16 v3, v15, v34, v3
	v_pk_fma_f16 v85, v15, v35, v10
	v_pk_fma_f16 v36, v15, v36, v11
	v_pk_fma_f16 v37, v15, v37, v12
	v_pk_fma_f16 v79, v15, v79, v32
	v_pk_fma_f16 v1, v15, v80, v1
	s_waitcnt vmcnt(0)
	ds_write_b128 v101, v[112:115]
	s_waitcnt lgkmcnt(0)
	s_barrier
	ds_read_b128 v[8:11], v100 offset:768
	ds_read2_b64 v[12:15], v102 offset1:32
	ds_read_b128 v[32:35], v100 offset:784
	ds_read_b128 v[88:91], v100 offset:800
	;; [unrolled: 1-line block ×3, first 2 shown]
	s_waitcnt lgkmcnt(4)
	v_mul_u32_u24_sdwa v80, v8, s42 dst_sel:DWORD dst_unused:UNUSED_PAD src0_sel:WORD_0 src1_sel:DWORD
	v_mul_u32_u24_sdwa v8, v8, s42 dst_sel:DWORD dst_unused:UNUSED_PAD src0_sel:WORD_1 src1_sel:DWORD
	v_mul_u32_u24_sdwa v107, v9, s42 dst_sel:DWORD dst_unused:UNUSED_PAD src0_sel:WORD_0 src1_sel:DWORD
	v_mul_u32_u24_sdwa v9, v9, s42 dst_sel:DWORD dst_unused:UNUSED_PAD src0_sel:WORD_1 src1_sel:DWORD
	;; [unrolled: 2-line block ×4, first 2 shown]
	s_waitcnt lgkmcnt(3)
	v_pk_fma_f16 v44, v12, v80, v44
	v_pk_fma_f16 v45, v12, v8, v45
	;; [unrolled: 1-line block ×16, first 2 shown]
	s_waitcnt lgkmcnt(2)
	v_mul_u32_u24_sdwa v11, v32, s42 dst_sel:DWORD dst_unused:UNUSED_PAD src0_sel:WORD_0 src1_sel:DWORD
	v_mul_u32_u24_sdwa v13, v32, s42 dst_sel:DWORD dst_unused:UNUSED_PAD src0_sel:WORD_1 src1_sel:DWORD
	v_mul_u32_u24_sdwa v32, v33, s42 dst_sel:DWORD dst_unused:UNUSED_PAD src0_sel:WORD_0 src1_sel:DWORD
	v_mul_u32_u24_sdwa v33, v33, s42 dst_sel:DWORD dst_unused:UNUSED_PAD src0_sel:WORD_1 src1_sel:DWORD
	;; [unrolled: 2-line block ×4, first 2 shown]
	v_pk_fma_f16 v44, v14, v11, v44
	v_pk_fma_f16 v45, v14, v13, v45
	;; [unrolled: 1-line block ×14, first 2 shown]
	ds_read2_b64 v[8:11], v102 offset0:64 offset1:96
	v_pk_fma_f16 v34, v15, v79, v36
	v_pk_fma_f16 v1, v15, v35, v1
	s_waitcnt lgkmcnt(2)
	v_mul_u32_u24_sdwa v15, v88, s42 dst_sel:DWORD dst_unused:UNUSED_PAD src0_sel:WORD_0 src1_sel:DWORD
	v_mul_u32_u24_sdwa v35, v88, s42 dst_sel:DWORD dst_unused:UNUSED_PAD src0_sel:WORD_1 src1_sel:DWORD
	v_mul_u32_u24_sdwa v36, v89, s42 dst_sel:DWORD dst_unused:UNUSED_PAD src0_sel:WORD_0 src1_sel:DWORD
	v_mul_u32_u24_sdwa v37, v89, s42 dst_sel:DWORD dst_unused:UNUSED_PAD src0_sel:WORD_1 src1_sel:DWORD
	;; [unrolled: 2-line block ×4, first 2 shown]
	s_waitcnt lgkmcnt(0)
	v_pk_fma_f16 v44, v8, v15, v44
	v_pk_fma_f16 v45, v8, v35, v45
	;; [unrolled: 1-line block ×16, first 2 shown]
	v_mul_u32_u24_sdwa v9, v108, s42 dst_sel:DWORD dst_unused:UNUSED_PAD src0_sel:WORD_0 src1_sel:DWORD
	v_mul_u32_u24_sdwa v35, v109, s42 dst_sel:DWORD dst_unused:UNUSED_PAD src0_sel:WORD_1 src1_sel:DWORD
	v_mul_u32_u24_sdwa v36, v110, s42 dst_sel:DWORD dst_unused:UNUSED_PAD src0_sel:WORD_0 src1_sel:DWORD
	v_mul_u32_u24_sdwa v37, v110, s42 dst_sel:DWORD dst_unused:UNUSED_PAD src0_sel:WORD_1 src1_sel:DWORD
	v_mul_u32_u24_sdwa v33, v108, s42 dst_sel:DWORD dst_unused:UNUSED_PAD src0_sel:WORD_1 src1_sel:DWORD
	v_mul_u32_u24_sdwa v34, v109, s42 dst_sel:DWORD dst_unused:UNUSED_PAD src0_sel:WORD_0 src1_sel:DWORD
	v_mul_u32_u24_sdwa v79, v111, s42 dst_sel:DWORD dst_unused:UNUSED_PAD src0_sel:WORD_0 src1_sel:DWORD
	v_mul_u32_u24_sdwa v80, v111, s42 dst_sel:DWORD dst_unused:UNUSED_PAD src0_sel:WORD_1 src1_sel:DWORD
	v_pk_fma_f16 v76, v10, v36, v76
	v_pk_fma_f16 v75, v10, v37, v75
	;; [unrolled: 1-line block ×6, first 2 shown]
	ds_read_b128 v[12:15], v100 offset:832
	v_pk_fma_f16 v44, v10, v9, v44
	v_pk_fma_f16 v45, v10, v33, v45
	;; [unrolled: 1-line block ×10, first 2 shown]
	ds_read2_b64 v[8:11], v102 offset0:128 offset1:160
	ds_read_b128 v[32:35], v100 offset:848
	s_waitcnt lgkmcnt(2)
	v_mul_u32_u24_sdwa v80, v12, s42 dst_sel:DWORD dst_unused:UNUSED_PAD src0_sel:WORD_0 src1_sel:DWORD
	v_mul_u32_u24_sdwa v12, v12, s42 dst_sel:DWORD dst_unused:UNUSED_PAD src0_sel:WORD_1 src1_sel:DWORD
	v_mul_u32_u24_sdwa v88, v13, s42 dst_sel:DWORD dst_unused:UNUSED_PAD src0_sel:WORD_0 src1_sel:DWORD
	v_mul_u32_u24_sdwa v13, v13, s42 dst_sel:DWORD dst_unused:UNUSED_PAD src0_sel:WORD_1 src1_sel:DWORD
	v_mul_u32_u24_sdwa v89, v14, s42 dst_sel:DWORD dst_unused:UNUSED_PAD src0_sel:WORD_0 src1_sel:DWORD
	v_mul_u32_u24_sdwa v14, v14, s42 dst_sel:DWORD dst_unused:UNUSED_PAD src0_sel:WORD_1 src1_sel:DWORD
	v_mul_u32_u24_sdwa v90, v15, s42 dst_sel:DWORD dst_unused:UNUSED_PAD src0_sel:WORD_0 src1_sel:DWORD
	v_mul_u32_u24_sdwa v15, v15, s42 dst_sel:DWORD dst_unused:UNUSED_PAD src0_sel:WORD_1 src1_sel:DWORD
	s_waitcnt lgkmcnt(1)
	v_pk_fma_f16 v44, v8, v80, v44
	v_pk_fma_f16 v45, v8, v12, v45
	;; [unrolled: 1-line block ×16, first 2 shown]
	s_waitcnt lgkmcnt(0)
	v_mul_u32_u24_sdwa v9, v32, s42 dst_sel:DWORD dst_unused:UNUSED_PAD src0_sel:WORD_0 src1_sel:DWORD
	v_mul_u32_u24_sdwa v15, v32, s42 dst_sel:DWORD dst_unused:UNUSED_PAD src0_sel:WORD_1 src1_sel:DWORD
	v_mul_u32_u24_sdwa v32, v33, s42 dst_sel:DWORD dst_unused:UNUSED_PAD src0_sel:WORD_0 src1_sel:DWORD
	v_mul_u32_u24_sdwa v33, v33, s42 dst_sel:DWORD dst_unused:UNUSED_PAD src0_sel:WORD_1 src1_sel:DWORD
	;; [unrolled: 2-line block ×4, first 2 shown]
	v_pk_fma_f16 v45, v10, v15, v45
	v_pk_fma_f16 v76, v10, v37, v76
	;; [unrolled: 1-line block ×6, first 2 shown]
	ds_read_b128 v[12:15], v100 offset:864
	v_pk_fma_f16 v44, v10, v9, v44
	v_pk_fma_f16 v72, v10, v32, v72
	;; [unrolled: 1-line block ×10, first 2 shown]
	ds_read2_b64 v[8:11], v102 offset0:192 offset1:224
	ds_read_b128 v[32:35], v100 offset:880
	s_waitcnt lgkmcnt(2)
	v_mul_u32_u24_sdwa v79, v12, s42 dst_sel:DWORD dst_unused:UNUSED_PAD src0_sel:WORD_0 src1_sel:DWORD
	v_mul_u32_u24_sdwa v12, v12, s42 dst_sel:DWORD dst_unused:UNUSED_PAD src0_sel:WORD_1 src1_sel:DWORD
	v_mul_u32_u24_sdwa v88, v13, s42 dst_sel:DWORD dst_unused:UNUSED_PAD src0_sel:WORD_0 src1_sel:DWORD
	v_mul_u32_u24_sdwa v13, v13, s42 dst_sel:DWORD dst_unused:UNUSED_PAD src0_sel:WORD_1 src1_sel:DWORD
	;; [unrolled: 2-line block ×4, first 2 shown]
	s_waitcnt lgkmcnt(1)
	v_pk_fma_f16 v44, v8, v79, v44
	v_pk_fma_f16 v45, v8, v12, v45
	;; [unrolled: 1-line block ×16, first 2 shown]
	s_waitcnt lgkmcnt(0)
	v_mul_u32_u24_sdwa v9, v32, s42 dst_sel:DWORD dst_unused:UNUSED_PAD src0_sel:WORD_0 src1_sel:DWORD
	v_mul_u32_u24_sdwa v15, v32, s42 dst_sel:DWORD dst_unused:UNUSED_PAD src0_sel:WORD_1 src1_sel:DWORD
	v_mul_u32_u24_sdwa v32, v33, s42 dst_sel:DWORD dst_unused:UNUSED_PAD src0_sel:WORD_0 src1_sel:DWORD
	v_mul_u32_u24_sdwa v33, v33, s42 dst_sel:DWORD dst_unused:UNUSED_PAD src0_sel:WORD_1 src1_sel:DWORD
	;; [unrolled: 2-line block ×4, first 2 shown]
	v_pk_fma_f16 v45, v10, v15, v45
	v_pk_fma_f16 v76, v10, v37, v76
	v_pk_fma_f16 v2, v11, v15, v2
	v_pk_fma_f16 v84, v11, v33, v12
	v_pk_fma_f16 v37, v11, v37, v13
	v_pk_fma_f16 v85, v11, v34, v14
	ds_read_b128 v[12:15], v100 offset:896
	v_pk_fma_f16 v44, v10, v9, v44
	v_pk_fma_f16 v72, v10, v32, v72
	;; [unrolled: 1-line block ×10, first 2 shown]
	ds_read2_b64 v[8:11], v0 offset1:32
	ds_read_b128 v[32:35], v100 offset:912
	s_waitcnt lgkmcnt(2)
	v_mul_u32_u24_sdwa v80, v12, s42 dst_sel:DWORD dst_unused:UNUSED_PAD src0_sel:WORD_0 src1_sel:DWORD
	v_mul_u32_u24_sdwa v12, v12, s42 dst_sel:DWORD dst_unused:UNUSED_PAD src0_sel:WORD_1 src1_sel:DWORD
	v_mul_u32_u24_sdwa v88, v13, s42 dst_sel:DWORD dst_unused:UNUSED_PAD src0_sel:WORD_0 src1_sel:DWORD
	v_mul_u32_u24_sdwa v13, v13, s42 dst_sel:DWORD dst_unused:UNUSED_PAD src0_sel:WORD_1 src1_sel:DWORD
	;; [unrolled: 2-line block ×4, first 2 shown]
	s_waitcnt lgkmcnt(1)
	v_pk_fma_f16 v44, v8, v80, v44
	v_pk_fma_f16 v45, v8, v12, v45
	;; [unrolled: 1-line block ×16, first 2 shown]
	s_waitcnt lgkmcnt(0)
	v_mul_u32_u24_sdwa v9, v32, s42 dst_sel:DWORD dst_unused:UNUSED_PAD src0_sel:WORD_0 src1_sel:DWORD
	v_mul_u32_u24_sdwa v15, v32, s42 dst_sel:DWORD dst_unused:UNUSED_PAD src0_sel:WORD_1 src1_sel:DWORD
	v_mul_u32_u24_sdwa v32, v33, s42 dst_sel:DWORD dst_unused:UNUSED_PAD src0_sel:WORD_0 src1_sel:DWORD
	v_mul_u32_u24_sdwa v33, v33, s42 dst_sel:DWORD dst_unused:UNUSED_PAD src0_sel:WORD_1 src1_sel:DWORD
	;; [unrolled: 2-line block ×4, first 2 shown]
	v_pk_fma_f16 v45, v10, v15, v45
	v_pk_fma_f16 v76, v10, v37, v76
	v_pk_fma_f16 v2, v11, v15, v2
	v_pk_fma_f16 v84, v11, v33, v12
	v_pk_fma_f16 v37, v11, v37, v13
	v_pk_fma_f16 v85, v11, v34, v14
	ds_read_b128 v[12:15], v100 offset:928
	v_pk_fma_f16 v44, v10, v9, v44
	v_pk_fma_f16 v72, v10, v32, v72
	;; [unrolled: 1-line block ×10, first 2 shown]
	ds_read2_b64 v[8:11], v0 offset0:64 offset1:96
	ds_read_b128 v[32:35], v100 offset:944
	s_waitcnt lgkmcnt(2)
	v_mul_u32_u24_sdwa v80, v12, s42 dst_sel:DWORD dst_unused:UNUSED_PAD src0_sel:WORD_0 src1_sel:DWORD
	v_mul_u32_u24_sdwa v12, v12, s42 dst_sel:DWORD dst_unused:UNUSED_PAD src0_sel:WORD_1 src1_sel:DWORD
	v_mul_u32_u24_sdwa v88, v13, s42 dst_sel:DWORD dst_unused:UNUSED_PAD src0_sel:WORD_0 src1_sel:DWORD
	v_mul_u32_u24_sdwa v13, v13, s42 dst_sel:DWORD dst_unused:UNUSED_PAD src0_sel:WORD_1 src1_sel:DWORD
	;; [unrolled: 2-line block ×4, first 2 shown]
	s_waitcnt lgkmcnt(1)
	v_pk_fma_f16 v44, v8, v80, v44
	v_pk_fma_f16 v45, v8, v12, v45
	;; [unrolled: 1-line block ×16, first 2 shown]
	s_waitcnt lgkmcnt(0)
	v_mul_u32_u24_sdwa v9, v32, s42 dst_sel:DWORD dst_unused:UNUSED_PAD src0_sel:WORD_0 src1_sel:DWORD
	v_mul_u32_u24_sdwa v15, v32, s42 dst_sel:DWORD dst_unused:UNUSED_PAD src0_sel:WORD_1 src1_sel:DWORD
	v_mul_u32_u24_sdwa v32, v33, s42 dst_sel:DWORD dst_unused:UNUSED_PAD src0_sel:WORD_0 src1_sel:DWORD
	v_mul_u32_u24_sdwa v33, v33, s42 dst_sel:DWORD dst_unused:UNUSED_PAD src0_sel:WORD_1 src1_sel:DWORD
	;; [unrolled: 2-line block ×4, first 2 shown]
	v_pk_fma_f16 v45, v10, v15, v45
	v_pk_fma_f16 v76, v10, v37, v76
	;; [unrolled: 1-line block ×6, first 2 shown]
	ds_read_b128 v[12:15], v100 offset:960
	v_pk_fma_f16 v44, v10, v9, v44
	v_pk_fma_f16 v72, v10, v32, v72
	;; [unrolled: 1-line block ×10, first 2 shown]
	ds_read2_b64 v[8:11], v0 offset0:128 offset1:160
	ds_read_b128 v[32:35], v100 offset:976
	s_waitcnt lgkmcnt(2)
	v_mul_u32_u24_sdwa v80, v12, s42 dst_sel:DWORD dst_unused:UNUSED_PAD src0_sel:WORD_0 src1_sel:DWORD
	v_mul_u32_u24_sdwa v12, v12, s42 dst_sel:DWORD dst_unused:UNUSED_PAD src0_sel:WORD_1 src1_sel:DWORD
	v_mul_u32_u24_sdwa v88, v13, s42 dst_sel:DWORD dst_unused:UNUSED_PAD src0_sel:WORD_0 src1_sel:DWORD
	v_mul_u32_u24_sdwa v13, v13, s42 dst_sel:DWORD dst_unused:UNUSED_PAD src0_sel:WORD_1 src1_sel:DWORD
	;; [unrolled: 2-line block ×4, first 2 shown]
	s_waitcnt lgkmcnt(1)
	v_pk_fma_f16 v44, v8, v80, v44
	v_pk_fma_f16 v45, v8, v12, v45
	;; [unrolled: 1-line block ×16, first 2 shown]
	s_waitcnt lgkmcnt(0)
	v_mul_u32_u24_sdwa v9, v32, s42 dst_sel:DWORD dst_unused:UNUSED_PAD src0_sel:WORD_0 src1_sel:DWORD
	v_mul_u32_u24_sdwa v15, v32, s42 dst_sel:DWORD dst_unused:UNUSED_PAD src0_sel:WORD_1 src1_sel:DWORD
	v_mul_u32_u24_sdwa v32, v33, s42 dst_sel:DWORD dst_unused:UNUSED_PAD src0_sel:WORD_0 src1_sel:DWORD
	v_mul_u32_u24_sdwa v33, v33, s42 dst_sel:DWORD dst_unused:UNUSED_PAD src0_sel:WORD_1 src1_sel:DWORD
	;; [unrolled: 2-line block ×4, first 2 shown]
	v_pk_fma_f16 v44, v10, v9, v44
	v_pk_fma_f16 v45, v10, v15, v45
	;; [unrolled: 1-line block ×14, first 2 shown]
	ds_read_b128 v[12:15], v100 offset:992
	v_pk_fma_f16 v36, v11, v80, v36
	v_pk_fma_f16 v35, v11, v35, v1
	ds_read2_b64 v[0:3], v0 offset0:192 offset1:224
	ds_read_b128 v[8:11], v100 offset:1008
	s_waitcnt lgkmcnt(0)
	s_barrier
	s_load_dword s4, s[12:13], 0x4
	v_mul_u32_u24_sdwa v80, v12, s42 dst_sel:DWORD dst_unused:UNUSED_PAD src0_sel:WORD_0 src1_sel:DWORD
	v_mul_u32_u24_sdwa v12, v12, s42 dst_sel:DWORD dst_unused:UNUSED_PAD src0_sel:WORD_1 src1_sel:DWORD
	v_mul_u32_u24_sdwa v85, v13, s42 dst_sel:DWORD dst_unused:UNUSED_PAD src0_sel:WORD_0 src1_sel:DWORD
	v_mul_u32_u24_sdwa v13, v13, s42 dst_sel:DWORD dst_unused:UNUSED_PAD src0_sel:WORD_1 src1_sel:DWORD
	;; [unrolled: 2-line block ×4, first 2 shown]
	s_waitcnt lgkmcnt(0)
	s_lshl_b32 s4, s4, 6
	v_pk_fma_f16 v44, v0, v80, v44
	v_pk_fma_f16 v45, v0, v12, v45
	;; [unrolled: 1-line block ×16, first 2 shown]
	v_mul_u32_u24_sdwa v15, v8, s42 dst_sel:DWORD dst_unused:UNUSED_PAD src0_sel:WORD_0 src1_sel:DWORD
	v_mul_u32_u24_sdwa v8, v8, s42 dst_sel:DWORD dst_unused:UNUSED_PAD src0_sel:WORD_1 src1_sel:DWORD
	v_mul_u32_u24_sdwa v35, v9, s42 dst_sel:DWORD dst_unused:UNUSED_PAD src0_sel:WORD_0 src1_sel:DWORD
	v_mul_u32_u24_sdwa v9, v9, s42 dst_sel:DWORD dst_unused:UNUSED_PAD src0_sel:WORD_1 src1_sel:DWORD
	v_mul_u32_u24_sdwa v36, v10, s42 dst_sel:DWORD dst_unused:UNUSED_PAD src0_sel:WORD_0 src1_sel:DWORD
	v_mul_u32_u24_sdwa v10, v10, s42 dst_sel:DWORD dst_unused:UNUSED_PAD src0_sel:WORD_1 src1_sel:DWORD
	v_mul_u32_u24_sdwa v37, v11, s42 dst_sel:DWORD dst_unused:UNUSED_PAD src0_sel:WORD_0 src1_sel:DWORD
	v_mul_u32_u24_sdwa v11, v11, s42 dst_sel:DWORD dst_unused:UNUSED_PAD src0_sel:WORD_1 src1_sel:DWORD
	s_add_i32 s28, s4, s28
	v_pk_fma_f16 v90, v2, v15, v44
	v_pk_fma_f16 v88, v2, v8, v45
	;; [unrolled: 1-line block ×15, first 2 shown]
	s_cmp_lt_i32 s28, s31
	v_pk_fma_f16 v45, v3, v11, v1
	s_cbranch_scc0 .LBB86_116
; %bb.106:                              ;   in Loop: Header=BB86_9 Depth=1
	v_mov_b32_e32 v13, v24
	v_mov_b32_e32 v12, v25
	;; [unrolled: 1-line block ×8, first 2 shown]
	s_branch .LBB86_9
.LBB86_107:                             ;   in Loop: Header=BB86_9 Depth=1
	v_mov_b32_e32 v2, 0
	v_cmp_nlt_f32_e64 s[18:19], |v110|, s37
                                        ; implicit-def: $vgpr9
	s_and_saveexec_b64 s[44:45], s[18:19]
	s_xor_b64 s[18:19], exec, s[44:45]
	s_cbranch_execz .LBB86_16
	s_branch .LBB86_15
.LBB86_108:                             ;   in Loop: Header=BB86_9 Depth=1
	v_mov_b32_e32 v9, 0
	v_cmp_nlt_f32_e64 s[18:19], |v37|, s37
                                        ; implicit-def: $vgpr118
	s_and_saveexec_b64 s[44:45], s[18:19]
	s_xor_b64 s[18:19], exec, s[44:45]
	s_cbranch_execz .LBB86_28
	s_branch .LBB86_27
.LBB86_109:                             ;   in Loop: Header=BB86_9 Depth=1
	v_mov_b32_e32 v36, 0
	v_cmp_nlt_f32_e64 s[18:19], |v35|, s37
                                        ; implicit-def: $vgpr120
	s_and_saveexec_b64 s[44:45], s[18:19]
	s_xor_b64 s[18:19], exec, s[44:45]
	s_cbranch_execz .LBB86_40
	s_branch .LBB86_39
.LBB86_110:                             ;   in Loop: Header=BB86_9 Depth=1
	v_mov_b32_e32 v34, 0
	v_cmp_nlt_f32_e64 s[18:19], |v31|, s37
                                        ; implicit-def: $vgpr121
	s_and_saveexec_b64 s[44:45], s[18:19]
	s_xor_b64 s[18:19], exec, s[44:45]
	s_cbranch_execz .LBB86_52
	s_branch .LBB86_51
.LBB86_111:                             ;   in Loop: Header=BB86_9 Depth=1
	v_mov_b32_e32 v119, 0
	v_cmp_nlt_f32_e64 s[18:19], |v29|, s37
                                        ; implicit-def: $vgpr123
	s_and_saveexec_b64 s[44:45], s[18:19]
	s_xor_b64 s[18:19], exec, s[44:45]
	s_cbranch_execz .LBB86_64
	s_branch .LBB86_63
.LBB86_112:                             ;   in Loop: Header=BB86_9 Depth=1
	v_mov_b32_e32 v123, 0
	v_cmp_nlt_f32_e64 s[18:19], |v27|, s37
                                        ; implicit-def: $vgpr30
	s_and_saveexec_b64 s[44:45], s[18:19]
	s_xor_b64 s[18:19], exec, s[44:45]
	s_cbranch_execz .LBB86_76
	s_branch .LBB86_75
.LBB86_113:                             ;   in Loop: Header=BB86_9 Depth=1
	v_mov_b32_e32 v125, 0
	v_cmp_nlt_f32_e64 s[18:19], |v25|, s37
                                        ; implicit-def: $vgpr30
	s_and_saveexec_b64 s[44:45], s[18:19]
	s_xor_b64 s[18:19], exec, s[44:45]
	s_cbranch_execz .LBB86_88
	s_branch .LBB86_87
.LBB86_114:                             ;   in Loop: Header=BB86_9 Depth=1
	v_mov_b32_e32 v111, 0
	v_cmp_nlt_f32_e64 s[18:19], |v15|, s37
                                        ; implicit-def: $vgpr30
	s_and_saveexec_b64 s[44:45], s[18:19]
	s_xor_b64 s[18:19], exec, s[44:45]
	s_cbranch_execz .LBB86_100
	s_branch .LBB86_99
.LBB86_115:
	v_mov_b32_e32 v24, 0xfeffffff
	v_mov_b32_e32 v25, v24
	;; [unrolled: 1-line block ×31, first 2 shown]
.LBB86_116:
	s_cmp_gt_i32 s36, s28
	s_cbranch_scc1 .LBB86_118
; %bb.117:
	v_mbcnt_hi_u32_b32 v92, -1, v87
	v_and_b32_e32 v0, 0x60, v92
	v_add_u32_e32 v93, 32, v0
	v_xor_b32_e32 v95, 16, v92
	v_xor_b32_e32 v98, 8, v92
	;; [unrolled: 1-line block ×5, first 2 shown]
	s_cbranch_execz .LBB86_119
	s_branch .LBB86_264
.LBB86_118:
                                        ; implicit-def: $vgpr92
                                        ; implicit-def: $vgpr93
                                        ; implicit-def: $vgpr95
                                        ; implicit-def: $vgpr98
                                        ; implicit-def: $vgpr96
                                        ; implicit-def: $vgpr97
                                        ; implicit-def: $vgpr94
.LBB86_119:
	s_mul_hi_i32 s5, s28, s30
	s_mul_i32 s4, s28, s30
	s_sub_i32 s18, s36, s28
	s_lshl_b64 s[4:5], s[4:5], 2
	v_add_u32_e32 v2, v39, v61
	s_add_u32 s4, s8, s4
	v_mul_lo_u32 v0, s30, v2
	s_addc_u32 s5, s9, s5
	v_ashrrev_i32_e32 v1, 31, v0
	s_mov_b64 s[6:7], src_private_base
	v_lshl_add_u64 v[0:1], v[0:1], 2, s[4:5]
	s_mov_b32 s4, 0
	s_mov_b32 s6, s4
	v_lshlrev_b32_e32 v36, 2, v38
	v_mov_b32_e32 v37, 0
	s_mov_b32 s5, s4
	v_mov_b32_e32 v96, s6
	v_lshl_add_u64 v[38:39], v[0:1], 0, v[36:37]
	v_mov_b32_e32 v95, s5
	v_mov_b32_e32 v94, s4
	;; [unrolled: 1-line block ×3, first 2 shown]
	v_cmp_gt_i32_e32 vcc, s18, v2
	v_mov_b32_e32 v93, 0
	scratch_store_dword off, v37, off
	scratch_store_dwordx3 off, v[94:96], off offset:4
	v_cndmask_b32_e32 v1, v92, v39, vcc
	v_cndmask_b32_e32 v0, v93, v38, vcc
	flat_load_dwordx4 v[8:11], v[0:1]
	s_movk_i32 s4, 0x50
	v_mul_u32_u24_e32 v47, 0x50, v40
	v_mad_u32_u24 v36, v2, s4, v36
	v_mov_b32_e32 v0, v37
	v_mov_b32_e32 v1, v37
	;; [unrolled: 1-line block ×8, first 2 shown]
	s_mov_b64 s[4:5], 0x80
	s_waitcnt vmcnt(0) lgkmcnt(0)
	ds_write_b128 v36, v[8:11] offset:24576
	s_waitcnt lgkmcnt(0)
	s_barrier
	ds_read_b128 v[8:11], v47 offset:24576
	ds_read_b128 v[32:35], v47 offset:27136
	ds_read_b128 v[12:15], v41
	ds_read_b128 v[98:101], v41 offset:256
	ds_read_b128 v[102:105], v41 offset:512
	;; [unrolled: 1-line block ×7, first 2 shown]
	s_waitcnt lgkmcnt(7)
	;;#ASMSTART
	v_dot2_f32_f16 v0, v8, v12, v0
	;;#ASMEND
	s_nop 0
	;;#ASMSTART
	v_dot2_f32_f16 v0, v9, v13, v0
	;;#ASMEND
	s_nop 0
	;;#ASMSTART
	v_dot2_f32_f16 v0, v10, v14, v0
	;;#ASMEND
	s_nop 0
	;;#ASMSTART
	v_dot2_f32_f16 v0, v11, v15, v0
	;;#ASMEND
	s_waitcnt lgkmcnt(6)
	;;#ASMSTART
	v_dot2_f32_f16 v1, v8, v98, v1
	;;#ASMEND
	s_nop 0
	;;#ASMSTART
	v_dot2_f32_f16 v1, v9, v99, v1
	;;#ASMEND
	s_nop 0
	;;#ASMSTART
	v_dot2_f32_f16 v1, v10, v100, v1
	;;#ASMEND
	s_nop 0
	;;#ASMSTART
	v_dot2_f32_f16 v1, v11, v101, v1
	;;#ASMEND
	;; [unrolled: 16-line block ×7, first 2 shown]
	s_waitcnt lgkmcnt(0)
	;;#ASMSTART
	v_dot2_f32_f16 v7, v8, v122, v7
	;;#ASMEND
	v_mov_b32_e32 v8, v37
	;;#ASMSTART
	v_dot2_f32_f16 v7, v9, v123, v7
	;;#ASMEND
	v_mov_b32_e32 v9, v37
	;; [unrolled: 4-line block ×3, first 2 shown]
	;;#ASMSTART
	v_dot2_f32_f16 v7, v11, v125, v7
	;;#ASMEND
	;;#ASMSTART
	v_dot2_f32_f16 v8, v32, v12, v8
	;;#ASMEND
	v_mov_b32_e32 v11, v37
	;;#ASMSTART
	v_dot2_f32_f16 v8, v33, v13, v8
	;;#ASMEND
	v_mov_b32_e32 v12, v37
	;; [unrolled: 4-line block ×3, first 2 shown]
	;;#ASMSTART
	v_dot2_f32_f16 v8, v35, v15, v8
	;;#ASMEND
	;;#ASMSTART
	v_dot2_f32_f16 v9, v32, v98, v9
	;;#ASMEND
	v_mov_b32_e32 v14, v37
	;;#ASMSTART
	v_dot2_f32_f16 v9, v33, v99, v9
	;;#ASMEND
	v_mov_b32_e32 v15, v37
	;;#ASMSTART
	v_dot2_f32_f16 v9, v34, v100, v9
	;;#ASMEND
	s_nop 0
	;;#ASMSTART
	v_dot2_f32_f16 v9, v35, v101, v9
	;;#ASMEND
	;;#ASMSTART
	v_dot2_f32_f16 v10, v32, v102, v10
	;;#ASMEND
	s_nop 0
	;;#ASMSTART
	v_dot2_f32_f16 v10, v33, v103, v10
	;;#ASMEND
	s_nop 0
	;;#ASMSTART
	v_dot2_f32_f16 v10, v34, v104, v10
	;;#ASMEND
	s_nop 0
	;;#ASMSTART
	v_dot2_f32_f16 v10, v35, v105, v10
	;;#ASMEND
	;;#ASMSTART
	v_dot2_f32_f16 v11, v32, v106, v11
	;;#ASMEND
	s_nop 0
	;;#ASMSTART
	v_dot2_f32_f16 v11, v33, v107, v11
	;;#ASMEND
	s_nop 0
	;; [unrolled: 15-line block ×6, first 2 shown]
	;;#ASMSTART
	v_dot2_f32_f16 v15, v34, v124, v15
	;;#ASMEND
	s_nop 0
	;;#ASMSTART
	v_dot2_f32_f16 v15, v35, v125, v15
	;;#ASMEND
	ds_read_b128 v[98:101], v47 offset:24592
	ds_read_b128 v[32:35], v47 offset:27152
	;; [unrolled: 1-line block ×10, first 2 shown]
	s_waitcnt lgkmcnt(7)
	;;#ASMSTART
	v_dot2_f32_f16 v0, v98, v102, v0
	;;#ASMEND
	s_nop 0
	;;#ASMSTART
	v_dot2_f32_f16 v0, v99, v103, v0
	;;#ASMEND
	s_nop 0
	;;#ASMSTART
	v_dot2_f32_f16 v0, v100, v104, v0
	;;#ASMEND
	s_nop 0
	;;#ASMSTART
	v_dot2_f32_f16 v0, v101, v105, v0
	;;#ASMEND
	s_waitcnt lgkmcnt(6)
	;;#ASMSTART
	v_dot2_f32_f16 v1, v98, v106, v1
	;;#ASMEND
	s_nop 0
	;;#ASMSTART
	v_dot2_f32_f16 v1, v99, v107, v1
	;;#ASMEND
	s_nop 0
	;;#ASMSTART
	v_dot2_f32_f16 v1, v100, v108, v1
	;;#ASMEND
	s_nop 0
	;;#ASMSTART
	v_dot2_f32_f16 v1, v101, v109, v1
	;;#ASMEND
	;; [unrolled: 16-line block ×8, first 2 shown]
	;;#ASMSTART
	v_dot2_f32_f16 v8, v32, v102, v8
	;;#ASMEND
	s_nop 0
	;;#ASMSTART
	v_dot2_f32_f16 v8, v33, v103, v8
	;;#ASMEND
	s_nop 0
	;;#ASMSTART
	v_dot2_f32_f16 v8, v34, v104, v8
	;;#ASMEND
	s_nop 0
	;;#ASMSTART
	v_dot2_f32_f16 v8, v35, v105, v8
	;;#ASMEND
	;;#ASMSTART
	v_dot2_f32_f16 v9, v32, v106, v9
	;;#ASMEND
	s_nop 0
	;;#ASMSTART
	v_dot2_f32_f16 v9, v33, v107, v9
	;;#ASMEND
	s_nop 0
	;;#ASMSTART
	v_dot2_f32_f16 v9, v34, v108, v9
	;;#ASMEND
	s_nop 0
	;;#ASMSTART
	v_dot2_f32_f16 v9, v35, v109, v9
	;;#ASMEND
	;; [unrolled: 15-line block ×8, first 2 shown]
	ds_read_b128 v[98:101], v47 offset:24608
	ds_read_b128 v[32:35], v47 offset:27168
	ds_read_b128 v[102:105], v41 offset:32
	ds_read_b128 v[106:109], v41 offset:288
	ds_read_b128 v[110:113], v41 offset:544
	ds_read_b128 v[114:117], v41 offset:800
	ds_read_b128 v[118:121], v41 offset:1056
	ds_read_b128 v[122:125], v41 offset:1312
	ds_read_b128 v[126:129], v41 offset:1568
	ds_read_b128 v[130:133], v41 offset:1824
	s_waitcnt lgkmcnt(7)
	;;#ASMSTART
	v_dot2_f32_f16 v0, v98, v102, v0
	;;#ASMEND
	s_nop 0
	;;#ASMSTART
	v_dot2_f32_f16 v0, v99, v103, v0
	;;#ASMEND
	s_nop 0
	;;#ASMSTART
	v_dot2_f32_f16 v0, v100, v104, v0
	;;#ASMEND
	s_nop 0
	;;#ASMSTART
	v_dot2_f32_f16 v0, v101, v105, v0
	;;#ASMEND
	s_waitcnt lgkmcnt(6)
	;;#ASMSTART
	v_dot2_f32_f16 v1, v98, v106, v1
	;;#ASMEND
	s_nop 0
	;;#ASMSTART
	v_dot2_f32_f16 v1, v99, v107, v1
	;;#ASMEND
	s_nop 0
	;;#ASMSTART
	v_dot2_f32_f16 v1, v100, v108, v1
	;;#ASMEND
	s_nop 0
	;;#ASMSTART
	v_dot2_f32_f16 v1, v101, v109, v1
	;;#ASMEND
	;; [unrolled: 16-line block ×8, first 2 shown]
	;;#ASMSTART
	v_dot2_f32_f16 v8, v32, v102, v8
	;;#ASMEND
	s_nop 0
	;;#ASMSTART
	v_dot2_f32_f16 v8, v33, v103, v8
	;;#ASMEND
	s_nop 0
	;;#ASMSTART
	v_dot2_f32_f16 v8, v34, v104, v8
	;;#ASMEND
	s_nop 0
	;;#ASMSTART
	v_dot2_f32_f16 v8, v35, v105, v8
	;;#ASMEND
	;;#ASMSTART
	v_dot2_f32_f16 v9, v32, v106, v9
	;;#ASMEND
	s_nop 0
	;;#ASMSTART
	v_dot2_f32_f16 v9, v33, v107, v9
	;;#ASMEND
	s_nop 0
	;;#ASMSTART
	v_dot2_f32_f16 v9, v34, v108, v9
	;;#ASMEND
	s_nop 0
	;;#ASMSTART
	v_dot2_f32_f16 v9, v35, v109, v9
	;;#ASMEND
	;; [unrolled: 15-line block ×8, first 2 shown]
	ds_read_b128 v[98:101], v47 offset:24624
	ds_read_b128 v[32:35], v47 offset:27184
	;; [unrolled: 1-line block ×10, first 2 shown]
	s_waitcnt lgkmcnt(7)
	;;#ASMSTART
	v_dot2_f32_f16 v0, v98, v102, v0
	;;#ASMEND
	s_nop 0
	;;#ASMSTART
	v_dot2_f32_f16 v0, v99, v103, v0
	;;#ASMEND
	s_nop 0
	;;#ASMSTART
	v_dot2_f32_f16 v0, v100, v104, v0
	;;#ASMEND
	s_nop 0
	;;#ASMSTART
	v_dot2_f32_f16 v0, v101, v105, v0
	;;#ASMEND
	s_waitcnt lgkmcnt(6)
	;;#ASMSTART
	v_dot2_f32_f16 v1, v98, v106, v1
	;;#ASMEND
	s_nop 0
	;;#ASMSTART
	v_dot2_f32_f16 v1, v99, v107, v1
	;;#ASMEND
	s_nop 0
	;;#ASMSTART
	v_dot2_f32_f16 v1, v100, v108, v1
	;;#ASMEND
	s_nop 0
	;;#ASMSTART
	v_dot2_f32_f16 v1, v101, v109, v1
	;;#ASMEND
	;; [unrolled: 16-line block ×8, first 2 shown]
	;;#ASMSTART
	v_dot2_f32_f16 v8, v32, v102, v8
	;;#ASMEND
	s_nop 0
	;;#ASMSTART
	v_dot2_f32_f16 v8, v33, v103, v8
	;;#ASMEND
	s_nop 0
	;;#ASMSTART
	v_dot2_f32_f16 v8, v34, v104, v8
	;;#ASMEND
	s_nop 0
	;;#ASMSTART
	v_dot2_f32_f16 v8, v35, v105, v8
	;;#ASMEND
	;;#ASMSTART
	v_dot2_f32_f16 v9, v32, v106, v9
	;;#ASMEND
	s_nop 0
	;;#ASMSTART
	v_dot2_f32_f16 v9, v33, v107, v9
	;;#ASMEND
	s_nop 0
	;;#ASMSTART
	v_dot2_f32_f16 v9, v34, v108, v9
	;;#ASMEND
	s_nop 0
	;;#ASMSTART
	v_dot2_f32_f16 v9, v35, v109, v9
	;;#ASMEND
	;; [unrolled: 15-line block ×7, first 2 shown]
	;;#ASMSTART
	v_dot2_f32_f16 v15, v32, v130, v15
	;;#ASMEND
	s_nop 0
	;;#ASMSTART
	v_dot2_f32_f16 v15, v33, v131, v15
	;;#ASMEND
	v_lshl_add_u64 v[32:33], v[38:39], 0, 64
	;;#ASMSTART
	v_dot2_f32_f16 v15, v34, v132, v15
	;;#ASMEND
	v_cndmask_b32_e32 v33, v92, v33, vcc
	;;#ASMSTART
	v_dot2_f32_f16 v15, v35, v133, v15
	;;#ASMEND
	v_cndmask_b32_e32 v32, v93, v32, vcc
	s_barrier
	scratch_store_dword off, v37, off
	scratch_store_dwordx3 off, v[94:96], off offset:4
	flat_load_dwordx4 v[32:35], v[32:33]
	s_waitcnt vmcnt(0) lgkmcnt(0)
	ds_write_b128 v36, v[32:35] offset:24576
	s_waitcnt lgkmcnt(0)
	s_barrier
	ds_read_b128 v[98:101], v47 offset:24576
	ds_read_b128 v[32:35], v47 offset:27136
	;; [unrolled: 1-line block ×10, first 2 shown]
	s_waitcnt lgkmcnt(7)
	;;#ASMSTART
	v_dot2_f32_f16 v0, v98, v102, v0
	;;#ASMEND
	s_nop 0
	;;#ASMSTART
	v_dot2_f32_f16 v0, v99, v103, v0
	;;#ASMEND
	s_nop 0
	;;#ASMSTART
	v_dot2_f32_f16 v0, v100, v104, v0
	;;#ASMEND
	s_nop 0
	;;#ASMSTART
	v_dot2_f32_f16 v0, v101, v105, v0
	;;#ASMEND
	s_waitcnt lgkmcnt(6)
	;;#ASMSTART
	v_dot2_f32_f16 v1, v98, v106, v1
	;;#ASMEND
	s_nop 0
	;;#ASMSTART
	v_dot2_f32_f16 v1, v99, v107, v1
	;;#ASMEND
	s_nop 0
	;;#ASMSTART
	v_dot2_f32_f16 v1, v100, v108, v1
	;;#ASMEND
	s_nop 0
	;;#ASMSTART
	v_dot2_f32_f16 v1, v101, v109, v1
	;;#ASMEND
	;; [unrolled: 16-line block ×8, first 2 shown]
	;;#ASMSTART
	v_dot2_f32_f16 v8, v32, v102, v8
	;;#ASMEND
	s_nop 0
	;;#ASMSTART
	v_dot2_f32_f16 v8, v33, v103, v8
	;;#ASMEND
	s_nop 0
	;;#ASMSTART
	v_dot2_f32_f16 v8, v34, v104, v8
	;;#ASMEND
	s_nop 0
	;;#ASMSTART
	v_dot2_f32_f16 v8, v35, v105, v8
	;;#ASMEND
	;;#ASMSTART
	v_dot2_f32_f16 v9, v32, v106, v9
	;;#ASMEND
	s_nop 0
	;;#ASMSTART
	v_dot2_f32_f16 v9, v33, v107, v9
	;;#ASMEND
	s_nop 0
	;;#ASMSTART
	v_dot2_f32_f16 v9, v34, v108, v9
	;;#ASMEND
	s_nop 0
	;;#ASMSTART
	v_dot2_f32_f16 v9, v35, v109, v9
	;;#ASMEND
	;; [unrolled: 15-line block ×8, first 2 shown]
	ds_read_b128 v[98:101], v47 offset:24592
	ds_read_b128 v[32:35], v47 offset:27152
	;; [unrolled: 1-line block ×10, first 2 shown]
	s_waitcnt lgkmcnt(7)
	;;#ASMSTART
	v_dot2_f32_f16 v0, v98, v102, v0
	;;#ASMEND
	s_nop 0
	;;#ASMSTART
	v_dot2_f32_f16 v0, v99, v103, v0
	;;#ASMEND
	s_nop 0
	;;#ASMSTART
	v_dot2_f32_f16 v0, v100, v104, v0
	;;#ASMEND
	s_nop 0
	;;#ASMSTART
	v_dot2_f32_f16 v0, v101, v105, v0
	;;#ASMEND
	s_waitcnt lgkmcnt(6)
	;;#ASMSTART
	v_dot2_f32_f16 v1, v98, v106, v1
	;;#ASMEND
	s_nop 0
	;;#ASMSTART
	v_dot2_f32_f16 v1, v99, v107, v1
	;;#ASMEND
	s_nop 0
	;;#ASMSTART
	v_dot2_f32_f16 v1, v100, v108, v1
	;;#ASMEND
	s_nop 0
	;;#ASMSTART
	v_dot2_f32_f16 v1, v101, v109, v1
	;;#ASMEND
	;; [unrolled: 16-line block ×8, first 2 shown]
	;;#ASMSTART
	v_dot2_f32_f16 v8, v32, v102, v8
	;;#ASMEND
	s_nop 0
	;;#ASMSTART
	v_dot2_f32_f16 v8, v33, v103, v8
	;;#ASMEND
	s_nop 0
	;;#ASMSTART
	v_dot2_f32_f16 v8, v34, v104, v8
	;;#ASMEND
	s_nop 0
	;;#ASMSTART
	v_dot2_f32_f16 v8, v35, v105, v8
	;;#ASMEND
	;;#ASMSTART
	v_dot2_f32_f16 v9, v32, v106, v9
	;;#ASMEND
	s_nop 0
	;;#ASMSTART
	v_dot2_f32_f16 v9, v33, v107, v9
	;;#ASMEND
	s_nop 0
	;;#ASMSTART
	v_dot2_f32_f16 v9, v34, v108, v9
	;;#ASMEND
	s_nop 0
	;;#ASMSTART
	v_dot2_f32_f16 v9, v35, v109, v9
	;;#ASMEND
	;; [unrolled: 15-line block ×8, first 2 shown]
	ds_read_b128 v[98:101], v47 offset:24608
	ds_read_b128 v[32:35], v47 offset:27168
	;; [unrolled: 1-line block ×10, first 2 shown]
	s_waitcnt lgkmcnt(7)
	;;#ASMSTART
	v_dot2_f32_f16 v0, v98, v102, v0
	;;#ASMEND
	s_nop 0
	;;#ASMSTART
	v_dot2_f32_f16 v0, v99, v103, v0
	;;#ASMEND
	s_nop 0
	;;#ASMSTART
	v_dot2_f32_f16 v0, v100, v104, v0
	;;#ASMEND
	s_nop 0
	;;#ASMSTART
	v_dot2_f32_f16 v0, v101, v105, v0
	;;#ASMEND
	s_waitcnt lgkmcnt(6)
	;;#ASMSTART
	v_dot2_f32_f16 v1, v98, v106, v1
	;;#ASMEND
	s_nop 0
	;;#ASMSTART
	v_dot2_f32_f16 v1, v99, v107, v1
	;;#ASMEND
	s_nop 0
	;;#ASMSTART
	v_dot2_f32_f16 v1, v100, v108, v1
	;;#ASMEND
	s_nop 0
	;;#ASMSTART
	v_dot2_f32_f16 v1, v101, v109, v1
	;;#ASMEND
	;; [unrolled: 16-line block ×8, first 2 shown]
	;;#ASMSTART
	v_dot2_f32_f16 v8, v32, v102, v8
	;;#ASMEND
	s_nop 0
	;;#ASMSTART
	v_dot2_f32_f16 v8, v33, v103, v8
	;;#ASMEND
	s_nop 0
	;;#ASMSTART
	v_dot2_f32_f16 v8, v34, v104, v8
	;;#ASMEND
	s_nop 0
	;;#ASMSTART
	v_dot2_f32_f16 v8, v35, v105, v8
	;;#ASMEND
	;;#ASMSTART
	v_dot2_f32_f16 v9, v32, v106, v9
	;;#ASMEND
	s_nop 0
	;;#ASMSTART
	v_dot2_f32_f16 v9, v33, v107, v9
	;;#ASMEND
	s_nop 0
	;;#ASMSTART
	v_dot2_f32_f16 v9, v34, v108, v9
	;;#ASMEND
	s_nop 0
	;;#ASMSTART
	v_dot2_f32_f16 v9, v35, v109, v9
	;;#ASMEND
	;; [unrolled: 15-line block ×8, first 2 shown]
	ds_read_b128 v[98:101], v47 offset:24624
	ds_read_b128 v[32:35], v47 offset:27184
	;; [unrolled: 1-line block ×10, first 2 shown]
	s_waitcnt lgkmcnt(7)
	;;#ASMSTART
	v_dot2_f32_f16 v0, v98, v102, v0
	;;#ASMEND
	s_nop 0
	;;#ASMSTART
	v_dot2_f32_f16 v0, v99, v103, v0
	;;#ASMEND
	s_nop 0
	;;#ASMSTART
	v_dot2_f32_f16 v0, v100, v104, v0
	;;#ASMEND
	s_nop 0
	;;#ASMSTART
	v_dot2_f32_f16 v0, v101, v105, v0
	;;#ASMEND
	s_waitcnt lgkmcnt(6)
	;;#ASMSTART
	v_dot2_f32_f16 v1, v98, v106, v1
	;;#ASMEND
	s_nop 0
	;;#ASMSTART
	v_dot2_f32_f16 v1, v99, v107, v1
	;;#ASMEND
	s_nop 0
	;;#ASMSTART
	v_dot2_f32_f16 v1, v100, v108, v1
	;;#ASMEND
	s_nop 0
	;;#ASMSTART
	v_dot2_f32_f16 v1, v101, v109, v1
	;;#ASMEND
	;; [unrolled: 16-line block ×8, first 2 shown]
	;;#ASMSTART
	v_dot2_f32_f16 v8, v32, v102, v8
	;;#ASMEND
	s_nop 0
	;;#ASMSTART
	v_dot2_f32_f16 v8, v33, v103, v8
	;;#ASMEND
	s_nop 0
	;;#ASMSTART
	v_dot2_f32_f16 v8, v34, v104, v8
	;;#ASMEND
	s_nop 0
	;;#ASMSTART
	v_dot2_f32_f16 v8, v35, v105, v8
	;;#ASMEND
	;;#ASMSTART
	v_dot2_f32_f16 v9, v32, v106, v9
	;;#ASMEND
	s_nop 0
	;;#ASMSTART
	v_dot2_f32_f16 v9, v33, v107, v9
	;;#ASMEND
	s_nop 0
	;;#ASMSTART
	v_dot2_f32_f16 v9, v34, v108, v9
	;;#ASMEND
	s_nop 0
	;;#ASMSTART
	v_dot2_f32_f16 v9, v35, v109, v9
	;;#ASMEND
	;; [unrolled: 15-line block ×7, first 2 shown]
	;;#ASMSTART
	v_dot2_f32_f16 v15, v32, v130, v15
	;;#ASMEND
	s_nop 0
	;;#ASMSTART
	v_dot2_f32_f16 v15, v33, v131, v15
	;;#ASMEND
	v_lshl_add_u64 v[32:33], v[38:39], 0, s[4:5]
	;;#ASMSTART
	v_dot2_f32_f16 v15, v34, v132, v15
	;;#ASMEND
	v_cndmask_b32_e32 v33, v92, v33, vcc
	;;#ASMSTART
	v_dot2_f32_f16 v15, v35, v133, v15
	;;#ASMEND
	v_cndmask_b32_e32 v32, v93, v32, vcc
	s_barrier
	scratch_store_dword off, v37, off
	scratch_store_dwordx3 off, v[94:96], off offset:4
	flat_load_dwordx4 v[32:35], v[32:33]
	s_mov_b64 s[4:5], 0xc0
	s_waitcnt vmcnt(0) lgkmcnt(0)
	ds_write_b128 v36, v[32:35] offset:24576
	s_waitcnt lgkmcnt(0)
	s_barrier
	ds_read_b128 v[98:101], v47 offset:24576
	ds_read_b128 v[32:35], v47 offset:27136
	;; [unrolled: 1-line block ×10, first 2 shown]
	s_waitcnt lgkmcnt(7)
	;;#ASMSTART
	v_dot2_f32_f16 v0, v98, v102, v0
	;;#ASMEND
	s_nop 0
	;;#ASMSTART
	v_dot2_f32_f16 v0, v99, v103, v0
	;;#ASMEND
	s_nop 0
	;;#ASMSTART
	v_dot2_f32_f16 v0, v100, v104, v0
	;;#ASMEND
	s_nop 0
	;;#ASMSTART
	v_dot2_f32_f16 v0, v101, v105, v0
	;;#ASMEND
	s_waitcnt lgkmcnt(6)
	;;#ASMSTART
	v_dot2_f32_f16 v1, v98, v106, v1
	;;#ASMEND
	s_nop 0
	;;#ASMSTART
	v_dot2_f32_f16 v1, v99, v107, v1
	;;#ASMEND
	s_nop 0
	;;#ASMSTART
	v_dot2_f32_f16 v1, v100, v108, v1
	;;#ASMEND
	s_nop 0
	;;#ASMSTART
	v_dot2_f32_f16 v1, v101, v109, v1
	;;#ASMEND
	;; [unrolled: 16-line block ×8, first 2 shown]
	;;#ASMSTART
	v_dot2_f32_f16 v8, v32, v102, v8
	;;#ASMEND
	s_nop 0
	;;#ASMSTART
	v_dot2_f32_f16 v8, v33, v103, v8
	;;#ASMEND
	s_nop 0
	;;#ASMSTART
	v_dot2_f32_f16 v8, v34, v104, v8
	;;#ASMEND
	s_nop 0
	;;#ASMSTART
	v_dot2_f32_f16 v8, v35, v105, v8
	;;#ASMEND
	;;#ASMSTART
	v_dot2_f32_f16 v9, v32, v106, v9
	;;#ASMEND
	s_nop 0
	;;#ASMSTART
	v_dot2_f32_f16 v9, v33, v107, v9
	;;#ASMEND
	s_nop 0
	;;#ASMSTART
	v_dot2_f32_f16 v9, v34, v108, v9
	;;#ASMEND
	s_nop 0
	;;#ASMSTART
	v_dot2_f32_f16 v9, v35, v109, v9
	;;#ASMEND
	;; [unrolled: 15-line block ×8, first 2 shown]
	ds_read_b128 v[98:101], v47 offset:24592
	ds_read_b128 v[32:35], v47 offset:27152
	;; [unrolled: 1-line block ×10, first 2 shown]
	s_waitcnt lgkmcnt(7)
	;;#ASMSTART
	v_dot2_f32_f16 v0, v98, v102, v0
	;;#ASMEND
	s_nop 0
	;;#ASMSTART
	v_dot2_f32_f16 v0, v99, v103, v0
	;;#ASMEND
	s_nop 0
	;;#ASMSTART
	v_dot2_f32_f16 v0, v100, v104, v0
	;;#ASMEND
	s_nop 0
	;;#ASMSTART
	v_dot2_f32_f16 v0, v101, v105, v0
	;;#ASMEND
	s_waitcnt lgkmcnt(6)
	;;#ASMSTART
	v_dot2_f32_f16 v1, v98, v106, v1
	;;#ASMEND
	s_nop 0
	;;#ASMSTART
	v_dot2_f32_f16 v1, v99, v107, v1
	;;#ASMEND
	s_nop 0
	;;#ASMSTART
	v_dot2_f32_f16 v1, v100, v108, v1
	;;#ASMEND
	s_nop 0
	;;#ASMSTART
	v_dot2_f32_f16 v1, v101, v109, v1
	;;#ASMEND
	;; [unrolled: 16-line block ×8, first 2 shown]
	;;#ASMSTART
	v_dot2_f32_f16 v8, v32, v102, v8
	;;#ASMEND
	s_nop 0
	;;#ASMSTART
	v_dot2_f32_f16 v8, v33, v103, v8
	;;#ASMEND
	s_nop 0
	;;#ASMSTART
	v_dot2_f32_f16 v8, v34, v104, v8
	;;#ASMEND
	s_nop 0
	;;#ASMSTART
	v_dot2_f32_f16 v8, v35, v105, v8
	;;#ASMEND
	;;#ASMSTART
	v_dot2_f32_f16 v9, v32, v106, v9
	;;#ASMEND
	s_nop 0
	;;#ASMSTART
	v_dot2_f32_f16 v9, v33, v107, v9
	;;#ASMEND
	s_nop 0
	;;#ASMSTART
	v_dot2_f32_f16 v9, v34, v108, v9
	;;#ASMEND
	s_nop 0
	;;#ASMSTART
	v_dot2_f32_f16 v9, v35, v109, v9
	;;#ASMEND
	;; [unrolled: 15-line block ×8, first 2 shown]
	ds_read_b128 v[98:101], v47 offset:24608
	ds_read_b128 v[32:35], v47 offset:27168
	;; [unrolled: 1-line block ×10, first 2 shown]
	s_waitcnt lgkmcnt(7)
	;;#ASMSTART
	v_dot2_f32_f16 v0, v98, v102, v0
	;;#ASMEND
	s_nop 0
	;;#ASMSTART
	v_dot2_f32_f16 v0, v99, v103, v0
	;;#ASMEND
	s_nop 0
	;;#ASMSTART
	v_dot2_f32_f16 v0, v100, v104, v0
	;;#ASMEND
	s_nop 0
	;;#ASMSTART
	v_dot2_f32_f16 v0, v101, v105, v0
	;;#ASMEND
	s_waitcnt lgkmcnt(6)
	;;#ASMSTART
	v_dot2_f32_f16 v1, v98, v106, v1
	;;#ASMEND
	s_nop 0
	;;#ASMSTART
	v_dot2_f32_f16 v1, v99, v107, v1
	;;#ASMEND
	s_nop 0
	;;#ASMSTART
	v_dot2_f32_f16 v1, v100, v108, v1
	;;#ASMEND
	s_nop 0
	;;#ASMSTART
	v_dot2_f32_f16 v1, v101, v109, v1
	;;#ASMEND
	s_waitcnt lgkmcnt(5)
	;;#ASMSTART
	v_dot2_f32_f16 v2, v98, v110, v2
	;;#ASMEND
	s_nop 0
	;;#ASMSTART
	v_dot2_f32_f16 v2, v99, v111, v2
	;;#ASMEND
	s_nop 0
	;;#ASMSTART
	v_dot2_f32_f16 v2, v100, v112, v2
	;;#ASMEND
	s_nop 0
	;;#ASMSTART
	v_dot2_f32_f16 v2, v101, v113, v2
	;;#ASMEND
	s_waitcnt lgkmcnt(4)
	;;#ASMSTART
	v_dot2_f32_f16 v3, v98, v114, v3
	;;#ASMEND
	s_nop 0
	;;#ASMSTART
	v_dot2_f32_f16 v3, v99, v115, v3
	;;#ASMEND
	s_nop 0
	;;#ASMSTART
	v_dot2_f32_f16 v3, v100, v116, v3
	;;#ASMEND
	s_nop 0
	;;#ASMSTART
	v_dot2_f32_f16 v3, v101, v117, v3
	;;#ASMEND
	s_waitcnt lgkmcnt(3)
	;;#ASMSTART
	v_dot2_f32_f16 v4, v98, v118, v4
	;;#ASMEND
	s_nop 0
	;;#ASMSTART
	v_dot2_f32_f16 v4, v99, v119, v4
	;;#ASMEND
	s_nop 0
	;;#ASMSTART
	v_dot2_f32_f16 v4, v100, v120, v4
	;;#ASMEND
	s_nop 0
	;;#ASMSTART
	v_dot2_f32_f16 v4, v101, v121, v4
	;;#ASMEND
	s_waitcnt lgkmcnt(2)
	;;#ASMSTART
	v_dot2_f32_f16 v5, v98, v122, v5
	;;#ASMEND
	s_nop 0
	;;#ASMSTART
	v_dot2_f32_f16 v5, v99, v123, v5
	;;#ASMEND
	s_nop 0
	;;#ASMSTART
	v_dot2_f32_f16 v5, v100, v124, v5
	;;#ASMEND
	s_nop 0
	;;#ASMSTART
	v_dot2_f32_f16 v5, v101, v125, v5
	;;#ASMEND
	s_waitcnt lgkmcnt(1)
	;;#ASMSTART
	v_dot2_f32_f16 v6, v98, v126, v6
	;;#ASMEND
	s_nop 0
	;;#ASMSTART
	v_dot2_f32_f16 v6, v99, v127, v6
	;;#ASMEND
	s_nop 0
	;;#ASMSTART
	v_dot2_f32_f16 v6, v100, v128, v6
	;;#ASMEND
	s_nop 0
	;;#ASMSTART
	v_dot2_f32_f16 v6, v101, v129, v6
	;;#ASMEND
	s_waitcnt lgkmcnt(0)
	;;#ASMSTART
	v_dot2_f32_f16 v7, v98, v130, v7
	;;#ASMEND
	s_nop 0
	;;#ASMSTART
	v_dot2_f32_f16 v7, v99, v131, v7
	;;#ASMEND
	s_nop 0
	;;#ASMSTART
	v_dot2_f32_f16 v7, v100, v132, v7
	;;#ASMEND
	s_nop 0
	;;#ASMSTART
	v_dot2_f32_f16 v7, v101, v133, v7
	;;#ASMEND
	;;#ASMSTART
	v_dot2_f32_f16 v8, v32, v102, v8
	;;#ASMEND
	s_nop 0
	;;#ASMSTART
	v_dot2_f32_f16 v8, v33, v103, v8
	;;#ASMEND
	s_nop 0
	;;#ASMSTART
	v_dot2_f32_f16 v8, v34, v104, v8
	;;#ASMEND
	s_nop 0
	;;#ASMSTART
	v_dot2_f32_f16 v8, v35, v105, v8
	;;#ASMEND
	;;#ASMSTART
	v_dot2_f32_f16 v9, v32, v106, v9
	;;#ASMEND
	s_nop 0
	;;#ASMSTART
	v_dot2_f32_f16 v9, v33, v107, v9
	;;#ASMEND
	s_nop 0
	;;#ASMSTART
	v_dot2_f32_f16 v9, v34, v108, v9
	;;#ASMEND
	s_nop 0
	;;#ASMSTART
	v_dot2_f32_f16 v9, v35, v109, v9
	;;#ASMEND
	;;#ASMSTART
	v_dot2_f32_f16 v10, v32, v110, v10
	;;#ASMEND
	s_nop 0
	;;#ASMSTART
	v_dot2_f32_f16 v10, v33, v111, v10
	;;#ASMEND
	s_nop 0
	;;#ASMSTART
	v_dot2_f32_f16 v10, v34, v112, v10
	;;#ASMEND
	s_nop 0
	;;#ASMSTART
	v_dot2_f32_f16 v10, v35, v113, v10
	;;#ASMEND
	;;#ASMSTART
	v_dot2_f32_f16 v11, v32, v114, v11
	;;#ASMEND
	s_nop 0
	;;#ASMSTART
	v_dot2_f32_f16 v11, v33, v115, v11
	;;#ASMEND
	s_nop 0
	;;#ASMSTART
	v_dot2_f32_f16 v11, v34, v116, v11
	;;#ASMEND
	s_nop 0
	;;#ASMSTART
	v_dot2_f32_f16 v11, v35, v117, v11
	;;#ASMEND
	;;#ASMSTART
	v_dot2_f32_f16 v12, v32, v118, v12
	;;#ASMEND
	s_nop 0
	;;#ASMSTART
	v_dot2_f32_f16 v12, v33, v119, v12
	;;#ASMEND
	s_nop 0
	;;#ASMSTART
	v_dot2_f32_f16 v12, v34, v120, v12
	;;#ASMEND
	s_nop 0
	;;#ASMSTART
	v_dot2_f32_f16 v12, v35, v121, v12
	;;#ASMEND
	;;#ASMSTART
	v_dot2_f32_f16 v13, v32, v122, v13
	;;#ASMEND
	s_nop 0
	;;#ASMSTART
	v_dot2_f32_f16 v13, v33, v123, v13
	;;#ASMEND
	s_nop 0
	;;#ASMSTART
	v_dot2_f32_f16 v13, v34, v124, v13
	;;#ASMEND
	s_nop 0
	;;#ASMSTART
	v_dot2_f32_f16 v13, v35, v125, v13
	;;#ASMEND
	;;#ASMSTART
	v_dot2_f32_f16 v14, v32, v126, v14
	;;#ASMEND
	s_nop 0
	;;#ASMSTART
	v_dot2_f32_f16 v14, v33, v127, v14
	;;#ASMEND
	s_nop 0
	;;#ASMSTART
	v_dot2_f32_f16 v14, v34, v128, v14
	;;#ASMEND
	s_nop 0
	;;#ASMSTART
	v_dot2_f32_f16 v14, v35, v129, v14
	;;#ASMEND
	;;#ASMSTART
	v_dot2_f32_f16 v15, v32, v130, v15
	;;#ASMEND
	s_nop 0
	;;#ASMSTART
	v_dot2_f32_f16 v15, v33, v131, v15
	;;#ASMEND
	s_nop 0
	;;#ASMSTART
	v_dot2_f32_f16 v15, v34, v132, v15
	;;#ASMEND
	s_nop 0
	;;#ASMSTART
	v_dot2_f32_f16 v15, v35, v133, v15
	;;#ASMEND
	ds_read_b128 v[98:101], v47 offset:24624
	ds_read_b128 v[32:35], v47 offset:27184
	;; [unrolled: 1-line block ×10, first 2 shown]
	s_waitcnt lgkmcnt(7)
	;;#ASMSTART
	v_dot2_f32_f16 v0, v98, v102, v0
	;;#ASMEND
	s_nop 0
	;;#ASMSTART
	v_dot2_f32_f16 v0, v99, v103, v0
	;;#ASMEND
	s_nop 0
	;;#ASMSTART
	v_dot2_f32_f16 v0, v100, v104, v0
	;;#ASMEND
	s_nop 0
	;;#ASMSTART
	v_dot2_f32_f16 v0, v101, v105, v0
	;;#ASMEND
	s_waitcnt lgkmcnt(6)
	;;#ASMSTART
	v_dot2_f32_f16 v1, v98, v106, v1
	;;#ASMEND
	s_nop 0
	;;#ASMSTART
	v_dot2_f32_f16 v1, v99, v107, v1
	;;#ASMEND
	s_nop 0
	;;#ASMSTART
	v_dot2_f32_f16 v1, v100, v108, v1
	;;#ASMEND
	s_nop 0
	;;#ASMSTART
	v_dot2_f32_f16 v1, v101, v109, v1
	;;#ASMEND
	;; [unrolled: 16-line block ×8, first 2 shown]
	;;#ASMSTART
	v_dot2_f32_f16 v8, v32, v102, v8
	;;#ASMEND
	s_nop 0
	;;#ASMSTART
	v_dot2_f32_f16 v8, v33, v103, v8
	;;#ASMEND
	s_nop 0
	;;#ASMSTART
	v_dot2_f32_f16 v8, v34, v104, v8
	;;#ASMEND
	s_nop 0
	;;#ASMSTART
	v_dot2_f32_f16 v8, v35, v105, v8
	;;#ASMEND
	;;#ASMSTART
	v_dot2_f32_f16 v9, v32, v106, v9
	;;#ASMEND
	s_nop 0
	;;#ASMSTART
	v_dot2_f32_f16 v9, v33, v107, v9
	;;#ASMEND
	s_nop 0
	;;#ASMSTART
	v_dot2_f32_f16 v9, v34, v108, v9
	;;#ASMEND
	s_nop 0
	;;#ASMSTART
	v_dot2_f32_f16 v9, v35, v109, v9
	;;#ASMEND
	;; [unrolled: 15-line block ×7, first 2 shown]
	;;#ASMSTART
	v_dot2_f32_f16 v15, v32, v130, v15
	;;#ASMEND
	s_nop 0
	;;#ASMSTART
	v_dot2_f32_f16 v15, v33, v131, v15
	;;#ASMEND
	v_lshl_add_u64 v[32:33], v[38:39], 0, s[4:5]
	;;#ASMSTART
	v_dot2_f32_f16 v15, v34, v132, v15
	;;#ASMEND
	v_cndmask_b32_e32 v33, v92, v33, vcc
	;;#ASMSTART
	v_dot2_f32_f16 v15, v35, v133, v15
	;;#ASMEND
	v_cndmask_b32_e32 v32, v93, v32, vcc
	s_barrier
	scratch_store_dword off, v37, off
	scratch_store_dwordx3 off, v[94:96], off offset:4
	flat_load_dwordx4 v[32:35], v[32:33]
	s_mov_b32 s4, 0x3f200000
	s_waitcnt vmcnt(0) lgkmcnt(0)
	ds_write_b128 v36, v[32:35] offset:24576
	s_waitcnt lgkmcnt(0)
	s_barrier
	ds_read_b128 v[36:39], v47 offset:24576
	ds_read_b128 v[32:35], v47 offset:27136
	ds_read_b128 v[92:95], v41 offset:192
	ds_read_b128 v[96:99], v41 offset:448
	ds_read_b128 v[100:103], v41 offset:704
	ds_read_b128 v[104:107], v41 offset:960
	ds_read_b128 v[108:111], v41 offset:1216
	ds_read_b128 v[112:115], v41 offset:1472
	ds_read_b128 v[116:119], v41 offset:1728
	ds_read_b128 v[120:123], v41 offset:1984
	s_waitcnt lgkmcnt(7)
	;;#ASMSTART
	v_dot2_f32_f16 v0, v36, v92, v0
	;;#ASMEND
	s_nop 0
	;;#ASMSTART
	v_dot2_f32_f16 v0, v37, v93, v0
	;;#ASMEND
	s_nop 0
	;;#ASMSTART
	v_dot2_f32_f16 v0, v38, v94, v0
	;;#ASMEND
	s_nop 0
	;;#ASMSTART
	v_dot2_f32_f16 v0, v39, v95, v0
	;;#ASMEND
	s_waitcnt lgkmcnt(6)
	;;#ASMSTART
	v_dot2_f32_f16 v1, v36, v96, v1
	;;#ASMEND
	s_nop 0
	;;#ASMSTART
	v_dot2_f32_f16 v1, v37, v97, v1
	;;#ASMEND
	s_nop 0
	;;#ASMSTART
	v_dot2_f32_f16 v1, v38, v98, v1
	;;#ASMEND
	s_nop 0
	;;#ASMSTART
	v_dot2_f32_f16 v1, v39, v99, v1
	;;#ASMEND
	;; [unrolled: 16-line block ×8, first 2 shown]
	;;#ASMSTART
	v_dot2_f32_f16 v8, v32, v92, v8
	;;#ASMEND
	s_nop 0
	;;#ASMSTART
	v_dot2_f32_f16 v8, v33, v93, v8
	;;#ASMEND
	s_nop 0
	;;#ASMSTART
	v_dot2_f32_f16 v8, v34, v94, v8
	;;#ASMEND
	s_nop 0
	;;#ASMSTART
	v_dot2_f32_f16 v8, v35, v95, v8
	;;#ASMEND
	;;#ASMSTART
	v_dot2_f32_f16 v9, v32, v96, v9
	;;#ASMEND
	s_nop 0
	;;#ASMSTART
	v_dot2_f32_f16 v9, v33, v97, v9
	;;#ASMEND
	s_nop 0
	;;#ASMSTART
	v_dot2_f32_f16 v9, v34, v98, v9
	;;#ASMEND
	s_nop 0
	;;#ASMSTART
	v_dot2_f32_f16 v9, v35, v99, v9
	;;#ASMEND
	;; [unrolled: 15-line block ×8, first 2 shown]
	ds_read_b128 v[36:39], v47 offset:24592
	ds_read_b128 v[32:35], v47 offset:27152
	ds_read_b128 v[92:95], v41 offset:208
	ds_read_b128 v[96:99], v41 offset:464
	ds_read_b128 v[100:103], v41 offset:720
	ds_read_b128 v[104:107], v41 offset:976
	ds_read_b128 v[108:111], v41 offset:1232
	ds_read_b128 v[112:115], v41 offset:1488
	ds_read_b128 v[116:119], v41 offset:1744
	ds_read_b128 v[120:123], v41 offset:2000
	s_waitcnt lgkmcnt(7)
	;;#ASMSTART
	v_dot2_f32_f16 v0, v36, v92, v0
	;;#ASMEND
	s_nop 0
	;;#ASMSTART
	v_dot2_f32_f16 v0, v37, v93, v0
	;;#ASMEND
	s_nop 0
	;;#ASMSTART
	v_dot2_f32_f16 v0, v38, v94, v0
	;;#ASMEND
	s_nop 0
	;;#ASMSTART
	v_dot2_f32_f16 v0, v39, v95, v0
	;;#ASMEND
	s_waitcnt lgkmcnt(6)
	;;#ASMSTART
	v_dot2_f32_f16 v1, v36, v96, v1
	;;#ASMEND
	s_nop 0
	;;#ASMSTART
	v_dot2_f32_f16 v1, v37, v97, v1
	;;#ASMEND
	s_nop 0
	;;#ASMSTART
	v_dot2_f32_f16 v1, v38, v98, v1
	;;#ASMEND
	s_nop 0
	;;#ASMSTART
	v_dot2_f32_f16 v1, v39, v99, v1
	;;#ASMEND
	;; [unrolled: 16-line block ×8, first 2 shown]
	;;#ASMSTART
	v_dot2_f32_f16 v8, v32, v92, v8
	;;#ASMEND
	s_nop 0
	;;#ASMSTART
	v_dot2_f32_f16 v8, v33, v93, v8
	;;#ASMEND
	s_nop 0
	;;#ASMSTART
	v_dot2_f32_f16 v8, v34, v94, v8
	;;#ASMEND
	s_nop 0
	;;#ASMSTART
	v_dot2_f32_f16 v8, v35, v95, v8
	;;#ASMEND
	;;#ASMSTART
	v_dot2_f32_f16 v9, v32, v96, v9
	;;#ASMEND
	s_nop 0
	;;#ASMSTART
	v_dot2_f32_f16 v9, v33, v97, v9
	;;#ASMEND
	s_nop 0
	;;#ASMSTART
	v_dot2_f32_f16 v9, v34, v98, v9
	;;#ASMEND
	s_nop 0
	;;#ASMSTART
	v_dot2_f32_f16 v9, v35, v99, v9
	;;#ASMEND
	;; [unrolled: 15-line block ×8, first 2 shown]
	ds_read_b128 v[36:39], v47 offset:24608
	ds_read_b128 v[32:35], v47 offset:27168
	;; [unrolled: 1-line block ×10, first 2 shown]
	s_waitcnt lgkmcnt(7)
	;;#ASMSTART
	v_dot2_f32_f16 v0, v36, v92, v0
	;;#ASMEND
	s_nop 0
	;;#ASMSTART
	v_dot2_f32_f16 v0, v37, v93, v0
	;;#ASMEND
	s_nop 0
	;;#ASMSTART
	v_dot2_f32_f16 v0, v38, v94, v0
	;;#ASMEND
	s_nop 0
	;;#ASMSTART
	v_dot2_f32_f16 v0, v39, v95, v0
	;;#ASMEND
	s_waitcnt lgkmcnt(6)
	;;#ASMSTART
	v_dot2_f32_f16 v1, v36, v96, v1
	;;#ASMEND
	s_nop 0
	;;#ASMSTART
	v_dot2_f32_f16 v1, v37, v97, v1
	;;#ASMEND
	s_nop 0
	;;#ASMSTART
	v_dot2_f32_f16 v1, v38, v98, v1
	;;#ASMEND
	s_nop 0
	;;#ASMSTART
	v_dot2_f32_f16 v1, v39, v99, v1
	;;#ASMEND
	;; [unrolled: 16-line block ×8, first 2 shown]
	;;#ASMSTART
	v_dot2_f32_f16 v8, v32, v92, v8
	;;#ASMEND
	s_nop 0
	;;#ASMSTART
	v_dot2_f32_f16 v8, v33, v93, v8
	;;#ASMEND
	s_nop 0
	;;#ASMSTART
	v_dot2_f32_f16 v8, v34, v94, v8
	;;#ASMEND
	s_nop 0
	;;#ASMSTART
	v_dot2_f32_f16 v8, v35, v95, v8
	;;#ASMEND
	;;#ASMSTART
	v_dot2_f32_f16 v9, v32, v96, v9
	;;#ASMEND
	s_nop 0
	;;#ASMSTART
	v_dot2_f32_f16 v9, v33, v97, v9
	;;#ASMEND
	s_nop 0
	;;#ASMSTART
	v_dot2_f32_f16 v9, v34, v98, v9
	;;#ASMEND
	s_nop 0
	;;#ASMSTART
	v_dot2_f32_f16 v9, v35, v99, v9
	;;#ASMEND
	;;#ASMSTART
	v_dot2_f32_f16 v10, v32, v100, v10
	;;#ASMEND
	s_nop 0
	;;#ASMSTART
	v_dot2_f32_f16 v10, v33, v101, v10
	;;#ASMEND
	s_nop 0
	;;#ASMSTART
	v_dot2_f32_f16 v10, v34, v102, v10
	;;#ASMEND
	s_nop 0
	;;#ASMSTART
	v_dot2_f32_f16 v10, v35, v103, v10
	;;#ASMEND
	;;#ASMSTART
	v_dot2_f32_f16 v11, v32, v104, v11
	;;#ASMEND
	s_nop 0
	;;#ASMSTART
	v_dot2_f32_f16 v11, v33, v105, v11
	;;#ASMEND
	s_nop 0
	;;#ASMSTART
	v_dot2_f32_f16 v11, v34, v106, v11
	;;#ASMEND
	s_nop 0
	;;#ASMSTART
	v_dot2_f32_f16 v11, v35, v107, v11
	;;#ASMEND
	;;#ASMSTART
	v_dot2_f32_f16 v12, v32, v108, v12
	;;#ASMEND
	s_nop 0
	;;#ASMSTART
	v_dot2_f32_f16 v12, v33, v109, v12
	;;#ASMEND
	s_nop 0
	;;#ASMSTART
	v_dot2_f32_f16 v12, v34, v110, v12
	;;#ASMEND
	s_nop 0
	;;#ASMSTART
	v_dot2_f32_f16 v12, v35, v111, v12
	;;#ASMEND
	;;#ASMSTART
	v_dot2_f32_f16 v13, v32, v112, v13
	;;#ASMEND
	s_nop 0
	;;#ASMSTART
	v_dot2_f32_f16 v13, v33, v113, v13
	;;#ASMEND
	s_nop 0
	;;#ASMSTART
	v_dot2_f32_f16 v13, v34, v114, v13
	;;#ASMEND
	s_nop 0
	;;#ASMSTART
	v_dot2_f32_f16 v13, v35, v115, v13
	;;#ASMEND
	;;#ASMSTART
	v_dot2_f32_f16 v14, v32, v116, v14
	;;#ASMEND
	s_nop 0
	;;#ASMSTART
	v_dot2_f32_f16 v14, v33, v117, v14
	;;#ASMEND
	s_nop 0
	;;#ASMSTART
	v_dot2_f32_f16 v14, v34, v118, v14
	;;#ASMEND
	s_nop 0
	;;#ASMSTART
	v_dot2_f32_f16 v14, v35, v119, v14
	;;#ASMEND
	;;#ASMSTART
	v_dot2_f32_f16 v15, v32, v120, v15
	;;#ASMEND
	s_nop 0
	;;#ASMSTART
	v_dot2_f32_f16 v15, v33, v121, v15
	;;#ASMEND
	s_nop 0
	;;#ASMSTART
	v_dot2_f32_f16 v15, v34, v122, v15
	;;#ASMEND
	s_nop 0
	;;#ASMSTART
	v_dot2_f32_f16 v15, v35, v123, v15
	;;#ASMEND
	ds_read_b128 v[36:39], v47 offset:24624
	ds_read_b128 v[32:35], v47 offset:27184
	;; [unrolled: 1-line block ×10, first 2 shown]
	s_waitcnt lgkmcnt(7)
	;;#ASMSTART
	v_dot2_f32_f16 v0, v36, v92, v0
	;;#ASMEND
	s_nop 0
	;;#ASMSTART
	v_dot2_f32_f16 v0, v37, v93, v0
	;;#ASMEND
	s_nop 0
	;;#ASMSTART
	v_dot2_f32_f16 v0, v38, v94, v0
	;;#ASMEND
	s_nop 0
	;;#ASMSTART
	v_dot2_f32_f16 v0, v39, v95, v0
	;;#ASMEND
	s_waitcnt lgkmcnt(6)
	;;#ASMSTART
	v_dot2_f32_f16 v1, v36, v96, v1
	;;#ASMEND
	s_nop 0
	;;#ASMSTART
	v_dot2_f32_f16 v1, v37, v97, v1
	;;#ASMEND
	v_cmp_nlt_f32_e64 s[4:5], |v0|, s4
	;;#ASMSTART
	v_dot2_f32_f16 v1, v38, v98, v1
	;;#ASMEND
	s_nop 0
	;;#ASMSTART
	v_dot2_f32_f16 v1, v39, v99, v1
	;;#ASMEND
	s_waitcnt lgkmcnt(5)
	;;#ASMSTART
	v_dot2_f32_f16 v2, v36, v100, v2
	;;#ASMEND
	s_nop 0
	;;#ASMSTART
	v_dot2_f32_f16 v2, v37, v101, v2
	;;#ASMEND
	s_nop 0
	;;#ASMSTART
	v_dot2_f32_f16 v2, v38, v102, v2
	;;#ASMEND
	s_nop 0
	;;#ASMSTART
	v_dot2_f32_f16 v2, v39, v103, v2
	;;#ASMEND
	s_waitcnt lgkmcnt(4)
	;;#ASMSTART
	v_dot2_f32_f16 v3, v36, v104, v3
	;;#ASMEND
	s_nop 0
	;;#ASMSTART
	v_dot2_f32_f16 v3, v37, v105, v3
	;;#ASMEND
	s_nop 0
	;; [unrolled: 16-line block ×6, first 2 shown]
	;;#ASMSTART
	v_dot2_f32_f16 v7, v38, v122, v7
	;;#ASMEND
	s_nop 0
	;;#ASMSTART
	v_dot2_f32_f16 v7, v39, v123, v7
	;;#ASMEND
	;;#ASMSTART
	v_dot2_f32_f16 v8, v32, v92, v8
	;;#ASMEND
	s_nop 0
	;;#ASMSTART
	v_dot2_f32_f16 v8, v33, v93, v8
	;;#ASMEND
	s_nop 0
	;;#ASMSTART
	v_dot2_f32_f16 v8, v34, v94, v8
	;;#ASMEND
	s_nop 0
	;;#ASMSTART
	v_dot2_f32_f16 v8, v35, v95, v8
	;;#ASMEND
	;;#ASMSTART
	v_dot2_f32_f16 v9, v32, v96, v9
	;;#ASMEND
	s_nop 0
	;;#ASMSTART
	v_dot2_f32_f16 v9, v33, v97, v9
	;;#ASMEND
	s_nop 0
	;;#ASMSTART
	v_dot2_f32_f16 v9, v34, v98, v9
	;;#ASMEND
	s_nop 0
	;;#ASMSTART
	v_dot2_f32_f16 v9, v35, v99, v9
	;;#ASMEND
	;;#ASMSTART
	v_dot2_f32_f16 v10, v32, v100, v10
	;;#ASMEND
	s_nop 0
	;;#ASMSTART
	v_dot2_f32_f16 v10, v33, v101, v10
	;;#ASMEND
	s_nop 0
	;;#ASMSTART
	v_dot2_f32_f16 v10, v34, v102, v10
	;;#ASMEND
	s_nop 0
	;;#ASMSTART
	v_dot2_f32_f16 v10, v35, v103, v10
	;;#ASMEND
	;;#ASMSTART
	v_dot2_f32_f16 v11, v32, v104, v11
	;;#ASMEND
	s_nop 0
	;;#ASMSTART
	v_dot2_f32_f16 v11, v33, v105, v11
	;;#ASMEND
	s_nop 0
	;;#ASMSTART
	v_dot2_f32_f16 v11, v34, v106, v11
	;;#ASMEND
	s_nop 0
	;;#ASMSTART
	v_dot2_f32_f16 v11, v35, v107, v11
	;;#ASMEND
	;;#ASMSTART
	v_dot2_f32_f16 v12, v32, v108, v12
	;;#ASMEND
	s_nop 0
	;;#ASMSTART
	v_dot2_f32_f16 v12, v33, v109, v12
	;;#ASMEND
	s_nop 0
	;;#ASMSTART
	v_dot2_f32_f16 v12, v34, v110, v12
	;;#ASMEND
	s_nop 0
	;;#ASMSTART
	v_dot2_f32_f16 v12, v35, v111, v12
	;;#ASMEND
	;;#ASMSTART
	v_dot2_f32_f16 v13, v32, v112, v13
	;;#ASMEND
	s_nop 0
	;;#ASMSTART
	v_dot2_f32_f16 v13, v33, v113, v13
	;;#ASMEND
	s_nop 0
	;;#ASMSTART
	v_dot2_f32_f16 v13, v34, v114, v13
	;;#ASMEND
	s_nop 0
	;;#ASMSTART
	v_dot2_f32_f16 v13, v35, v115, v13
	;;#ASMEND
	;;#ASMSTART
	v_dot2_f32_f16 v14, v32, v116, v14
	;;#ASMEND
	s_nop 0
	;;#ASMSTART
	v_dot2_f32_f16 v14, v33, v117, v14
	;;#ASMEND
	s_nop 0
	;;#ASMSTART
	v_dot2_f32_f16 v14, v34, v118, v14
	;;#ASMEND
	s_nop 0
	;;#ASMSTART
	v_dot2_f32_f16 v14, v35, v119, v14
	;;#ASMEND
	;;#ASMSTART
	v_dot2_f32_f16 v15, v32, v120, v15
	;;#ASMEND
                                        ; implicit-def: $vgpr32
	s_nop 0
	;;#ASMSTART
	v_dot2_f32_f16 v15, v33, v121, v15
	;;#ASMEND
	s_nop 0
	;;#ASMSTART
	v_dot2_f32_f16 v15, v34, v122, v15
	;;#ASMEND
	;; [unrolled: 4-line block ×3, first 2 shown]
	s_and_saveexec_b64 s[6:7], s[4:5]
	s_xor_b64 s[4:5], exec, s[6:7]
	s_cbranch_execz .LBB86_121
; %bb.120:
	v_add_f32_e64 v32, |v0|, |v0|
	v_mul_f32_e32 v33, 0x3fb8aa3b, v32
	s_mov_b32 s6, 0x3fb8aa3b
	v_rndne_f32_e32 v34, v33
	v_sub_f32_e32 v35, v33, v34
	v_fma_f32 v33, v32, s6, -v33
	v_fmamk_f32 v33, v32, 0x32a5705f, v33
	v_add_f32_e32 v33, v35, v33
	v_exp_f32_e32 v33, v33
	v_cvt_i32_f32_e32 v34, v34
	s_mov_b32 s6, 0xc2ce8ed0
	v_cmp_ngt_f32_e32 vcc, s6, v32
	s_mov_b32 s6, 0x42b17218
	v_ldexp_f32 v33, v33, v34
	v_cndmask_b32_e32 v33, 0, v33, vcc
	v_mov_b32_e32 v34, 0x7f800000
	v_cmp_nlt_f32_e32 vcc, s6, v32
	s_nop 1
	v_cndmask_b32_e32 v32, v34, v33, vcc
	v_add_f32_e32 v32, 1.0, v32
	v_rcp_f32_e32 v32, v32
	s_nop 0
	v_fma_f32 v32, v32, -2.0, 1.0
.LBB86_121:
	s_andn2_saveexec_b64 s[4:5], s[4:5]
; %bb.122:
	v_mul_f32_e32 v32, v0, v0
	v_mov_b32_e32 v33, 0x3ca908c9
	v_fmac_f32_e32 v33, 0xbbbac73d, v32
	v_fmaak_f32 v33, v32, v33, 0xbd5c1c4e
	v_fmaak_f32 v33, v32, v33, 0x3e088382
	;; [unrolled: 1-line block ×3, first 2 shown]
	v_mul_f32_e64 v33, |v0|, v33
	v_fma_f32 v32, v32, v33, |v0|
; %bb.123:
	s_or_b64 exec, exec, s[4:5]
	s_brev_b32 s4, -2
	v_cmp_ne_u64_e32 vcc, 0, v[42:43]
	v_bfi_b32 v0, s4, v32, v0
	v_add_u32_e32 v46, s28, v46
	v_cndmask_b32_e64 v32, 0, 1, vcc
	v_cmp_ne_u32_e64 s[8:9], 1, v32
	v_mov_b64_e32 v[38:39], v[30:31]
	v_mul_f32_e32 v0, s15, v0
	v_cmp_gt_i32_e64 s[4:5], s18, v40
	v_mov_b64_e32 v[36:37], v[28:29]
	v_mov_b64_e32 v[34:35], v[26:27]
	;; [unrolled: 1-line block ×3, first 2 shown]
	s_and_saveexec_b64 s[6:7], s[4:5]
	s_cbranch_execz .LBB86_128
; %bb.124:
	s_and_b64 vcc, exec, s[8:9]
	s_cbranch_vccnz .LBB86_126
; %bb.125:
	v_add_u32_e32 v32, v46, v40
	v_ashrrev_i32_e32 v33, 31, v32
	v_lshl_add_u64 v[32:33], v[32:33], 1, v[42:43]
	global_load_ushort v32, v[32:33], off
	s_waitcnt vmcnt(0)
	v_cvt_f32_f16_e32 v32, v32
	v_mul_f32_e32 v32, v69, v32
	s_branch .LBB86_127
.LBB86_126:
	v_mov_b32_e32 v32, 0
.LBB86_127:
	v_add_f32_e32 v0, v0, v32
	v_add_f32_e32 v32, 0x40051340, v0
	v_max_f32_e32 v33, v24, v24
	v_max_f32_e32 v41, v33, v32
	v_mov_b64_e32 v[38:39], v[30:31]
	v_mov_b64_e32 v[32:33], v[24:25]
	;; [unrolled: 1-line block ×4, first 2 shown]
	v_mov_b32_e32 v32, v41
.LBB86_128:
	s_or_b64 exec, exec, s[6:7]
	s_mov_b32 s6, 0x3f200000
	v_cmp_nlt_f32_e64 s[6:7], |v8|, s6
                                        ; implicit-def: $vgpr41
	s_and_saveexec_b64 s[12:13], s[6:7]
	s_xor_b64 s[6:7], exec, s[12:13]
	s_cbranch_execz .LBB86_130
; %bb.129:
	v_add_f32_e64 v41, |v8|, |v8|
	v_mul_f32_e32 v47, 0x3fb8aa3b, v41
	s_mov_b32 s12, 0x3fb8aa3b
	v_rndne_f32_e32 v92, v47
	v_sub_f32_e32 v93, v47, v92
	v_fma_f32 v47, v41, s12, -v47
	v_fmamk_f32 v47, v41, 0x32a5705f, v47
	v_add_f32_e32 v47, v93, v47
	v_exp_f32_e32 v47, v47
	v_cvt_i32_f32_e32 v92, v92
	s_mov_b32 s12, 0xc2ce8ed0
	v_cmp_ngt_f32_e32 vcc, s12, v41
	s_mov_b32 s12, 0x42b17218
	v_ldexp_f32 v47, v47, v92
	v_cndmask_b32_e32 v47, 0, v47, vcc
	v_mov_b32_e32 v92, 0x7f800000
	v_cmp_nlt_f32_e32 vcc, s12, v41
	s_nop 1
	v_cndmask_b32_e32 v41, v92, v47, vcc
	v_add_f32_e32 v41, 1.0, v41
	v_rcp_f32_e32 v41, v41
	s_nop 0
	v_fma_f32 v41, v41, -2.0, 1.0
.LBB86_130:
	s_andn2_saveexec_b64 s[6:7], s[6:7]
; %bb.131:
	v_mul_f32_e32 v41, v8, v8
	v_mov_b32_e32 v47, 0x3ca908c9
	v_fmac_f32_e32 v47, 0xbbbac73d, v41
	v_fmaak_f32 v47, v41, v47, 0xbd5c1c4e
	v_fmaak_f32 v47, v41, v47, 0x3e088382
	;; [unrolled: 1-line block ×3, first 2 shown]
	v_mul_f32_e64 v47, |v8|, v47
	v_fma_f32 v41, v41, v47, |v8|
; %bb.132:
	s_or_b64 exec, exec, s[6:7]
	s_brev_b32 s6, -2
	v_bfi_b32 v8, s6, v41, v8
	v_add_u32_e32 v99, 32, v40
	v_mul_f32_e32 v8, s15, v8
	v_cmp_gt_i32_e64 s[6:7], s18, v99
	s_and_saveexec_b64 s[12:13], s[6:7]
	s_cbranch_execz .LBB86_137
; %bb.133:
	s_and_b64 vcc, exec, s[8:9]
	s_cbranch_vccnz .LBB86_135
; %bb.134:
	v_ashrrev_i32_e32 v47, 31, v46
	v_mov_b32_e32 v41, 0
	v_lshl_add_u64 v[46:47], v[46:47], 0, v[40:41]
	v_lshl_add_u64 v[46:47], v[46:47], 1, v[42:43]
	global_load_ushort v41, v[46:47], off offset:64
	s_waitcnt vmcnt(0)
	v_cvt_f32_f16_e32 v41, v41
	v_mul_f32_e32 v41, v69, v41
	s_branch .LBB86_136
.LBB86_135:
	v_mov_b32_e32 v41, 0
.LBB86_136:
	v_add_f32_e32 v8, v8, v41
	v_add_f32_e32 v41, 0x40051340, v8
	v_max_f32_e32 v32, v32, v32
	v_max_f32_e32 v32, v32, v41
.LBB86_137:
	s_or_b64 exec, exec, s[12:13]
	v_mbcnt_hi_u32_b32 v92, -1, v87
	v_and_b32_e32 v41, 0x60, v92
	v_add_u32_e32 v93, 32, v41
	v_xor_b32_e32 v95, 16, v92
	v_cmp_lt_i32_e32 vcc, v95, v93
	v_xor_b32_e32 v98, 8, v92
	v_xor_b32_e32 v96, 4, v92
	v_cndmask_b32_e32 v41, v92, v95, vcc
	v_lshlrev_b32_e32 v87, 2, v41
	ds_bpermute_b32 v41, v87, v32
	v_cmp_lt_i32_e32 vcc, v98, v93
	v_max_f32_e32 v32, v32, v32
	v_xor_b32_e32 v97, 2, v92
	v_cndmask_b32_e32 v46, v92, v98, vcc
	s_waitcnt lgkmcnt(0)
	v_max_f32_e32 v41, v41, v41
	v_lshlrev_b32_e32 v100, 2, v46
	v_max_f32_e32 v32, v32, v41
	ds_bpermute_b32 v41, v100, v32
	v_cmp_lt_i32_e32 vcc, v96, v93
	v_xor_b32_e32 v94, 1, v92
	s_mov_b32 s12, 0x3f200000
	v_cndmask_b32_e32 v46, v92, v96, vcc
	s_waitcnt lgkmcnt(0)
	v_max_f32_e32 v41, v41, v41
	v_lshlrev_b32_e32 v101, 2, v46
	v_max_f32_e32 v32, v32, v41
	ds_bpermute_b32 v41, v101, v32
	v_cmp_lt_i32_e32 vcc, v97, v93
	v_cmp_nlt_f32_e64 s[12:13], |v1|, s12
                                        ; implicit-def: $vgpr47
	s_waitcnt lgkmcnt(0)
	v_max_f32_e32 v41, v41, v41
	v_cndmask_b32_e32 v46, v92, v97, vcc
	v_lshlrev_b32_e32 v102, 2, v46
	v_max_f32_e32 v32, v32, v41
	ds_bpermute_b32 v41, v102, v32
	v_cmp_lt_i32_e32 vcc, v94, v93
	s_waitcnt lgkmcnt(0)
	v_max_f32_e32 v41, v41, v41
	v_cndmask_b32_e32 v46, v92, v94, vcc
	v_lshlrev_b32_e32 v103, 2, v46
	v_max_f32_e32 v32, v32, v41
	ds_bpermute_b32 v41, v103, v32
	s_and_saveexec_b64 s[30:31], s[12:13]
	s_xor_b64 s[12:13], exec, s[30:31]
	s_cbranch_execz .LBB86_139
; %bb.138:
	v_add_f32_e64 v46, |v1|, |v1|
	v_mul_f32_e32 v47, 0x3fb8aa3b, v46
	s_mov_b32 s19, 0x3fb8aa3b
	v_rndne_f32_e32 v104, v47
	v_sub_f32_e32 v105, v47, v104
	v_fma_f32 v47, v46, s19, -v47
	v_fmamk_f32 v47, v46, 0x32a5705f, v47
	v_add_f32_e32 v47, v105, v47
	v_exp_f32_e32 v47, v47
	v_cvt_i32_f32_e32 v104, v104
	s_mov_b32 s19, 0xc2ce8ed0
	v_cmp_ngt_f32_e32 vcc, s19, v46
	s_mov_b32 s19, 0x42b17218
	v_ldexp_f32 v47, v47, v104
	v_cndmask_b32_e32 v47, 0, v47, vcc
	v_mov_b32_e32 v104, 0x7f800000
	v_cmp_nlt_f32_e32 vcc, s19, v46
	s_nop 1
	v_cndmask_b32_e32 v46, v104, v47, vcc
	v_add_f32_e32 v46, 1.0, v46
	v_rcp_f32_e32 v46, v46
	s_nop 0
	v_fma_f32 v47, v46, -2.0, 1.0
.LBB86_139:
	s_andn2_saveexec_b64 s[12:13], s[12:13]
; %bb.140:
	v_mul_f32_e32 v46, v1, v1
	v_mov_b32_e32 v47, 0x3ca908c9
	v_fmac_f32_e32 v47, 0xbbbac73d, v46
	v_fmaak_f32 v47, v46, v47, 0xbd5c1c4e
	v_fmaak_f32 v47, v46, v47, 0x3e088382
	;; [unrolled: 1-line block ×3, first 2 shown]
	v_mul_f32_e64 v47, |v1|, v47
	v_fma_f32 v47, v46, v47, |v1|
; %bb.141:
	s_or_b64 exec, exec, s[12:13]
	s_waitcnt lgkmcnt(0)
	v_max_f32_e32 v41, v41, v41
	v_max_f32_e32 v32, v32, v32
	;; [unrolled: 1-line block ×3, first 2 shown]
	v_mul_hi_u32 v41, s24, v86
	v_add_u32_e32 v41, v86, v41
	v_lshrrev_b32_e32 v41, s25, v41
	v_mul_lo_u32 v41, v41, s26
	v_sub_u32_e32 v41, v86, v41
	s_brev_b32 s12, -2
	v_mul_lo_u32 v41, v41, s29
	v_bfi_b32 v1, s12, v47, v1
	v_add_u32_e32 v46, s28, v41
	v_mul_f32_e32 v1, s15, v1
	s_and_saveexec_b64 s[12:13], s[4:5]
	s_cbranch_execz .LBB86_146
; %bb.142:
	s_and_b64 vcc, exec, s[8:9]
	s_cbranch_vccnz .LBB86_144
; %bb.143:
	v_add_u32_e32 v104, v46, v40
	v_ashrrev_i32_e32 v105, 31, v104
	v_lshl_add_u64 v[104:105], v[104:105], 1, v[42:43]
	global_load_ushort v41, v[104:105], off
	s_waitcnt vmcnt(0)
	v_cvt_f32_f16_e32 v41, v41
	v_mul_f32_e32 v41, v69, v41
	s_branch .LBB86_145
.LBB86_144:
	v_mov_b32_e32 v41, 0
.LBB86_145:
	v_add_f32_e32 v1, v1, v41
	v_add_f32_e32 v41, 0x40051340, v1
	v_max_f32_e32 v33, v33, v33
	v_max_f32_e32 v33, v33, v41
.LBB86_146:
	s_or_b64 exec, exec, s[12:13]
	s_mov_b32 s12, 0x3f200000
	v_cmp_nlt_f32_e64 s[12:13], |v9|, s12
                                        ; implicit-def: $vgpr41
	s_and_saveexec_b64 s[30:31], s[12:13]
	s_xor_b64 s[12:13], exec, s[30:31]
	s_cbranch_execz .LBB86_148
; %bb.147:
	v_add_f32_e64 v41, |v9|, |v9|
	v_mul_f32_e32 v47, 0x3fb8aa3b, v41
	s_mov_b32 s19, 0x3fb8aa3b
	v_rndne_f32_e32 v86, v47
	v_sub_f32_e32 v104, v47, v86
	v_fma_f32 v47, v41, s19, -v47
	v_fmamk_f32 v47, v41, 0x32a5705f, v47
	v_add_f32_e32 v47, v104, v47
	v_exp_f32_e32 v47, v47
	v_cvt_i32_f32_e32 v86, v86
	s_mov_b32 s19, 0xc2ce8ed0
	v_cmp_ngt_f32_e32 vcc, s19, v41
	s_mov_b32 s19, 0x42b17218
	v_ldexp_f32 v47, v47, v86
	v_cndmask_b32_e32 v47, 0, v47, vcc
	v_mov_b32_e32 v86, 0x7f800000
	v_cmp_nlt_f32_e32 vcc, s19, v41
	s_nop 1
	v_cndmask_b32_e32 v41, v86, v47, vcc
	v_add_f32_e32 v41, 1.0, v41
	v_rcp_f32_e32 v41, v41
	s_nop 0
	v_fma_f32 v41, v41, -2.0, 1.0
.LBB86_148:
	s_andn2_saveexec_b64 s[12:13], s[12:13]
; %bb.149:
	v_mul_f32_e32 v41, v9, v9
	v_mov_b32_e32 v47, 0x3ca908c9
	v_fmac_f32_e32 v47, 0xbbbac73d, v41
	v_fmaak_f32 v47, v41, v47, 0xbd5c1c4e
	v_fmaak_f32 v47, v41, v47, 0x3e088382
	;; [unrolled: 1-line block ×3, first 2 shown]
	v_mul_f32_e64 v47, |v9|, v47
	v_fma_f32 v41, v41, v47, |v9|
; %bb.150:
	s_or_b64 exec, exec, s[12:13]
	s_brev_b32 s12, -2
	v_bfi_b32 v9, s12, v41, v9
	v_mul_f32_e32 v9, s15, v9
	s_and_saveexec_b64 s[12:13], s[6:7]
	s_cbranch_execz .LBB86_155
; %bb.151:
	s_and_b64 vcc, exec, s[8:9]
	s_cbranch_vccnz .LBB86_153
; %bb.152:
	v_ashrrev_i32_e32 v47, 31, v46
	v_mov_b32_e32 v41, 0
	v_lshl_add_u64 v[46:47], v[46:47], 0, v[40:41]
	v_lshl_add_u64 v[46:47], v[46:47], 1, v[42:43]
	global_load_ushort v41, v[46:47], off offset:64
	s_waitcnt vmcnt(0)
	v_cvt_f32_f16_e32 v41, v41
	v_mul_f32_e32 v41, v69, v41
	s_branch .LBB86_154
.LBB86_153:
	v_mov_b32_e32 v41, 0
.LBB86_154:
	v_add_f32_e32 v9, v9, v41
	v_add_f32_e32 v41, 0x40051340, v9
	v_max_f32_e32 v33, v33, v33
	v_max_f32_e32 v33, v33, v41
.LBB86_155:
	s_or_b64 exec, exec, s[12:13]
	ds_bpermute_b32 v41, v87, v33
	v_max_f32_e32 v33, v33, v33
	s_mov_b32 s12, 0x3f200000
	v_cmp_nlt_f32_e64 s[12:13], |v2|, s12
                                        ; implicit-def: $vgpr47
	s_waitcnt lgkmcnt(0)
	v_max_f32_e32 v41, v41, v41
	v_max_f32_e32 v33, v33, v41
	ds_bpermute_b32 v41, v100, v33
	s_waitcnt lgkmcnt(0)
	v_max_f32_e32 v41, v41, v41
	v_max_f32_e32 v33, v33, v41
	ds_bpermute_b32 v41, v101, v33
	;; [unrolled: 4-line block ×4, first 2 shown]
	s_and_saveexec_b64 s[30:31], s[12:13]
	s_xor_b64 s[12:13], exec, s[30:31]
	s_cbranch_execz .LBB86_157
; %bb.156:
	v_add_f32_e64 v46, |v2|, |v2|
	v_mul_f32_e32 v47, 0x3fb8aa3b, v46
	s_mov_b32 s19, 0x3fb8aa3b
	v_rndne_f32_e32 v86, v47
	v_sub_f32_e32 v104, v47, v86
	v_fma_f32 v47, v46, s19, -v47
	v_fmamk_f32 v47, v46, 0x32a5705f, v47
	v_add_f32_e32 v47, v104, v47
	v_exp_f32_e32 v47, v47
	v_cvt_i32_f32_e32 v86, v86
	s_mov_b32 s19, 0xc2ce8ed0
	v_cmp_ngt_f32_e32 vcc, s19, v46
	s_mov_b32 s19, 0x42b17218
	v_ldexp_f32 v47, v47, v86
	v_cndmask_b32_e32 v47, 0, v47, vcc
	v_mov_b32_e32 v86, 0x7f800000
	v_cmp_nlt_f32_e32 vcc, s19, v46
	s_nop 1
	v_cndmask_b32_e32 v46, v86, v47, vcc
	v_add_f32_e32 v46, 1.0, v46
	v_rcp_f32_e32 v46, v46
	s_nop 0
	v_fma_f32 v47, v46, -2.0, 1.0
.LBB86_157:
	s_andn2_saveexec_b64 s[12:13], s[12:13]
; %bb.158:
	v_mul_f32_e32 v46, v2, v2
	v_mov_b32_e32 v47, 0x3ca908c9
	v_fmac_f32_e32 v47, 0xbbbac73d, v46
	v_fmaak_f32 v47, v46, v47, 0xbd5c1c4e
	v_fmaak_f32 v47, v46, v47, 0x3e088382
	v_fmaak_f32 v47, v46, v47, 0xbeaaaa99
	v_mul_f32_e64 v47, |v2|, v47
	v_fma_f32 v47, v46, v47, |v2|
; %bb.159:
	s_or_b64 exec, exec, s[12:13]
	s_waitcnt lgkmcnt(0)
	v_max_f32_e32 v41, v41, v41
	v_max_f32_e32 v33, v33, v33
	;; [unrolled: 1-line block ×3, first 2 shown]
	v_mul_hi_u32 v41, s24, v83
	v_add_u32_e32 v41, v83, v41
	v_lshrrev_b32_e32 v41, s25, v41
	v_mul_lo_u32 v41, v41, s26
	v_sub_u32_e32 v41, v83, v41
	s_brev_b32 s12, -2
	v_mul_lo_u32 v41, v41, s29
	v_bfi_b32 v2, s12, v47, v2
	v_add_u32_e32 v46, s28, v41
	v_mul_f32_e32 v2, s15, v2
	s_and_saveexec_b64 s[12:13], s[4:5]
	s_cbranch_execz .LBB86_164
; %bb.160:
	s_and_b64 vcc, exec, s[8:9]
	s_cbranch_vccnz .LBB86_162
; %bb.161:
	v_add_u32_e32 v104, v46, v40
	v_ashrrev_i32_e32 v105, 31, v104
	v_lshl_add_u64 v[104:105], v[104:105], 1, v[42:43]
	global_load_ushort v41, v[104:105], off
	s_waitcnt vmcnt(0)
	v_cvt_f32_f16_e32 v41, v41
	v_mul_f32_e32 v41, v69, v41
	s_branch .LBB86_163
.LBB86_162:
	v_mov_b32_e32 v41, 0
.LBB86_163:
	v_add_f32_e32 v2, v2, v41
	v_add_f32_e32 v41, 0x40051340, v2
	v_max_f32_e32 v34, v34, v34
	v_max_f32_e32 v34, v34, v41
.LBB86_164:
	s_or_b64 exec, exec, s[12:13]
	s_mov_b32 s12, 0x3f200000
	v_cmp_nlt_f32_e64 s[12:13], |v10|, s12
                                        ; implicit-def: $vgpr41
	s_and_saveexec_b64 s[30:31], s[12:13]
	s_xor_b64 s[12:13], exec, s[30:31]
	s_cbranch_execz .LBB86_166
; %bb.165:
	v_add_f32_e64 v41, |v10|, |v10|
	v_mul_f32_e32 v47, 0x3fb8aa3b, v41
	s_mov_b32 s19, 0x3fb8aa3b
	v_rndne_f32_e32 v83, v47
	v_sub_f32_e32 v86, v47, v83
	v_fma_f32 v47, v41, s19, -v47
	v_fmamk_f32 v47, v41, 0x32a5705f, v47
	v_add_f32_e32 v47, v86, v47
	v_exp_f32_e32 v47, v47
	v_cvt_i32_f32_e32 v83, v83
	s_mov_b32 s19, 0xc2ce8ed0
	v_cmp_ngt_f32_e32 vcc, s19, v41
	s_mov_b32 s19, 0x42b17218
	v_ldexp_f32 v47, v47, v83
	v_cndmask_b32_e32 v47, 0, v47, vcc
	v_mov_b32_e32 v83, 0x7f800000
	v_cmp_nlt_f32_e32 vcc, s19, v41
	s_nop 1
	v_cndmask_b32_e32 v41, v83, v47, vcc
	v_add_f32_e32 v41, 1.0, v41
	v_rcp_f32_e32 v41, v41
	s_nop 0
	v_fma_f32 v41, v41, -2.0, 1.0
.LBB86_166:
	s_andn2_saveexec_b64 s[12:13], s[12:13]
; %bb.167:
	v_mul_f32_e32 v41, v10, v10
	v_mov_b32_e32 v47, 0x3ca908c9
	v_fmac_f32_e32 v47, 0xbbbac73d, v41
	v_fmaak_f32 v47, v41, v47, 0xbd5c1c4e
	v_fmaak_f32 v47, v41, v47, 0x3e088382
	;; [unrolled: 1-line block ×3, first 2 shown]
	v_mul_f32_e64 v47, |v10|, v47
	v_fma_f32 v41, v41, v47, |v10|
; %bb.168:
	s_or_b64 exec, exec, s[12:13]
	s_brev_b32 s12, -2
	v_bfi_b32 v10, s12, v41, v10
	v_mul_f32_e32 v10, s15, v10
	s_and_saveexec_b64 s[12:13], s[6:7]
	s_cbranch_execz .LBB86_173
; %bb.169:
	s_and_b64 vcc, exec, s[8:9]
	s_cbranch_vccnz .LBB86_171
; %bb.170:
	v_ashrrev_i32_e32 v47, 31, v46
	v_mov_b32_e32 v41, 0
	v_lshl_add_u64 v[46:47], v[46:47], 0, v[40:41]
	v_lshl_add_u64 v[46:47], v[46:47], 1, v[42:43]
	global_load_ushort v41, v[46:47], off offset:64
	s_waitcnt vmcnt(0)
	v_cvt_f32_f16_e32 v41, v41
	v_mul_f32_e32 v41, v69, v41
	s_branch .LBB86_172
.LBB86_171:
	v_mov_b32_e32 v41, 0
.LBB86_172:
	v_add_f32_e32 v10, v10, v41
	v_add_f32_e32 v41, 0x40051340, v10
	v_max_f32_e32 v34, v34, v34
	v_max_f32_e32 v34, v34, v41
.LBB86_173:
	s_or_b64 exec, exec, s[12:13]
	ds_bpermute_b32 v41, v87, v34
	v_max_f32_e32 v34, v34, v34
	s_mov_b32 s12, 0x3f200000
	v_cmp_nlt_f32_e64 s[12:13], |v3|, s12
                                        ; implicit-def: $vgpr47
	s_waitcnt lgkmcnt(0)
	v_max_f32_e32 v41, v41, v41
	v_max_f32_e32 v34, v34, v41
	ds_bpermute_b32 v41, v100, v34
	s_waitcnt lgkmcnt(0)
	v_max_f32_e32 v41, v41, v41
	v_max_f32_e32 v34, v34, v41
	ds_bpermute_b32 v41, v101, v34
	;; [unrolled: 4-line block ×4, first 2 shown]
	s_and_saveexec_b64 s[30:31], s[12:13]
	s_xor_b64 s[12:13], exec, s[30:31]
	s_cbranch_execz .LBB86_175
; %bb.174:
	v_add_f32_e64 v46, |v3|, |v3|
	v_mul_f32_e32 v47, 0x3fb8aa3b, v46
	s_mov_b32 s19, 0x3fb8aa3b
	v_rndne_f32_e32 v83, v47
	v_sub_f32_e32 v86, v47, v83
	v_fma_f32 v47, v46, s19, -v47
	v_fmamk_f32 v47, v46, 0x32a5705f, v47
	v_add_f32_e32 v47, v86, v47
	v_exp_f32_e32 v47, v47
	v_cvt_i32_f32_e32 v83, v83
	s_mov_b32 s19, 0xc2ce8ed0
	v_cmp_ngt_f32_e32 vcc, s19, v46
	s_mov_b32 s19, 0x42b17218
	v_ldexp_f32 v47, v47, v83
	v_cndmask_b32_e32 v47, 0, v47, vcc
	v_mov_b32_e32 v83, 0x7f800000
	v_cmp_nlt_f32_e32 vcc, s19, v46
	s_nop 1
	v_cndmask_b32_e32 v46, v83, v47, vcc
	v_add_f32_e32 v46, 1.0, v46
	v_rcp_f32_e32 v46, v46
	s_nop 0
	v_fma_f32 v47, v46, -2.0, 1.0
.LBB86_175:
	s_andn2_saveexec_b64 s[12:13], s[12:13]
; %bb.176:
	v_mul_f32_e32 v46, v3, v3
	v_mov_b32_e32 v47, 0x3ca908c9
	v_fmac_f32_e32 v47, 0xbbbac73d, v46
	v_fmaak_f32 v47, v46, v47, 0xbd5c1c4e
	v_fmaak_f32 v47, v46, v47, 0x3e088382
	v_fmaak_f32 v47, v46, v47, 0xbeaaaa99
	v_mul_f32_e64 v47, |v3|, v47
	v_fma_f32 v47, v46, v47, |v3|
; %bb.177:
	s_or_b64 exec, exec, s[12:13]
	s_waitcnt lgkmcnt(0)
	v_max_f32_e32 v41, v41, v41
	v_max_f32_e32 v34, v34, v34
	;; [unrolled: 1-line block ×3, first 2 shown]
	v_mul_hi_u32 v41, s24, v81
	v_add_u32_e32 v41, v81, v41
	v_lshrrev_b32_e32 v41, s25, v41
	v_mul_lo_u32 v41, v41, s26
	v_sub_u32_e32 v41, v81, v41
	s_brev_b32 s12, -2
	v_mul_lo_u32 v41, v41, s29
	v_bfi_b32 v3, s12, v47, v3
	v_add_u32_e32 v46, s28, v41
	v_mul_f32_e32 v3, s15, v3
	s_and_saveexec_b64 s[12:13], s[4:5]
	s_cbranch_execz .LBB86_182
; %bb.178:
	s_and_b64 vcc, exec, s[8:9]
	s_cbranch_vccnz .LBB86_180
; %bb.179:
	v_add_u32_e32 v104, v46, v40
	v_ashrrev_i32_e32 v105, 31, v104
	v_lshl_add_u64 v[104:105], v[104:105], 1, v[42:43]
	global_load_ushort v41, v[104:105], off
	s_waitcnt vmcnt(0)
	v_cvt_f32_f16_e32 v41, v41
	v_mul_f32_e32 v41, v69, v41
	s_branch .LBB86_181
.LBB86_180:
	v_mov_b32_e32 v41, 0
.LBB86_181:
	v_add_f32_e32 v3, v3, v41
	v_add_f32_e32 v41, 0x40051340, v3
	v_max_f32_e32 v35, v35, v35
	v_max_f32_e32 v35, v35, v41
.LBB86_182:
	s_or_b64 exec, exec, s[12:13]
	s_mov_b32 s12, 0x3f200000
	v_cmp_nlt_f32_e64 s[12:13], |v11|, s12
                                        ; implicit-def: $vgpr41
	s_and_saveexec_b64 s[30:31], s[12:13]
	s_xor_b64 s[12:13], exec, s[30:31]
	s_cbranch_execz .LBB86_184
; %bb.183:
	v_add_f32_e64 v41, |v11|, |v11|
	v_mul_f32_e32 v47, 0x3fb8aa3b, v41
	s_mov_b32 s19, 0x3fb8aa3b
	v_rndne_f32_e32 v81, v47
	v_sub_f32_e32 v83, v47, v81
	v_fma_f32 v47, v41, s19, -v47
	v_fmamk_f32 v47, v41, 0x32a5705f, v47
	v_add_f32_e32 v47, v83, v47
	v_exp_f32_e32 v47, v47
	v_cvt_i32_f32_e32 v81, v81
	s_mov_b32 s19, 0xc2ce8ed0
	v_cmp_ngt_f32_e32 vcc, s19, v41
	s_mov_b32 s19, 0x42b17218
	v_ldexp_f32 v47, v47, v81
	v_cndmask_b32_e32 v47, 0, v47, vcc
	v_mov_b32_e32 v81, 0x7f800000
	v_cmp_nlt_f32_e32 vcc, s19, v41
	s_nop 1
	v_cndmask_b32_e32 v41, v81, v47, vcc
	v_add_f32_e32 v41, 1.0, v41
	v_rcp_f32_e32 v41, v41
	s_nop 0
	v_fma_f32 v41, v41, -2.0, 1.0
.LBB86_184:
	s_andn2_saveexec_b64 s[12:13], s[12:13]
; %bb.185:
	v_mul_f32_e32 v41, v11, v11
	v_mov_b32_e32 v47, 0x3ca908c9
	v_fmac_f32_e32 v47, 0xbbbac73d, v41
	v_fmaak_f32 v47, v41, v47, 0xbd5c1c4e
	v_fmaak_f32 v47, v41, v47, 0x3e088382
	;; [unrolled: 1-line block ×3, first 2 shown]
	v_mul_f32_e64 v47, |v11|, v47
	v_fma_f32 v41, v41, v47, |v11|
; %bb.186:
	s_or_b64 exec, exec, s[12:13]
	s_brev_b32 s12, -2
	v_bfi_b32 v11, s12, v41, v11
	v_mul_f32_e32 v11, s15, v11
	s_and_saveexec_b64 s[12:13], s[6:7]
	s_cbranch_execz .LBB86_191
; %bb.187:
	s_and_b64 vcc, exec, s[8:9]
	s_cbranch_vccnz .LBB86_189
; %bb.188:
	v_ashrrev_i32_e32 v47, 31, v46
	v_mov_b32_e32 v41, 0
	v_lshl_add_u64 v[46:47], v[46:47], 0, v[40:41]
	v_lshl_add_u64 v[46:47], v[46:47], 1, v[42:43]
	global_load_ushort v41, v[46:47], off offset:64
	s_waitcnt vmcnt(0)
	v_cvt_f32_f16_e32 v41, v41
	v_mul_f32_e32 v41, v69, v41
	s_branch .LBB86_190
.LBB86_189:
	v_mov_b32_e32 v41, 0
.LBB86_190:
	v_add_f32_e32 v11, v11, v41
	v_add_f32_e32 v41, 0x40051340, v11
	v_max_f32_e32 v35, v35, v35
	v_max_f32_e32 v35, v35, v41
.LBB86_191:
	s_or_b64 exec, exec, s[12:13]
	ds_bpermute_b32 v41, v87, v35
	v_max_f32_e32 v35, v35, v35
	s_mov_b32 s12, 0x3f200000
	v_cmp_nlt_f32_e64 s[12:13], |v4|, s12
                                        ; implicit-def: $vgpr47
	s_waitcnt lgkmcnt(0)
	v_max_f32_e32 v41, v41, v41
	v_max_f32_e32 v35, v35, v41
	ds_bpermute_b32 v41, v100, v35
	s_waitcnt lgkmcnt(0)
	v_max_f32_e32 v41, v41, v41
	v_max_f32_e32 v35, v35, v41
	ds_bpermute_b32 v41, v101, v35
	;; [unrolled: 4-line block ×4, first 2 shown]
	s_and_saveexec_b64 s[30:31], s[12:13]
	s_xor_b64 s[12:13], exec, s[30:31]
	s_cbranch_execz .LBB86_193
; %bb.192:
	v_add_f32_e64 v46, |v4|, |v4|
	v_mul_f32_e32 v47, 0x3fb8aa3b, v46
	s_mov_b32 s19, 0x3fb8aa3b
	v_rndne_f32_e32 v81, v47
	v_sub_f32_e32 v83, v47, v81
	v_fma_f32 v47, v46, s19, -v47
	v_fmamk_f32 v47, v46, 0x32a5705f, v47
	v_add_f32_e32 v47, v83, v47
	v_exp_f32_e32 v47, v47
	v_cvt_i32_f32_e32 v81, v81
	s_mov_b32 s19, 0xc2ce8ed0
	v_cmp_ngt_f32_e32 vcc, s19, v46
	s_mov_b32 s19, 0x42b17218
	v_ldexp_f32 v47, v47, v81
	v_cndmask_b32_e32 v47, 0, v47, vcc
	v_mov_b32_e32 v81, 0x7f800000
	v_cmp_nlt_f32_e32 vcc, s19, v46
	s_nop 1
	v_cndmask_b32_e32 v46, v81, v47, vcc
	v_add_f32_e32 v46, 1.0, v46
	v_rcp_f32_e32 v46, v46
	s_nop 0
	v_fma_f32 v47, v46, -2.0, 1.0
.LBB86_193:
	s_andn2_saveexec_b64 s[12:13], s[12:13]
; %bb.194:
	v_mul_f32_e32 v46, v4, v4
	v_mov_b32_e32 v47, 0x3ca908c9
	v_fmac_f32_e32 v47, 0xbbbac73d, v46
	v_fmaak_f32 v47, v46, v47, 0xbd5c1c4e
	v_fmaak_f32 v47, v46, v47, 0x3e088382
	v_fmaak_f32 v47, v46, v47, 0xbeaaaa99
	v_mul_f32_e64 v47, |v4|, v47
	v_fma_f32 v47, v46, v47, |v4|
; %bb.195:
	s_or_b64 exec, exec, s[12:13]
	s_waitcnt lgkmcnt(0)
	v_max_f32_e32 v41, v41, v41
	v_max_f32_e32 v35, v35, v35
	;; [unrolled: 1-line block ×3, first 2 shown]
	v_mul_hi_u32 v41, s24, v77
	v_add_u32_e32 v41, v77, v41
	v_lshrrev_b32_e32 v41, s25, v41
	v_mul_lo_u32 v41, v41, s26
	v_sub_u32_e32 v41, v77, v41
	s_brev_b32 s12, -2
	v_mul_lo_u32 v41, v41, s29
	v_bfi_b32 v4, s12, v47, v4
	v_add_u32_e32 v46, s28, v41
	v_mul_f32_e32 v4, s15, v4
	s_and_saveexec_b64 s[12:13], s[4:5]
	s_cbranch_execz .LBB86_200
; %bb.196:
	s_and_b64 vcc, exec, s[8:9]
	s_cbranch_vccnz .LBB86_198
; %bb.197:
	v_add_u32_e32 v104, v46, v40
	v_ashrrev_i32_e32 v105, 31, v104
	v_lshl_add_u64 v[104:105], v[104:105], 1, v[42:43]
	global_load_ushort v41, v[104:105], off
	s_waitcnt vmcnt(0)
	v_cvt_f32_f16_e32 v41, v41
	v_mul_f32_e32 v41, v69, v41
	s_branch .LBB86_199
.LBB86_198:
	v_mov_b32_e32 v41, 0
.LBB86_199:
	v_add_f32_e32 v4, v4, v41
	v_add_f32_e32 v41, 0x40051340, v4
	v_max_f32_e32 v36, v36, v36
	v_max_f32_e32 v36, v36, v41
.LBB86_200:
	s_or_b64 exec, exec, s[12:13]
	s_mov_b32 s12, 0x3f200000
	v_cmp_nlt_f32_e64 s[12:13], |v12|, s12
                                        ; implicit-def: $vgpr41
	s_and_saveexec_b64 s[30:31], s[12:13]
	s_xor_b64 s[12:13], exec, s[30:31]
	s_cbranch_execz .LBB86_202
; %bb.201:
	v_add_f32_e64 v41, |v12|, |v12|
	v_mul_f32_e32 v47, 0x3fb8aa3b, v41
	s_mov_b32 s19, 0x3fb8aa3b
	v_rndne_f32_e32 v77, v47
	v_sub_f32_e32 v81, v47, v77
	v_fma_f32 v47, v41, s19, -v47
	v_fmamk_f32 v47, v41, 0x32a5705f, v47
	v_add_f32_e32 v47, v81, v47
	v_exp_f32_e32 v47, v47
	v_cvt_i32_f32_e32 v77, v77
	s_mov_b32 s19, 0xc2ce8ed0
	v_cmp_ngt_f32_e32 vcc, s19, v41
	s_mov_b32 s19, 0x42b17218
	v_ldexp_f32 v47, v47, v77
	v_cndmask_b32_e32 v47, 0, v47, vcc
	v_mov_b32_e32 v77, 0x7f800000
	v_cmp_nlt_f32_e32 vcc, s19, v41
	s_nop 1
	v_cndmask_b32_e32 v41, v77, v47, vcc
	v_add_f32_e32 v41, 1.0, v41
	v_rcp_f32_e32 v41, v41
	s_nop 0
	v_fma_f32 v41, v41, -2.0, 1.0
.LBB86_202:
	s_andn2_saveexec_b64 s[12:13], s[12:13]
; %bb.203:
	v_mul_f32_e32 v41, v12, v12
	v_mov_b32_e32 v47, 0x3ca908c9
	v_fmac_f32_e32 v47, 0xbbbac73d, v41
	v_fmaak_f32 v47, v41, v47, 0xbd5c1c4e
	v_fmaak_f32 v47, v41, v47, 0x3e088382
	;; [unrolled: 1-line block ×3, first 2 shown]
	v_mul_f32_e64 v47, |v12|, v47
	v_fma_f32 v41, v41, v47, |v12|
; %bb.204:
	s_or_b64 exec, exec, s[12:13]
	s_brev_b32 s12, -2
	v_bfi_b32 v12, s12, v41, v12
	v_mul_f32_e32 v12, s15, v12
	s_and_saveexec_b64 s[12:13], s[6:7]
	s_cbranch_execz .LBB86_209
; %bb.205:
	s_and_b64 vcc, exec, s[8:9]
	s_cbranch_vccnz .LBB86_207
; %bb.206:
	v_ashrrev_i32_e32 v47, 31, v46
	v_mov_b32_e32 v41, 0
	v_lshl_add_u64 v[46:47], v[46:47], 0, v[40:41]
	v_lshl_add_u64 v[46:47], v[46:47], 1, v[42:43]
	global_load_ushort v41, v[46:47], off offset:64
	s_waitcnt vmcnt(0)
	v_cvt_f32_f16_e32 v41, v41
	v_mul_f32_e32 v41, v69, v41
	s_branch .LBB86_208
.LBB86_207:
	v_mov_b32_e32 v41, 0
.LBB86_208:
	v_add_f32_e32 v12, v12, v41
	v_add_f32_e32 v41, 0x40051340, v12
	v_max_f32_e32 v36, v36, v36
	v_max_f32_e32 v36, v36, v41
.LBB86_209:
	s_or_b64 exec, exec, s[12:13]
	ds_bpermute_b32 v41, v87, v36
	v_max_f32_e32 v36, v36, v36
	s_mov_b32 s12, 0x3f200000
	v_cmp_nlt_f32_e64 s[12:13], |v5|, s12
                                        ; implicit-def: $vgpr47
	s_waitcnt lgkmcnt(0)
	v_max_f32_e32 v41, v41, v41
	v_max_f32_e32 v36, v36, v41
	ds_bpermute_b32 v41, v100, v36
	s_waitcnt lgkmcnt(0)
	v_max_f32_e32 v41, v41, v41
	v_max_f32_e32 v36, v36, v41
	ds_bpermute_b32 v41, v101, v36
	;; [unrolled: 4-line block ×4, first 2 shown]
	s_and_saveexec_b64 s[30:31], s[12:13]
	s_xor_b64 s[12:13], exec, s[30:31]
	s_cbranch_execz .LBB86_211
; %bb.210:
	v_add_f32_e64 v46, |v5|, |v5|
	v_mul_f32_e32 v47, 0x3fb8aa3b, v46
	s_mov_b32 s19, 0x3fb8aa3b
	v_rndne_f32_e32 v77, v47
	v_sub_f32_e32 v81, v47, v77
	v_fma_f32 v47, v46, s19, -v47
	v_fmamk_f32 v47, v46, 0x32a5705f, v47
	v_add_f32_e32 v47, v81, v47
	v_exp_f32_e32 v47, v47
	v_cvt_i32_f32_e32 v77, v77
	s_mov_b32 s19, 0xc2ce8ed0
	v_cmp_ngt_f32_e32 vcc, s19, v46
	s_mov_b32 s19, 0x42b17218
	v_ldexp_f32 v47, v47, v77
	v_cndmask_b32_e32 v47, 0, v47, vcc
	v_mov_b32_e32 v77, 0x7f800000
	v_cmp_nlt_f32_e32 vcc, s19, v46
	s_nop 1
	v_cndmask_b32_e32 v46, v77, v47, vcc
	v_add_f32_e32 v46, 1.0, v46
	v_rcp_f32_e32 v46, v46
	s_nop 0
	v_fma_f32 v47, v46, -2.0, 1.0
.LBB86_211:
	s_andn2_saveexec_b64 s[12:13], s[12:13]
; %bb.212:
	v_mul_f32_e32 v46, v5, v5
	v_mov_b32_e32 v47, 0x3ca908c9
	v_fmac_f32_e32 v47, 0xbbbac73d, v46
	v_fmaak_f32 v47, v46, v47, 0xbd5c1c4e
	v_fmaak_f32 v47, v46, v47, 0x3e088382
	;; [unrolled: 1-line block ×3, first 2 shown]
	v_mul_f32_e64 v47, |v5|, v47
	v_fma_f32 v47, v46, v47, |v5|
; %bb.213:
	s_or_b64 exec, exec, s[12:13]
	s_waitcnt lgkmcnt(0)
	v_max_f32_e32 v41, v41, v41
	v_max_f32_e32 v36, v36, v36
	;; [unrolled: 1-line block ×3, first 2 shown]
	v_mul_hi_u32 v41, s24, v74
	v_add_u32_e32 v41, v74, v41
	v_lshrrev_b32_e32 v41, s25, v41
	v_mul_lo_u32 v41, v41, s26
	v_sub_u32_e32 v41, v74, v41
	s_brev_b32 s12, -2
	v_mul_lo_u32 v41, v41, s29
	v_bfi_b32 v5, s12, v47, v5
	v_add_u32_e32 v46, s28, v41
	v_mul_f32_e32 v5, s15, v5
	s_and_saveexec_b64 s[12:13], s[4:5]
	s_cbranch_execz .LBB86_218
; %bb.214:
	s_and_b64 vcc, exec, s[8:9]
	s_cbranch_vccnz .LBB86_216
; %bb.215:
	v_add_u32_e32 v104, v46, v40
	v_ashrrev_i32_e32 v105, 31, v104
	v_lshl_add_u64 v[104:105], v[104:105], 1, v[42:43]
	global_load_ushort v41, v[104:105], off
	s_waitcnt vmcnt(0)
	v_cvt_f32_f16_e32 v41, v41
	v_mul_f32_e32 v41, v69, v41
	s_branch .LBB86_217
.LBB86_216:
	v_mov_b32_e32 v41, 0
.LBB86_217:
	v_add_f32_e32 v5, v5, v41
	v_add_f32_e32 v41, 0x40051340, v5
	v_max_f32_e32 v37, v37, v37
	v_max_f32_e32 v37, v37, v41
.LBB86_218:
	s_or_b64 exec, exec, s[12:13]
	s_mov_b32 s12, 0x3f200000
	v_cmp_nlt_f32_e64 s[12:13], |v13|, s12
                                        ; implicit-def: $vgpr41
	s_and_saveexec_b64 s[30:31], s[12:13]
	s_xor_b64 s[12:13], exec, s[30:31]
	s_cbranch_execz .LBB86_220
; %bb.219:
	v_add_f32_e64 v41, |v13|, |v13|
	v_mul_f32_e32 v47, 0x3fb8aa3b, v41
	s_mov_b32 s19, 0x3fb8aa3b
	v_rndne_f32_e32 v74, v47
	v_sub_f32_e32 v77, v47, v74
	v_fma_f32 v47, v41, s19, -v47
	v_fmamk_f32 v47, v41, 0x32a5705f, v47
	v_add_f32_e32 v47, v77, v47
	v_exp_f32_e32 v47, v47
	v_cvt_i32_f32_e32 v74, v74
	s_mov_b32 s19, 0xc2ce8ed0
	v_cmp_ngt_f32_e32 vcc, s19, v41
	s_mov_b32 s19, 0x42b17218
	v_ldexp_f32 v47, v47, v74
	v_cndmask_b32_e32 v47, 0, v47, vcc
	v_mov_b32_e32 v74, 0x7f800000
	v_cmp_nlt_f32_e32 vcc, s19, v41
	s_nop 1
	v_cndmask_b32_e32 v41, v74, v47, vcc
	v_add_f32_e32 v41, 1.0, v41
	v_rcp_f32_e32 v41, v41
	s_nop 0
	v_fma_f32 v41, v41, -2.0, 1.0
.LBB86_220:
	s_andn2_saveexec_b64 s[12:13], s[12:13]
; %bb.221:
	v_mul_f32_e32 v41, v13, v13
	v_mov_b32_e32 v47, 0x3ca908c9
	v_fmac_f32_e32 v47, 0xbbbac73d, v41
	v_fmaak_f32 v47, v41, v47, 0xbd5c1c4e
	v_fmaak_f32 v47, v41, v47, 0x3e088382
	;; [unrolled: 1-line block ×3, first 2 shown]
	v_mul_f32_e64 v47, |v13|, v47
	v_fma_f32 v41, v41, v47, |v13|
; %bb.222:
	s_or_b64 exec, exec, s[12:13]
	s_brev_b32 s12, -2
	v_bfi_b32 v13, s12, v41, v13
	v_mul_f32_e32 v13, s15, v13
	s_and_saveexec_b64 s[12:13], s[6:7]
	s_cbranch_execz .LBB86_227
; %bb.223:
	s_and_b64 vcc, exec, s[8:9]
	s_cbranch_vccnz .LBB86_225
; %bb.224:
	v_ashrrev_i32_e32 v47, 31, v46
	v_mov_b32_e32 v41, 0
	v_lshl_add_u64 v[46:47], v[46:47], 0, v[40:41]
	v_lshl_add_u64 v[46:47], v[46:47], 1, v[42:43]
	global_load_ushort v41, v[46:47], off offset:64
	s_waitcnt vmcnt(0)
	v_cvt_f32_f16_e32 v41, v41
	v_mul_f32_e32 v41, v69, v41
	s_branch .LBB86_226
.LBB86_225:
	v_mov_b32_e32 v41, 0
.LBB86_226:
	v_add_f32_e32 v13, v13, v41
	v_add_f32_e32 v41, 0x40051340, v13
	v_max_f32_e32 v37, v37, v37
	v_max_f32_e32 v37, v37, v41
.LBB86_227:
	s_or_b64 exec, exec, s[12:13]
	ds_bpermute_b32 v41, v87, v37
	v_max_f32_e32 v37, v37, v37
	s_mov_b32 s12, 0x3f200000
	v_cmp_nlt_f32_e64 s[12:13], |v6|, s12
                                        ; implicit-def: $vgpr47
	s_waitcnt lgkmcnt(0)
	v_max_f32_e32 v41, v41, v41
	v_max_f32_e32 v37, v37, v41
	ds_bpermute_b32 v41, v100, v37
	s_waitcnt lgkmcnt(0)
	v_max_f32_e32 v41, v41, v41
	v_max_f32_e32 v37, v37, v41
	ds_bpermute_b32 v41, v101, v37
	s_waitcnt lgkmcnt(0)
	v_max_f32_e32 v41, v41, v41
	v_max_f32_e32 v37, v37, v41
	ds_bpermute_b32 v41, v102, v37
	s_waitcnt lgkmcnt(0)
	v_max_f32_e32 v41, v41, v41
	v_max_f32_e32 v37, v37, v41
	ds_bpermute_b32 v41, v103, v37
	s_and_saveexec_b64 s[30:31], s[12:13]
	s_xor_b64 s[12:13], exec, s[30:31]
	s_cbranch_execz .LBB86_229
; %bb.228:
	v_add_f32_e64 v46, |v6|, |v6|
	v_mul_f32_e32 v47, 0x3fb8aa3b, v46
	s_mov_b32 s19, 0x3fb8aa3b
	v_rndne_f32_e32 v74, v47
	v_sub_f32_e32 v77, v47, v74
	v_fma_f32 v47, v46, s19, -v47
	v_fmamk_f32 v47, v46, 0x32a5705f, v47
	v_add_f32_e32 v47, v77, v47
	v_exp_f32_e32 v47, v47
	v_cvt_i32_f32_e32 v74, v74
	s_mov_b32 s19, 0xc2ce8ed0
	v_cmp_ngt_f32_e32 vcc, s19, v46
	s_mov_b32 s19, 0x42b17218
	v_ldexp_f32 v47, v47, v74
	v_cndmask_b32_e32 v47, 0, v47, vcc
	v_mov_b32_e32 v74, 0x7f800000
	v_cmp_nlt_f32_e32 vcc, s19, v46
	s_nop 1
	v_cndmask_b32_e32 v46, v74, v47, vcc
	v_add_f32_e32 v46, 1.0, v46
	v_rcp_f32_e32 v46, v46
	s_nop 0
	v_fma_f32 v47, v46, -2.0, 1.0
.LBB86_229:
	s_andn2_saveexec_b64 s[12:13], s[12:13]
; %bb.230:
	v_mul_f32_e32 v46, v6, v6
	v_mov_b32_e32 v47, 0x3ca908c9
	v_fmac_f32_e32 v47, 0xbbbac73d, v46
	v_fmaak_f32 v47, v46, v47, 0xbd5c1c4e
	v_fmaak_f32 v47, v46, v47, 0x3e088382
	;; [unrolled: 1-line block ×3, first 2 shown]
	v_mul_f32_e64 v47, |v6|, v47
	v_fma_f32 v47, v46, v47, |v6|
; %bb.231:
	s_or_b64 exec, exec, s[12:13]
	s_waitcnt lgkmcnt(0)
	v_max_f32_e32 v41, v41, v41
	v_max_f32_e32 v37, v37, v37
	;; [unrolled: 1-line block ×3, first 2 shown]
	v_mul_hi_u32 v41, s24, v71
	v_add_u32_e32 v41, v71, v41
	v_lshrrev_b32_e32 v41, s25, v41
	v_mul_lo_u32 v41, v41, s26
	v_sub_u32_e32 v41, v71, v41
	s_brev_b32 s12, -2
	v_mul_lo_u32 v41, v41, s29
	v_bfi_b32 v6, s12, v47, v6
	v_add_u32_e32 v46, s28, v41
	v_mul_f32_e32 v6, s15, v6
	s_and_saveexec_b64 s[12:13], s[4:5]
	s_cbranch_execz .LBB86_236
; %bb.232:
	s_and_b64 vcc, exec, s[8:9]
	s_cbranch_vccnz .LBB86_234
; %bb.233:
	v_add_u32_e32 v104, v46, v40
	v_ashrrev_i32_e32 v105, 31, v104
	v_lshl_add_u64 v[104:105], v[104:105], 1, v[42:43]
	global_load_ushort v41, v[104:105], off
	s_waitcnt vmcnt(0)
	v_cvt_f32_f16_e32 v41, v41
	v_mul_f32_e32 v41, v69, v41
	s_branch .LBB86_235
.LBB86_234:
	v_mov_b32_e32 v41, 0
.LBB86_235:
	v_add_f32_e32 v6, v6, v41
	v_add_f32_e32 v41, 0x40051340, v6
	v_max_f32_e32 v38, v38, v38
	v_max_f32_e32 v38, v38, v41
.LBB86_236:
	s_or_b64 exec, exec, s[12:13]
	s_mov_b32 s12, 0x3f200000
	v_cmp_nlt_f32_e64 s[12:13], |v14|, s12
                                        ; implicit-def: $vgpr41
	s_and_saveexec_b64 s[30:31], s[12:13]
	s_xor_b64 s[12:13], exec, s[30:31]
	s_cbranch_execz .LBB86_238
; %bb.237:
	v_add_f32_e64 v41, |v14|, |v14|
	v_mul_f32_e32 v47, 0x3fb8aa3b, v41
	s_mov_b32 s19, 0x3fb8aa3b
	v_rndne_f32_e32 v71, v47
	v_sub_f32_e32 v74, v47, v71
	v_fma_f32 v47, v41, s19, -v47
	v_fmamk_f32 v47, v41, 0x32a5705f, v47
	v_add_f32_e32 v47, v74, v47
	v_exp_f32_e32 v47, v47
	v_cvt_i32_f32_e32 v71, v71
	s_mov_b32 s19, 0xc2ce8ed0
	v_cmp_ngt_f32_e32 vcc, s19, v41
	s_mov_b32 s19, 0x42b17218
	v_ldexp_f32 v47, v47, v71
	v_cndmask_b32_e32 v47, 0, v47, vcc
	v_mov_b32_e32 v71, 0x7f800000
	v_cmp_nlt_f32_e32 vcc, s19, v41
	s_nop 1
	v_cndmask_b32_e32 v41, v71, v47, vcc
	v_add_f32_e32 v41, 1.0, v41
	v_rcp_f32_e32 v41, v41
	s_nop 0
	v_fma_f32 v41, v41, -2.0, 1.0
.LBB86_238:
	s_andn2_saveexec_b64 s[12:13], s[12:13]
; %bb.239:
	v_mul_f32_e32 v41, v14, v14
	v_mov_b32_e32 v47, 0x3ca908c9
	v_fmac_f32_e32 v47, 0xbbbac73d, v41
	v_fmaak_f32 v47, v41, v47, 0xbd5c1c4e
	v_fmaak_f32 v47, v41, v47, 0x3e088382
	;; [unrolled: 1-line block ×3, first 2 shown]
	v_mul_f32_e64 v47, |v14|, v47
	v_fma_f32 v41, v41, v47, |v14|
; %bb.240:
	s_or_b64 exec, exec, s[12:13]
	s_brev_b32 s12, -2
	v_bfi_b32 v14, s12, v41, v14
	v_mul_f32_e32 v14, s15, v14
	s_and_saveexec_b64 s[12:13], s[6:7]
	s_cbranch_execz .LBB86_245
; %bb.241:
	s_and_b64 vcc, exec, s[8:9]
	s_cbranch_vccnz .LBB86_243
; %bb.242:
	v_ashrrev_i32_e32 v47, 31, v46
	v_mov_b32_e32 v41, 0
	v_lshl_add_u64 v[46:47], v[46:47], 0, v[40:41]
	v_lshl_add_u64 v[46:47], v[46:47], 1, v[42:43]
	global_load_ushort v41, v[46:47], off offset:64
	s_waitcnt vmcnt(0)
	v_cvt_f32_f16_e32 v41, v41
	v_mul_f32_e32 v41, v69, v41
	s_branch .LBB86_244
.LBB86_243:
	v_mov_b32_e32 v41, 0
.LBB86_244:
	v_add_f32_e32 v14, v14, v41
	v_add_f32_e32 v41, 0x40051340, v14
	v_max_f32_e32 v38, v38, v38
	v_max_f32_e32 v38, v38, v41
.LBB86_245:
	s_or_b64 exec, exec, s[12:13]
	ds_bpermute_b32 v41, v87, v38
	v_max_f32_e32 v38, v38, v38
	s_mov_b32 s12, 0x3f200000
	v_cmp_nlt_f32_e64 s[12:13], |v7|, s12
                                        ; implicit-def: $vgpr47
	s_waitcnt lgkmcnt(0)
	v_max_f32_e32 v41, v41, v41
	v_max_f32_e32 v38, v38, v41
	ds_bpermute_b32 v41, v100, v38
	s_waitcnt lgkmcnt(0)
	v_max_f32_e32 v41, v41, v41
	v_max_f32_e32 v38, v38, v41
	ds_bpermute_b32 v41, v101, v38
	;; [unrolled: 4-line block ×4, first 2 shown]
	s_and_saveexec_b64 s[30:31], s[12:13]
	s_xor_b64 s[12:13], exec, s[30:31]
	s_cbranch_execz .LBB86_247
; %bb.246:
	v_add_f32_e64 v46, |v7|, |v7|
	v_mul_f32_e32 v47, 0x3fb8aa3b, v46
	s_mov_b32 s19, 0x3fb8aa3b
	v_rndne_f32_e32 v71, v47
	v_sub_f32_e32 v74, v47, v71
	v_fma_f32 v47, v46, s19, -v47
	v_fmamk_f32 v47, v46, 0x32a5705f, v47
	v_add_f32_e32 v47, v74, v47
	v_exp_f32_e32 v47, v47
	v_cvt_i32_f32_e32 v71, v71
	s_mov_b32 s19, 0xc2ce8ed0
	v_cmp_ngt_f32_e32 vcc, s19, v46
	s_mov_b32 s19, 0x42b17218
	v_ldexp_f32 v47, v47, v71
	v_cndmask_b32_e32 v47, 0, v47, vcc
	v_mov_b32_e32 v71, 0x7f800000
	v_cmp_nlt_f32_e32 vcc, s19, v46
	s_nop 1
	v_cndmask_b32_e32 v46, v71, v47, vcc
	v_add_f32_e32 v46, 1.0, v46
	v_rcp_f32_e32 v46, v46
	s_nop 0
	v_fma_f32 v47, v46, -2.0, 1.0
.LBB86_247:
	s_andn2_saveexec_b64 s[12:13], s[12:13]
; %bb.248:
	v_mul_f32_e32 v46, v7, v7
	v_mov_b32_e32 v47, 0x3ca908c9
	v_fmac_f32_e32 v47, 0xbbbac73d, v46
	v_fmaak_f32 v47, v46, v47, 0xbd5c1c4e
	v_fmaak_f32 v47, v46, v47, 0x3e088382
	;; [unrolled: 1-line block ×3, first 2 shown]
	v_mul_f32_e64 v47, |v7|, v47
	v_fma_f32 v47, v46, v47, |v7|
; %bb.249:
	s_or_b64 exec, exec, s[12:13]
	s_waitcnt lgkmcnt(0)
	v_max_f32_e32 v41, v41, v41
	v_max_f32_e32 v38, v38, v38
	;; [unrolled: 1-line block ×3, first 2 shown]
	v_mul_hi_u32 v41, s24, v70
	v_add_u32_e32 v41, v70, v41
	v_lshrrev_b32_e32 v41, s25, v41
	v_mul_lo_u32 v41, v41, s26
	v_sub_u32_e32 v41, v70, v41
	s_brev_b32 s12, -2
	v_mul_lo_u32 v41, v41, s29
	v_bfi_b32 v7, s12, v47, v7
	v_add_u32_e32 v46, s28, v41
	v_mul_f32_e32 v7, s15, v7
	s_and_saveexec_b64 s[12:13], s[4:5]
	s_cbranch_execz .LBB86_254
; %bb.250:
	s_and_b64 vcc, exec, s[8:9]
	s_cbranch_vccnz .LBB86_252
; %bb.251:
	v_add_u32_e32 v70, v46, v40
	v_ashrrev_i32_e32 v71, 31, v70
	v_lshl_add_u64 v[70:71], v[70:71], 1, v[42:43]
	global_load_ushort v41, v[70:71], off
	s_waitcnt vmcnt(0)
	v_cvt_f32_f16_e32 v41, v41
	v_mul_f32_e32 v41, v69, v41
	s_branch .LBB86_253
.LBB86_252:
	v_mov_b32_e32 v41, 0
.LBB86_253:
	v_add_f32_e32 v7, v7, v41
	v_add_f32_e32 v41, 0x40051340, v7
	v_max_f32_e32 v39, v39, v39
	v_max_f32_e32 v39, v39, v41
.LBB86_254:
	s_or_b64 exec, exec, s[12:13]
	s_mov_b32 s4, 0x3f200000
	v_cmp_nlt_f32_e64 s[4:5], |v15|, s4
                                        ; implicit-def: $vgpr41
	s_and_saveexec_b64 s[12:13], s[4:5]
	s_xor_b64 s[4:5], exec, s[12:13]
	s_cbranch_execz .LBB86_256
; %bb.255:
	v_add_f32_e64 v41, |v15|, |v15|
	v_mul_f32_e32 v47, 0x3fb8aa3b, v41
	s_mov_b32 s12, 0x3fb8aa3b
	v_rndne_f32_e32 v70, v47
	v_sub_f32_e32 v71, v47, v70
	v_fma_f32 v47, v41, s12, -v47
	v_fmamk_f32 v47, v41, 0x32a5705f, v47
	v_add_f32_e32 v47, v71, v47
	v_exp_f32_e32 v47, v47
	v_cvt_i32_f32_e32 v70, v70
	s_mov_b32 s12, 0xc2ce8ed0
	v_cmp_ngt_f32_e32 vcc, s12, v41
	s_mov_b32 s12, 0x42b17218
	v_ldexp_f32 v47, v47, v70
	v_cndmask_b32_e32 v47, 0, v47, vcc
	v_mov_b32_e32 v70, 0x7f800000
	v_cmp_nlt_f32_e32 vcc, s12, v41
	s_nop 1
	v_cndmask_b32_e32 v41, v70, v47, vcc
	v_add_f32_e32 v41, 1.0, v41
	v_rcp_f32_e32 v41, v41
	s_nop 0
	v_fma_f32 v41, v41, -2.0, 1.0
.LBB86_256:
	s_andn2_saveexec_b64 s[4:5], s[4:5]
; %bb.257:
	v_mul_f32_e32 v41, v15, v15
	v_mov_b32_e32 v47, 0x3ca908c9
	v_fmac_f32_e32 v47, 0xbbbac73d, v41
	v_fmaak_f32 v47, v41, v47, 0xbd5c1c4e
	v_fmaak_f32 v47, v41, v47, 0x3e088382
	;; [unrolled: 1-line block ×3, first 2 shown]
	v_mul_f32_e64 v47, |v15|, v47
	v_fma_f32 v41, v41, v47, |v15|
; %bb.258:
	s_or_b64 exec, exec, s[4:5]
	s_brev_b32 s4, -2
	v_bfi_b32 v15, s4, v41, v15
	v_mul_f32_e32 v15, s15, v15
	s_and_saveexec_b64 s[4:5], s[6:7]
	s_cbranch_execz .LBB86_263
; %bb.259:
	s_and_b64 vcc, exec, s[8:9]
	s_cbranch_vccnz .LBB86_261
; %bb.260:
	v_ashrrev_i32_e32 v47, 31, v46
	v_mov_b32_e32 v41, 0
	v_lshl_add_u64 v[46:47], v[46:47], 0, v[40:41]
	v_lshl_add_u64 v[42:43], v[46:47], 1, v[42:43]
	global_load_ushort v41, v[42:43], off offset:64
	s_waitcnt vmcnt(0)
	v_cvt_f32_f16_e32 v41, v41
	v_mul_f32_e32 v41, v69, v41
	s_branch .LBB86_262
.LBB86_261:
	v_mov_b32_e32 v41, 0
.LBB86_262:
	v_add_f32_e32 v15, v15, v41
	v_add_f32_e32 v41, 0x40051340, v15
	v_max_f32_e32 v39, v39, v39
	v_max_f32_e32 v39, v39, v41
.LBB86_263:
	s_or_b64 exec, exec, s[4:5]
	v_sub_f32_e32 v42, v12, v36
	ds_bpermute_b32 v12, v87, v39
	v_max_f32_e32 v39, v39, v39
	v_sub_f32_e32 v0, v0, v32
	s_mov_b32 s12, 0x3fb8aa3b
	v_mul_f32_e32 v41, 0x3fb8aa3b, v0
	s_waitcnt lgkmcnt(0)
	v_max_f32_e32 v12, v12, v12
	v_max_f32_e32 v12, v39, v12
	ds_bpermute_b32 v39, v100, v12
	v_fma_f32 v43, v0, s12, -v41
	v_rndne_f32_e32 v46, v41
	v_fmac_f32_e32 v43, 0x32a5705f, v0
	v_sub_f32_e32 v41, v41, v46
	s_waitcnt lgkmcnt(0)
	v_max_f32_e32 v39, v39, v39
	v_max_f32_e32 v12, v12, v39
	ds_bpermute_b32 v39, v101, v12
	v_sub_f32_e32 v8, v8, v32
	s_mov_b32 s13, 0xc2ce8ed0
	v_cmp_ngt_f32_e32 vcc, s13, v0
	s_mov_b32 s15, 0x42b17218
	s_waitcnt lgkmcnt(0)
	v_max_f32_e32 v39, v39, v39
	v_max_f32_e32 v12, v12, v39
	ds_bpermute_b32 v39, v102, v12
	v_cmp_ngt_f32_e64 s[4:5], s13, v8
	v_sub_f32_e32 v1, v1, v33
	v_sub_f32_e32 v9, v9, v33
	;; [unrolled: 1-line block ×3, first 2 shown]
	s_waitcnt lgkmcnt(0)
	v_max_f32_e32 v39, v39, v39
	v_max_f32_e32 v12, v12, v39
	ds_bpermute_b32 v39, v103, v12
	v_sub_f32_e32 v10, v10, v34
	v_sub_f32_e32 v3, v3, v35
	v_sub_f32_e32 v11, v11, v35
	v_sub_f32_e32 v4, v4, v36
	s_waitcnt lgkmcnt(0)
	v_max_f32_e32 v39, v39, v39
	v_max_f32_e32 v39, v12, v39
	v_add_f32_e32 v12, v41, v43
	v_exp_f32_e32 v41, v12
	v_cvt_i32_f32_e32 v43, v46
	v_sub_f32_e32 v46, v24, v32
	v_cmp_ngt_f32_e64 s[6:7], s13, v46
	v_sub_f32_e32 v5, v5, v37
	v_ldexp_f32 v24, v41, v43
	v_mul_f32_e32 v43, 0x3fb8aa3b, v8
	v_fma_f32 v47, v8, s12, -v43
	v_rndne_f32_e32 v69, v43
	v_fmac_f32_e32 v47, 0x32a5705f, v8
	v_sub_f32_e32 v43, v43, v69
	v_add_f32_e32 v43, v43, v47
	v_exp_f32_e32 v43, v43
	v_cvt_i32_f32_e32 v47, v69
	v_cndmask_b32_e32 v41, 0, v24, vcc
	v_mov_b32_e32 v24, 0x7f800000
	v_cmp_nlt_f32_e32 vcc, s15, v0
	v_lshlrev_b32_e32 v12, 10, v66
	s_nop 0
	v_cndmask_b32_e32 v0, v24, v41, vcc
	v_cmp_gt_u32_e32 vcc, s18, v40
	v_mul_f32_e32 v41, 0x3fb8aa3b, v46
	s_barrier
	v_cndmask_b32_e32 v69, 0, v0, vcc
	v_ldexp_f32 v0, v43, v47
	v_fma_f32 v43, v46, s12, -v41
	v_rndne_f32_e32 v47, v41
	v_fmac_f32_e32 v43, 0x32a5705f, v46
	v_sub_f32_e32 v41, v41, v47
	v_add_f32_e32 v41, v41, v43
	v_exp_f32_e32 v41, v41
	v_cvt_i32_f32_e32 v43, v47
	v_cndmask_b32_e64 v0, 0, v0, s[4:5]
	v_cmp_nlt_f32_e64 s[4:5], s15, v8
	s_mov_b64 s[8:9], src_private_base
	s_nop 0
	v_cndmask_b32_e64 v0, v24, v0, s[4:5]
	v_cmp_gt_u32_e64 s[4:5], s18, v99
	s_mov_b32 s8, 0x10001
	s_nop 0
	v_cndmask_b32_e64 v8, 0, v0, s[4:5]
	v_ldexp_f32 v0, v41, v43
	v_cndmask_b32_e64 v0, 0, v0, s[6:7]
	v_cmp_nlt_f32_e64 s[6:7], s15, v46
	s_nop 1
	v_cndmask_b32_e64 v41, v24, v0, s[6:7]
	v_cvt_f16_f32_e32 v43, v41
	v_add_f32_e32 v0, v69, v8
	v_fmac_f32_e32 v0, v16, v41
	v_mul_f32_e32 v41, 0x3fb8aa3b, v1
	v_mul_u32_u24_e32 v16, 0x10001, v43
	v_fma_f32 v43, v1, s12, -v41
	v_rndne_f32_e32 v46, v41
	v_fmac_f32_e32 v43, 0x32a5705f, v1
	v_sub_f32_e32 v41, v41, v46
	v_add_f32_e32 v41, v41, v43
	v_exp_f32_e32 v43, v41
	v_cvt_i32_f32_e32 v46, v46
	v_pk_mul_f16 v47, v90, v16
	v_pk_mul_f16 v41, v91, v16
	v_sub_f32_e32 v16, v25, v33
	v_ldexp_f32 v25, v43, v46
	v_mul_f32_e32 v43, 0x3fb8aa3b, v9
	v_fma_f32 v46, v9, s12, -v43
	v_rndne_f32_e32 v70, v43
	v_fmac_f32_e32 v46, 0x32a5705f, v9
	v_sub_f32_e32 v43, v43, v70
	v_add_f32_e32 v43, v43, v46
	v_exp_f32_e32 v43, v43
	v_cvt_i32_f32_e32 v46, v70
	v_cmp_ngt_f32_e64 s[6:7], s13, v1
	s_nop 1
	v_cndmask_b32_e64 v25, 0, v25, s[6:7]
	v_cmp_nlt_f32_e64 s[6:7], s15, v1
	s_nop 1
	v_cndmask_b32_e64 v1, v24, v25, s[6:7]
	v_cndmask_b32_e32 v25, 0, v1, vcc
	v_ldexp_f32 v1, v43, v46
	v_mul_f32_e32 v43, 0x3fb8aa3b, v16
	v_fma_f32 v46, v16, s12, -v43
	v_rndne_f32_e32 v70, v43
	v_fmac_f32_e32 v46, 0x32a5705f, v16
	v_sub_f32_e32 v43, v43, v70
	v_add_f32_e32 v43, v43, v46
	v_exp_f32_e32 v43, v43
	v_cvt_i32_f32_e32 v46, v70
	v_cmp_ngt_f32_e64 s[6:7], s13, v9
	s_nop 1
	v_cndmask_b32_e64 v1, 0, v1, s[6:7]
	v_cmp_nlt_f32_e64 s[6:7], s15, v9
	v_ldexp_f32 v9, v43, v46
	s_nop 0
	v_cndmask_b32_e64 v1, v24, v1, s[6:7]
	v_cmp_ngt_f32_e64 s[6:7], s13, v16
	v_cndmask_b32_e64 v43, 0, v1, s[4:5]
	v_add_f32_e32 v1, v25, v43
	v_cndmask_b32_e64 v9, 0, v9, s[6:7]
	v_cmp_nlt_f32_e64 s[6:7], s15, v16
	s_nop 1
	v_cndmask_b32_e64 v9, v24, v9, s[6:7]
	v_cvt_f16_f32_e32 v16, v9
	v_fmac_f32_e32 v1, v17, v9
	v_cmp_ngt_f32_e64 s[6:7], s13, v2
	v_mul_u32_u24_e32 v9, 0x10001, v16
	v_mul_f32_e32 v16, 0x3fb8aa3b, v2
	v_fma_f32 v17, v2, s12, -v16
	v_rndne_f32_e32 v46, v16
	v_fmac_f32_e32 v17, 0x32a5705f, v2
	v_sub_f32_e32 v16, v16, v46
	v_add_f32_e32 v16, v16, v17
	v_exp_f32_e32 v16, v16
	v_cvt_i32_f32_e32 v17, v46
	v_pk_mul_f16 v46, v88, v9
	v_pk_mul_f16 v74, v89, v9
	v_sub_f32_e32 v9, v26, v34
	v_ldexp_f32 v16, v16, v17
	v_mul_f32_e32 v17, 0x3fb8aa3b, v10
	v_fma_f32 v26, v10, s12, -v17
	v_rndne_f32_e32 v70, v17
	v_fmac_f32_e32 v26, 0x32a5705f, v10
	v_sub_f32_e32 v17, v17, v70
	v_add_f32_e32 v17, v17, v26
	v_exp_f32_e32 v17, v17
	v_cvt_i32_f32_e32 v26, v70
	v_cndmask_b32_e64 v16, 0, v16, s[6:7]
	v_cmp_nlt_f32_e64 s[6:7], s15, v2
	s_nop 1
	v_cndmask_b32_e64 v2, v24, v16, s[6:7]
	v_cndmask_b32_e32 v16, 0, v2, vcc
	v_ldexp_f32 v2, v17, v26
	v_mul_f32_e32 v17, 0x3fb8aa3b, v9
	v_fma_f32 v26, v9, s12, -v17
	v_rndne_f32_e32 v70, v17
	v_fmac_f32_e32 v26, 0x32a5705f, v9
	v_sub_f32_e32 v17, v17, v70
	v_add_f32_e32 v17, v17, v26
	v_exp_f32_e32 v17, v17
	v_cvt_i32_f32_e32 v26, v70
	v_cmp_ngt_f32_e64 s[6:7], s13, v10
	s_nop 1
	v_cndmask_b32_e64 v2, 0, v2, s[6:7]
	v_cmp_nlt_f32_e64 s[6:7], s15, v10
	v_ldexp_f32 v10, v17, v26
	s_nop 0
	v_cndmask_b32_e64 v2, v24, v2, s[6:7]
	v_cmp_ngt_f32_e64 s[6:7], s13, v9
	v_cndmask_b32_e64 v17, 0, v2, s[4:5]
	v_add_f32_e32 v2, v16, v17
	v_cndmask_b32_e64 v10, 0, v10, s[6:7]
	v_cmp_nlt_f32_e64 s[6:7], s15, v9
	s_nop 1
	v_cndmask_b32_e64 v9, v24, v10, s[6:7]
	v_cvt_f16_f32_e32 v10, v9
	v_fmac_f32_e32 v2, v18, v9
	v_cmp_ngt_f32_e64 s[6:7], s13, v3
	v_mul_u32_u24_e32 v9, 0x10001, v10
	v_mul_f32_e32 v10, 0x3fb8aa3b, v3
	v_fma_f32 v18, v3, s12, -v10
	v_rndne_f32_e32 v26, v10
	v_fmac_f32_e32 v18, 0x32a5705f, v3
	v_sub_f32_e32 v10, v10, v26
	v_add_f32_e32 v10, v10, v18
	v_exp_f32_e32 v10, v10
	v_cvt_i32_f32_e32 v18, v26
	v_pk_mul_f16 v77, v84, v9
	v_pk_mul_f16 v81, v85, v9
	v_sub_f32_e32 v9, v27, v35
	v_ldexp_f32 v10, v10, v18
	v_mul_f32_e32 v18, 0x3fb8aa3b, v11
	v_fma_f32 v26, v11, s12, -v18
	v_rndne_f32_e32 v27, v18
	v_fmac_f32_e32 v26, 0x32a5705f, v11
	v_sub_f32_e32 v18, v18, v27
	v_add_f32_e32 v18, v18, v26
	v_exp_f32_e32 v18, v18
	v_cvt_i32_f32_e32 v26, v27
	v_cndmask_b32_e64 v10, 0, v10, s[6:7]
	v_cmp_nlt_f32_e64 s[6:7], s15, v3
	s_nop 1
	v_cndmask_b32_e64 v3, v24, v10, s[6:7]
	v_cndmask_b32_e32 v10, 0, v3, vcc
	v_ldexp_f32 v3, v18, v26
	v_mul_f32_e32 v18, 0x3fb8aa3b, v9
	v_fma_f32 v26, v9, s12, -v18
	v_rndne_f32_e32 v27, v18
	v_fmac_f32_e32 v26, 0x32a5705f, v9
	v_sub_f32_e32 v18, v18, v27
	v_add_f32_e32 v18, v18, v26
	v_exp_f32_e32 v18, v18
	v_cvt_i32_f32_e32 v26, v27
	v_cmp_ngt_f32_e64 s[6:7], s13, v11
	v_ldexp_f32 v18, v18, v26
	v_mul_f32_e32 v26, 0x3fb8aa3b, v4
	v_fma_f32 v27, v4, s12, -v26
	v_rndne_f32_e32 v70, v26
	v_fmac_f32_e32 v27, 0x32a5705f, v4
	v_sub_f32_e32 v26, v26, v70
	v_add_f32_e32 v26, v26, v27
	v_cndmask_b32_e64 v3, 0, v3, s[6:7]
	v_cmp_nlt_f32_e64 s[6:7], s15, v11
	v_exp_f32_e32 v26, v26
	v_cvt_i32_f32_e32 v27, v70
	v_cndmask_b32_e64 v3, v24, v3, s[6:7]
	v_cmp_ngt_f32_e64 s[6:7], s13, v9
	v_cndmask_b32_e64 v11, 0, v3, s[4:5]
	v_add_f32_e32 v3, v10, v11
	v_cndmask_b32_e64 v18, 0, v18, s[6:7]
	v_cmp_nlt_f32_e64 s[6:7], s15, v9
	s_nop 1
	v_cndmask_b32_e64 v9, v24, v18, s[6:7]
	v_cvt_f16_f32_e32 v18, v9
	v_fmac_f32_e32 v3, v19, v9
	v_ldexp_f32 v9, v26, v27
	v_mul_f32_e32 v26, 0x3fb8aa3b, v42
	v_sub_f32_e32 v19, v28, v36
	v_fma_f32 v27, v42, s12, -v26
	v_rndne_f32_e32 v28, v26
	v_fmac_f32_e32 v27, 0x32a5705f, v42
	v_sub_f32_e32 v26, v26, v28
	v_add_f32_e32 v26, v26, v27
	v_exp_f32_e32 v26, v26
	v_cvt_i32_f32_e32 v27, v28
	v_cmp_ngt_f32_e64 s[6:7], s13, v4
	v_mul_f32_e32 v71, 0x3fb8aa3b, v19
	v_fma_f32 v83, v19, s12, -v71
	v_cndmask_b32_e64 v9, 0, v9, s[6:7]
	v_cmp_nlt_f32_e64 s[6:7], s15, v4
	v_fmac_f32_e32 v83, 0x32a5705f, v19
	v_mul_u32_u24_e32 v18, 0x10001, v18
	v_cndmask_b32_e64 v4, v24, v9, s[6:7]
	v_cndmask_b32_e32 v70, 0, v4, vcc
	v_ldexp_f32 v4, v26, v27
	v_cmp_ngt_f32_e64 s[6:7], s13, v42
	v_pk_mul_f16 v80, v80, v18
	v_pk_mul_f16 v82, v82, v18
	v_cndmask_b32_e64 v4, 0, v4, s[6:7]
	v_cmp_nlt_f32_e64 s[6:7], s15, v42
	s_nop 1
	v_cndmask_b32_e64 v4, v24, v4, s[6:7]
	v_cndmask_b32_e64 v42, 0, v4, s[4:5]
	v_mul_f32_e32 v4, 0x3fb8aa3b, v5
	v_fma_f32 v9, v5, s12, -v4
	v_rndne_f32_e32 v26, v4
	v_fmac_f32_e32 v9, 0x32a5705f, v5
	v_sub_f32_e32 v4, v4, v26
	v_add_f32_e32 v4, v4, v9
	v_exp_f32_e32 v4, v4
	v_cvt_i32_f32_e32 v9, v26
	v_cmp_ngt_f32_e64 s[6:7], s13, v5
	v_ldexp_f32 v4, v4, v9
	v_sub_f32_e32 v9, v13, v37
	v_mul_f32_e32 v13, 0x3fb8aa3b, v9
	v_fma_f32 v26, v9, s12, -v13
	v_rndne_f32_e32 v27, v13
	v_fmac_f32_e32 v26, 0x32a5705f, v9
	v_sub_f32_e32 v13, v13, v27
	v_add_f32_e32 v13, v13, v26
	v_exp_f32_e32 v13, v13
	v_cvt_i32_f32_e32 v26, v27
	v_cndmask_b32_e64 v4, 0, v4, s[6:7]
	v_cmp_nlt_f32_e64 s[6:7], s15, v5
	v_sub_f32_e32 v5, v6, v38
	v_mul_f32_e32 v6, 0x3fb8aa3b, v5
	v_cndmask_b32_e64 v4, v24, v4, s[6:7]
	v_cndmask_b32_e32 v84, 0, v4, vcc
	v_ldexp_f32 v4, v13, v26
	v_fma_f32 v13, v5, s12, -v6
	v_rndne_f32_e32 v26, v6
	v_fmac_f32_e32 v13, 0x32a5705f, v5
	v_sub_f32_e32 v6, v6, v26
	v_add_f32_e32 v6, v6, v13
	v_exp_f32_e32 v6, v6
	v_cvt_i32_f32_e32 v13, v26
	v_cmp_ngt_f32_e64 s[6:7], s13, v9
	s_nop 1
	v_cndmask_b32_e64 v4, 0, v4, s[6:7]
	v_cmp_nlt_f32_e64 s[6:7], s15, v9
	s_nop 1
	v_cndmask_b32_e64 v4, v24, v4, s[6:7]
	v_cndmask_b32_e64 v85, 0, v4, s[4:5]
	v_ldexp_f32 v4, v6, v13
	v_sub_f32_e32 v6, v14, v38
	v_mul_f32_e32 v9, 0x3fb8aa3b, v6
	v_fma_f32 v13, v6, s12, -v9
	v_rndne_f32_e32 v14, v9
	v_fmac_f32_e32 v13, 0x32a5705f, v6
	v_sub_f32_e32 v9, v9, v14
	v_add_f32_e32 v9, v9, v13
	v_exp_f32_e32 v9, v9
	v_cvt_i32_f32_e32 v13, v14
	v_cmp_ngt_f32_e64 s[6:7], s13, v5
	s_nop 1
	v_cndmask_b32_e64 v4, 0, v4, s[6:7]
	v_cmp_nlt_f32_e64 s[6:7], s15, v5
	v_sub_f32_e32 v5, v7, v39
	v_mul_f32_e32 v7, 0x3fb8aa3b, v5
	v_cndmask_b32_e64 v4, v24, v4, s[6:7]
	v_cndmask_b32_e32 v86, 0, v4, vcc
	v_ldexp_f32 v4, v9, v13
	v_fma_f32 v9, v5, s12, -v7
	v_rndne_f32_e32 v13, v7
	v_fmac_f32_e32 v9, 0x32a5705f, v5
	v_sub_f32_e32 v7, v7, v13
	v_add_f32_e32 v7, v7, v9
	v_exp_f32_e32 v7, v7
	v_cvt_i32_f32_e32 v9, v13
	v_cmp_ngt_f32_e64 s[6:7], s13, v6
	s_nop 1
	v_cndmask_b32_e64 v4, 0, v4, s[6:7]
	v_cmp_nlt_f32_e64 s[6:7], s15, v6
	v_sub_f32_e32 v6, v15, v39
	v_mov_b32_e32 v15, s9
	v_cndmask_b32_e64 v4, v24, v4, s[6:7]
	v_cndmask_b32_e64 v13, 0, v4, s[4:5]
	v_ldexp_f32 v4, v7, v9
	v_mul_f32_e32 v7, 0x3fb8aa3b, v6
	v_fma_f32 v9, v6, s12, -v7
	v_rndne_f32_e32 v14, v7
	v_fmac_f32_e32 v9, 0x32a5705f, v6
	v_sub_f32_e32 v7, v7, v14
	v_add_f32_e32 v7, v7, v9
	v_exp_f32_e32 v7, v7
	v_cvt_i32_f32_e32 v9, v14
	v_cmp_ngt_f32_e64 s[6:7], s13, v5
	s_nop 1
	v_cndmask_b32_e64 v4, 0, v4, s[6:7]
	v_cmp_nlt_f32_e64 s[6:7], s15, v5
	v_cvt_pk_f16_f32 v5, v16, v10
	s_nop 0
	v_cndmask_b32_e64 v4, v24, v4, s[6:7]
	v_cndmask_b32_e32 v87, 0, v4, vcc
	v_ldexp_f32 v4, v7, v9
	v_cmp_ngt_f32_e32 vcc, s13, v6
	v_add_u32_e32 v9, 0x4000, v12
	v_lshl_add_u32 v14, v40, 4, v9
	v_cndmask_b32_e32 v4, 0, v4, vcc
	v_cmp_nlt_f32_e32 vcc, s15, v6
	v_cvt_pk_f16_f32 v7, v86, v87
	v_cvt_pk_f16_f32 v6, v70, v84
	v_cndmask_b32_e32 v4, v24, v4, vcc
	v_cndmask_b32_e64 v88, 0, v4, s[4:5]
	v_cvt_pk_f16_f32 v4, v69, v25
	ds_write_b128 v14, v[4:7]
	v_lshl_add_u32 v9, v99, 4, v9
	v_cvt_pk_f16_f32 v7, v13, v88
	v_cvt_pk_f16_f32 v6, v42, v85
	;; [unrolled: 1-line block ×4, first 2 shown]
	v_lshl_add_u32 v14, v66, 1, v68
	ds_write_b128 v9, v[4:7]
	v_mul_lo_u32 v4, s2, v14
	v_ashrrev_i32_e32 v5, 31, v4
	s_mov_b32 s4, 0
	v_lshl_add_u64 v[4:5], v[4:5], 2, s[10:11]
	v_lshlrev_b32_e32 v8, 2, v67
	v_mov_b32_e32 v9, 0
	s_mov_b32 s6, s4
	v_lshl_add_u64 v[10:11], v[4:5], 0, v[8:9]
	s_mul_hi_i32 s11, s28, s2
	s_mul_i32 s10, s28, s2
	s_mov_b32 s5, s4
	v_mov_b32_e32 v28, s6
	v_mov_b32_e32 v27, s5
	;; [unrolled: 1-line block ×3, first 2 shown]
	v_lshl_add_u64 v[4:5], s[10:11], 2, v[10:11]
	v_cmp_gt_i32_e32 vcc, s18, v14
	v_mov_b32_e32 v17, 0
	scratch_store_dword off, v9, off
	scratch_store_dwordx3 off, v[26:28], off offset:4
	v_cndmask_b32_e32 v5, v15, v5, vcc
	v_cndmask_b32_e32 v4, v17, v4, vcc
	flat_load_dwordx4 v[66:69], v[4:5]
	v_rndne_f32_e32 v4, v71
	v_sub_f32_e32 v5, v71, v4
	v_add_f32_e32 v5, v5, v83
	v_exp_f32_e32 v5, v5
	v_cvt_i32_f32_e32 v6, v4
	v_sub_f32_e32 v7, v29, v37
	v_cmp_ngt_f32_e32 vcc, s13, v19
	v_mul_f32_e32 v16, 0x3fb8aa3b, v7
	v_ldexp_f32 v5, v5, v6
	v_cndmask_b32_e32 v5, 0, v5, vcc
	v_cmp_nlt_f32_e32 vcc, s15, v19
	v_fma_f32 v18, v7, s12, -v16
	v_rndne_f32_e32 v19, v16
	v_fmac_f32_e32 v18, 0x32a5705f, v7
	v_sub_f32_e32 v16, v16, v19
	v_cndmask_b32_e32 v5, v24, v5, vcc
	v_add_f32_e32 v16, v16, v18
	v_cvt_f16_f32_e32 v6, v5
	v_exp_f32_e32 v16, v16
	v_cvt_i32_f32_e32 v18, v19
	v_add_f32_e32 v4, v70, v42
	v_fmac_f32_e32 v4, v20, v5
	v_mul_u32_u24_e32 v5, 0x10001, v6
	v_ldexp_f32 v6, v16, v18
	v_cmp_ngt_f32_e32 vcc, s13, v7
	v_pk_mul_f16 v29, v78, v5
	v_pk_mul_f16 v78, v79, v5
	v_cndmask_b32_e32 v6, 0, v6, vcc
	v_cmp_nlt_f32_e32 vcc, s15, v7
	v_add_f32_e32 v5, v84, v85
	s_or_b32 s4, s28, 16
	v_cndmask_b32_e32 v6, v24, v6, vcc
	v_cvt_f16_f32_e32 v7, v6
	v_fmac_f32_e32 v5, v21, v6
	s_mul_hi_i32 s5, s4, s2
	s_mul_i32 s4, s4, s2
	v_mul_u32_u24_e32 v6, 0x10001, v7
	v_sub_f32_e32 v7, v30, v38
	v_mul_f32_e32 v16, 0x3fb8aa3b, v7
	v_fma_f32 v18, v7, s12, -v16
	v_rndne_f32_e32 v19, v16
	v_fmac_f32_e32 v18, 0x32a5705f, v7
	v_sub_f32_e32 v16, v16, v19
	v_add_f32_e32 v16, v16, v18
	v_exp_f32_e32 v16, v16
	v_cvt_i32_f32_e32 v18, v19
	v_pk_mul_f16 v30, v75, v6
	v_pk_mul_f16 v75, v76, v6
	v_add_f32_e32 v6, v86, v13
	v_ldexp_f32 v13, v16, v18
	v_sub_f32_e32 v16, v31, v39
	v_mul_f32_e32 v18, 0x3fb8aa3b, v16
	v_cmp_ngt_f32_e32 vcc, s13, v7
	v_fma_f32 v19, v16, s12, -v18
	v_rndne_f32_e32 v20, v18
	v_cndmask_b32_e32 v13, 0, v13, vcc
	v_cmp_nlt_f32_e32 vcc, s15, v7
	v_fmac_f32_e32 v19, 0x32a5705f, v16
	v_sub_f32_e32 v18, v18, v20
	v_cndmask_b32_e32 v7, v24, v13, vcc
	v_add_f32_e32 v18, v18, v19
	v_cvt_f16_f32_e32 v13, v7
	v_exp_f32_e32 v18, v18
	v_cvt_i32_f32_e32 v19, v20
	v_fmac_f32_e32 v6, v22, v7
	v_mul_u32_u24_e32 v7, 0x10001, v13
	v_cmp_ngt_f32_e32 vcc, s13, v16
	v_ldexp_f32 v13, v18, v19
	v_pk_mul_f16 v31, v72, v7
	v_cndmask_b32_e32 v13, 0, v13, vcc
	v_cmp_nlt_f32_e32 vcc, s15, v16
	v_pk_mul_f16 v76, v73, v7
	v_add_f32_e32 v7, v87, v88
	v_cndmask_b32_e32 v13, v24, v13, vcc
	v_cvt_f16_f32_e32 v16, v13
	v_fmac_f32_e32 v7, v23, v13
	s_add_i32 s6, s18, -16
	v_cmp_gt_i32_e32 vcc, s6, v14
	v_mul_u32_u24_e32 v13, 0x10001, v16
	v_lshl_or_b32 v16, v14, 8, v8
	v_pk_mul_f16 v79, v44, v13
	v_pk_mul_f16 v83, v45, v13
	s_waitcnt vmcnt(0) lgkmcnt(0)
	ds_write_b128 v16, v[66:69] offset:24576
	s_waitcnt lgkmcnt(0)
	s_barrier
	v_add_u32_e32 v13, 0x6000, v65
	ds_read_b128 v[18:21], v12 offset:16384
	ds_read2_b64 v[22:25], v13 offset1:32
	ds_read_b128 v[42:45], v12 offset:16400
	ds_read_b128 v[66:69], v12 offset:16416
	ds_read_b128 v[70:73], v12 offset:16432
	s_waitcnt lgkmcnt(4)
	v_mul_u32_u24_sdwa v8, v18, s8 dst_sel:DWORD dst_unused:UNUSED_PAD src0_sel:WORD_0 src1_sel:DWORD
	v_mul_u32_u24_sdwa v18, v18, s8 dst_sel:DWORD dst_unused:UNUSED_PAD src0_sel:WORD_1 src1_sel:DWORD
	v_mul_u32_u24_sdwa v84, v19, s8 dst_sel:DWORD dst_unused:UNUSED_PAD src0_sel:WORD_0 src1_sel:DWORD
	v_mul_u32_u24_sdwa v19, v19, s8 dst_sel:DWORD dst_unused:UNUSED_PAD src0_sel:WORD_1 src1_sel:DWORD
	v_mul_u32_u24_sdwa v85, v20, s8 dst_sel:DWORD dst_unused:UNUSED_PAD src0_sel:WORD_0 src1_sel:DWORD
	v_mul_u32_u24_sdwa v20, v20, s8 dst_sel:DWORD dst_unused:UNUSED_PAD src0_sel:WORD_1 src1_sel:DWORD
	v_mul_u32_u24_sdwa v86, v21, s8 dst_sel:DWORD dst_unused:UNUSED_PAD src0_sel:WORD_0 src1_sel:DWORD
	v_mul_u32_u24_sdwa v21, v21, s8 dst_sel:DWORD dst_unused:UNUSED_PAD src0_sel:WORD_1 src1_sel:DWORD
	s_waitcnt lgkmcnt(3)
	v_pk_fma_f16 v47, v22, v8, v47
	v_pk_fma_f16 v46, v22, v18, v46
	;; [unrolled: 1-line block ×16, first 2 shown]
	s_waitcnt lgkmcnt(2)
	v_mul_u32_u24_sdwa v23, v42, s8 dst_sel:DWORD dst_unused:UNUSED_PAD src0_sel:WORD_0 src1_sel:DWORD
	v_mul_u32_u24_sdwa v42, v42, s8 dst_sel:DWORD dst_unused:UNUSED_PAD src0_sel:WORD_1 src1_sel:DWORD
	v_mul_u32_u24_sdwa v76, v43, s8 dst_sel:DWORD dst_unused:UNUSED_PAD src0_sel:WORD_0 src1_sel:DWORD
	v_mul_u32_u24_sdwa v43, v43, s8 dst_sel:DWORD dst_unused:UNUSED_PAD src0_sel:WORD_1 src1_sel:DWORD
	;; [unrolled: 2-line block ×4, first 2 shown]
	v_pk_fma_f16 v47, v24, v23, v47
	v_pk_fma_f16 v46, v24, v42, v46
	;; [unrolled: 1-line block ×16, first 2 shown]
	ds_read2_b64 v[18:21], v13 offset0:64 offset1:96
	s_waitcnt lgkmcnt(2)
	v_mul_u32_u24_sdwa v45, v66, s8 dst_sel:DWORD dst_unused:UNUSED_PAD src0_sel:WORD_0 src1_sel:DWORD
	v_mul_u32_u24_sdwa v66, v66, s8 dst_sel:DWORD dst_unused:UNUSED_PAD src0_sel:WORD_1 src1_sel:DWORD
	v_mul_u32_u24_sdwa v74, v67, s8 dst_sel:DWORD dst_unused:UNUSED_PAD src0_sel:WORD_0 src1_sel:DWORD
	v_mul_u32_u24_sdwa v67, v67, s8 dst_sel:DWORD dst_unused:UNUSED_PAD src0_sel:WORD_1 src1_sel:DWORD
	v_mul_u32_u24_sdwa v75, v68, s8 dst_sel:DWORD dst_unused:UNUSED_PAD src0_sel:WORD_0 src1_sel:DWORD
	v_mul_u32_u24_sdwa v68, v68, s8 dst_sel:DWORD dst_unused:UNUSED_PAD src0_sel:WORD_1 src1_sel:DWORD
	v_mul_u32_u24_sdwa v76, v69, s8 dst_sel:DWORD dst_unused:UNUSED_PAD src0_sel:WORD_0 src1_sel:DWORD
	v_mul_u32_u24_sdwa v69, v69, s8 dst_sel:DWORD dst_unused:UNUSED_PAD src0_sel:WORD_1 src1_sel:DWORD
	s_waitcnt lgkmcnt(0)
	v_pk_fma_f16 v47, v18, v45, v47
	v_pk_fma_f16 v46, v18, v66, v46
	;; [unrolled: 1-line block ×16, first 2 shown]
	v_mul_u32_u24_sdwa v25, v70, s8 dst_sel:DWORD dst_unused:UNUSED_PAD src0_sel:WORD_0 src1_sel:DWORD
	v_mul_u32_u24_sdwa v44, v70, s8 dst_sel:DWORD dst_unused:UNUSED_PAD src0_sel:WORD_1 src1_sel:DWORD
	v_mul_u32_u24_sdwa v45, v71, s8 dst_sel:DWORD dst_unused:UNUSED_PAD src0_sel:WORD_0 src1_sel:DWORD
	v_mul_u32_u24_sdwa v66, v71, s8 dst_sel:DWORD dst_unused:UNUSED_PAD src0_sel:WORD_1 src1_sel:DWORD
	;; [unrolled: 2-line block ×4, first 2 shown]
	v_pk_fma_f16 v47, v20, v25, v47
	v_pk_fma_f16 v72, v20, v66, v78
	;; [unrolled: 1-line block ×6, first 2 shown]
	ds_read_b128 v[22:25], v12 offset:16448
	v_pk_fma_f16 v46, v20, v44, v46
	v_pk_fma_f16 v71, v20, v45, v77
	;; [unrolled: 1-line block ×10, first 2 shown]
	ds_read2_b64 v[18:21], v13 offset0:128 offset1:160
	ds_read_b128 v[42:45], v12 offset:16464
	s_waitcnt lgkmcnt(2)
	v_mul_u32_u24_sdwa v70, v22, s8 dst_sel:DWORD dst_unused:UNUSED_PAD src0_sel:WORD_0 src1_sel:DWORD
	v_mul_u32_u24_sdwa v22, v22, s8 dst_sel:DWORD dst_unused:UNUSED_PAD src0_sel:WORD_1 src1_sel:DWORD
	v_mul_u32_u24_sdwa v76, v23, s8 dst_sel:DWORD dst_unused:UNUSED_PAD src0_sel:WORD_0 src1_sel:DWORD
	v_mul_u32_u24_sdwa v23, v23, s8 dst_sel:DWORD dst_unused:UNUSED_PAD src0_sel:WORD_1 src1_sel:DWORD
	;; [unrolled: 2-line block ×4, first 2 shown]
	s_waitcnt lgkmcnt(1)
	v_pk_fma_f16 v47, v18, v70, v47
	v_pk_fma_f16 v46, v18, v22, v46
	;; [unrolled: 1-line block ×16, first 2 shown]
	s_waitcnt lgkmcnt(0)
	v_mul_u32_u24_sdwa v25, v42, s8 dst_sel:DWORD dst_unused:UNUSED_PAD src0_sel:WORD_0 src1_sel:DWORD
	v_mul_u32_u24_sdwa v42, v42, s8 dst_sel:DWORD dst_unused:UNUSED_PAD src0_sel:WORD_1 src1_sel:DWORD
	v_mul_u32_u24_sdwa v67, v43, s8 dst_sel:DWORD dst_unused:UNUSED_PAD src0_sel:WORD_0 src1_sel:DWORD
	v_mul_u32_u24_sdwa v43, v43, s8 dst_sel:DWORD dst_unused:UNUSED_PAD src0_sel:WORD_1 src1_sel:DWORD
	v_mul_u32_u24_sdwa v68, v44, s8 dst_sel:DWORD dst_unused:UNUSED_PAD src0_sel:WORD_0 src1_sel:DWORD
	v_mul_u32_u24_sdwa v44, v44, s8 dst_sel:DWORD dst_unused:UNUSED_PAD src0_sel:WORD_1 src1_sel:DWORD
	v_mul_u32_u24_sdwa v69, v45, s8 dst_sel:DWORD dst_unused:UNUSED_PAD src0_sel:WORD_0 src1_sel:DWORD
	v_mul_u32_u24_sdwa v45, v45, s8 dst_sel:DWORD dst_unused:UNUSED_PAD src0_sel:WORD_1 src1_sel:DWORD
	v_pk_fma_f16 v47, v20, v25, v47
	v_pk_fma_f16 v71, v20, v67, v71
	;; [unrolled: 1-line block ×9, first 2 shown]
	ds_read_b128 v[22:25], v12 offset:16480
	v_pk_fma_f16 v46, v20, v42, v46
	v_pk_fma_f16 v72, v20, v43, v72
	;; [unrolled: 1-line block ×7, first 2 shown]
	ds_read2_b64 v[18:21], v13 offset0:192 offset1:224
	ds_read_b128 v[42:45], v12 offset:16496
	s_waitcnt lgkmcnt(2)
	v_mul_u32_u24_sdwa v75, v22, s8 dst_sel:DWORD dst_unused:UNUSED_PAD src0_sel:WORD_0 src1_sel:DWORD
	v_mul_u32_u24_sdwa v22, v22, s8 dst_sel:DWORD dst_unused:UNUSED_PAD src0_sel:WORD_1 src1_sel:DWORD
	v_mul_u32_u24_sdwa v76, v23, s8 dst_sel:DWORD dst_unused:UNUSED_PAD src0_sel:WORD_0 src1_sel:DWORD
	v_mul_u32_u24_sdwa v23, v23, s8 dst_sel:DWORD dst_unused:UNUSED_PAD src0_sel:WORD_1 src1_sel:DWORD
	;; [unrolled: 2-line block ×4, first 2 shown]
	s_waitcnt lgkmcnt(1)
	v_pk_fma_f16 v47, v18, v75, v47
	v_pk_fma_f16 v46, v18, v22, v46
	;; [unrolled: 1-line block ×16, first 2 shown]
	s_waitcnt lgkmcnt(0)
	v_mul_u32_u24_sdwa v25, v42, s8 dst_sel:DWORD dst_unused:UNUSED_PAD src0_sel:WORD_0 src1_sel:DWORD
	v_mul_u32_u24_sdwa v42, v42, s8 dst_sel:DWORD dst_unused:UNUSED_PAD src0_sel:WORD_1 src1_sel:DWORD
	v_mul_u32_u24_sdwa v68, v43, s8 dst_sel:DWORD dst_unused:UNUSED_PAD src0_sel:WORD_0 src1_sel:DWORD
	v_mul_u32_u24_sdwa v43, v43, s8 dst_sel:DWORD dst_unused:UNUSED_PAD src0_sel:WORD_1 src1_sel:DWORD
	;; [unrolled: 2-line block ×4, first 2 shown]
	v_pk_fma_f16 v47, v20, v25, v47
	v_pk_fma_f16 v71, v20, v68, v71
	;; [unrolled: 1-line block ×9, first 2 shown]
	ds_read_b128 v[22:25], v12 offset:16512
	v_add_u32_e32 v8, 0x6800, v65
	v_pk_fma_f16 v46, v20, v42, v46
	v_pk_fma_f16 v72, v20, v43, v72
	v_pk_fma_f16 v30, v20, v44, v30
	v_pk_fma_f16 v31, v20, v70, v31
	v_pk_fma_f16 v73, v20, v45, v18
	v_pk_fma_f16 v66, v21, v70, v66
	v_pk_fma_f16 v70, v21, v45, v19
	ds_read2_b64 v[18:21], v8 offset1:32
	ds_read_b128 v[42:45], v12 offset:16528
	s_waitcnt lgkmcnt(2)
	v_mul_u32_u24_sdwa v65, v22, s8 dst_sel:DWORD dst_unused:UNUSED_PAD src0_sel:WORD_0 src1_sel:DWORD
	v_mul_u32_u24_sdwa v22, v22, s8 dst_sel:DWORD dst_unused:UNUSED_PAD src0_sel:WORD_1 src1_sel:DWORD
	v_mul_u32_u24_sdwa v76, v23, s8 dst_sel:DWORD dst_unused:UNUSED_PAD src0_sel:WORD_0 src1_sel:DWORD
	v_mul_u32_u24_sdwa v23, v23, s8 dst_sel:DWORD dst_unused:UNUSED_PAD src0_sel:WORD_1 src1_sel:DWORD
	;; [unrolled: 2-line block ×4, first 2 shown]
	s_waitcnt lgkmcnt(1)
	v_pk_fma_f16 v47, v18, v65, v47
	v_pk_fma_f16 v46, v18, v22, v46
	;; [unrolled: 1-line block ×16, first 2 shown]
	s_waitcnt lgkmcnt(0)
	v_mul_u32_u24_sdwa v25, v42, s8 dst_sel:DWORD dst_unused:UNUSED_PAD src0_sel:WORD_0 src1_sel:DWORD
	v_mul_u32_u24_sdwa v42, v42, s8 dst_sel:DWORD dst_unused:UNUSED_PAD src0_sel:WORD_1 src1_sel:DWORD
	v_mul_u32_u24_sdwa v68, v43, s8 dst_sel:DWORD dst_unused:UNUSED_PAD src0_sel:WORD_0 src1_sel:DWORD
	v_mul_u32_u24_sdwa v43, v43, s8 dst_sel:DWORD dst_unused:UNUSED_PAD src0_sel:WORD_1 src1_sel:DWORD
	;; [unrolled: 2-line block ×4, first 2 shown]
	v_pk_fma_f16 v47, v20, v25, v47
	v_pk_fma_f16 v71, v20, v68, v71
	;; [unrolled: 1-line block ×9, first 2 shown]
	ds_read_b128 v[22:25], v12 offset:16544
	v_pk_fma_f16 v46, v20, v42, v46
	v_pk_fma_f16 v72, v20, v43, v72
	;; [unrolled: 1-line block ×7, first 2 shown]
	ds_read2_b64 v[18:21], v8 offset0:64 offset1:96
	ds_read_b128 v[42:45], v12 offset:16560
	s_waitcnt lgkmcnt(2)
	v_mul_u32_u24_sdwa v75, v22, s8 dst_sel:DWORD dst_unused:UNUSED_PAD src0_sel:WORD_0 src1_sel:DWORD
	v_mul_u32_u24_sdwa v22, v22, s8 dst_sel:DWORD dst_unused:UNUSED_PAD src0_sel:WORD_1 src1_sel:DWORD
	v_mul_u32_u24_sdwa v76, v23, s8 dst_sel:DWORD dst_unused:UNUSED_PAD src0_sel:WORD_0 src1_sel:DWORD
	v_mul_u32_u24_sdwa v23, v23, s8 dst_sel:DWORD dst_unused:UNUSED_PAD src0_sel:WORD_1 src1_sel:DWORD
	v_mul_u32_u24_sdwa v77, v24, s8 dst_sel:DWORD dst_unused:UNUSED_PAD src0_sel:WORD_0 src1_sel:DWORD
	v_mul_u32_u24_sdwa v24, v24, s8 dst_sel:DWORD dst_unused:UNUSED_PAD src0_sel:WORD_1 src1_sel:DWORD
	v_mul_u32_u24_sdwa v78, v25, s8 dst_sel:DWORD dst_unused:UNUSED_PAD src0_sel:WORD_0 src1_sel:DWORD
	v_mul_u32_u24_sdwa v25, v25, s8 dst_sel:DWORD dst_unused:UNUSED_PAD src0_sel:WORD_1 src1_sel:DWORD
	s_waitcnt lgkmcnt(1)
	v_pk_fma_f16 v47, v18, v75, v47
	v_pk_fma_f16 v46, v18, v22, v46
	;; [unrolled: 1-line block ×16, first 2 shown]
	s_waitcnt lgkmcnt(0)
	v_mul_u32_u24_sdwa v25, v42, s8 dst_sel:DWORD dst_unused:UNUSED_PAD src0_sel:WORD_0 src1_sel:DWORD
	v_mul_u32_u24_sdwa v42, v42, s8 dst_sel:DWORD dst_unused:UNUSED_PAD src0_sel:WORD_1 src1_sel:DWORD
	v_mul_u32_u24_sdwa v68, v43, s8 dst_sel:DWORD dst_unused:UNUSED_PAD src0_sel:WORD_0 src1_sel:DWORD
	v_mul_u32_u24_sdwa v43, v43, s8 dst_sel:DWORD dst_unused:UNUSED_PAD src0_sel:WORD_1 src1_sel:DWORD
	;; [unrolled: 2-line block ×3, first 2 shown]
	v_pk_fma_f16 v47, v20, v25, v47
	v_pk_fma_f16 v65, v21, v25, v65
	v_pk_fma_f16 v78, v21, v42, v22
	v_pk_fma_f16 v80, v21, v43, v23
	v_pk_fma_f16 v81, v21, v44, v24
	ds_read_b128 v[22:25], v12 offset:16576
	v_mul_u32_u24_sdwa v70, v45, s8 dst_sel:DWORD dst_unused:UNUSED_PAD src0_sel:WORD_0 src1_sel:DWORD
	v_mul_u32_u24_sdwa v45, v45, s8 dst_sel:DWORD dst_unused:UNUSED_PAD src0_sel:WORD_1 src1_sel:DWORD
	v_pk_fma_f16 v46, v20, v42, v46
	v_pk_fma_f16 v71, v20, v68, v71
	;; [unrolled: 1-line block ×11, first 2 shown]
	ds_read2_b64 v[18:21], v8 offset0:128 offset1:160
	ds_read_b128 v[42:45], v12 offset:16592
	s_waitcnt lgkmcnt(2)
	v_mul_u32_u24_sdwa v88, v24, s8 dst_sel:DWORD dst_unused:UNUSED_PAD src0_sel:WORD_1 src1_sel:DWORD
	v_mul_u32_u24_sdwa v89, v25, s8 dst_sel:DWORD dst_unused:UNUSED_PAD src0_sel:WORD_0 src1_sel:DWORD
	v_mul_u32_u24_sdwa v66, v22, s8 dst_sel:DWORD dst_unused:UNUSED_PAD src0_sel:WORD_0 src1_sel:DWORD
	v_mul_u32_u24_sdwa v84, v22, s8 dst_sel:DWORD dst_unused:UNUSED_PAD src0_sel:WORD_1 src1_sel:DWORD
	v_mul_u32_u24_sdwa v85, v23, s8 dst_sel:DWORD dst_unused:UNUSED_PAD src0_sel:WORD_0 src1_sel:DWORD
	v_mul_u32_u24_sdwa v86, v23, s8 dst_sel:DWORD dst_unused:UNUSED_PAD src0_sel:WORD_1 src1_sel:DWORD
	;; [unrolled: 2-line block ×3, first 2 shown]
	s_waitcnt lgkmcnt(1)
	v_pk_fma_f16 v100, v18, v88, v30
	v_pk_fma_f16 v101, v18, v89, v31
	v_lshl_add_u64 v[30:31], s[4:5], 2, v[10:11]
	v_pk_fma_f16 v47, v18, v66, v47
	v_pk_fma_f16 v46, v18, v84, v46
	;; [unrolled: 1-line block ×7, first 2 shown]
	ds_read2_b64 v[22:25], v8 offset0:192 offset1:224
	ds_read_b128 v[66:69], v12 offset:16608
	ds_read_b128 v[70:73], v12 offset:16624
	s_waitcnt lgkmcnt(0)
	s_barrier
	scratch_store_dword off, v9, off
	scratch_store_dwordx3 off, v[26:28], off offset:4
	v_cndmask_b32_e32 v31, v15, v31, vcc
	v_cndmask_b32_e32 v30, v17, v30, vcc
	flat_load_dwordx4 v[74:77], v[30:31]
	v_pk_fma_f16 v30, v19, v84, v78
	v_pk_fma_f16 v31, v19, v85, v79
	v_pk_fma_f16 v78, v19, v86, v80
	v_pk_fma_f16 v41, v19, v87, v41
	v_pk_fma_f16 v79, v19, v88, v81
	v_pk_fma_f16 v80, v19, v89, v82
	v_pk_fma_f16 v19, v19, v90, v83
	v_mul_u32_u24_sdwa v81, v42, s8 dst_sel:DWORD dst_unused:UNUSED_PAD src0_sel:WORD_0 src1_sel:DWORD
	v_mul_u32_u24_sdwa v42, v42, s8 dst_sel:DWORD dst_unused:UNUSED_PAD src0_sel:WORD_1 src1_sel:DWORD
	v_mul_u32_u24_sdwa v82, v43, s8 dst_sel:DWORD dst_unused:UNUSED_PAD src0_sel:WORD_0 src1_sel:DWORD
	v_mul_u32_u24_sdwa v43, v43, s8 dst_sel:DWORD dst_unused:UNUSED_PAD src0_sel:WORD_1 src1_sel:DWORD
	v_mul_u32_u24_sdwa v83, v44, s8 dst_sel:DWORD dst_unused:UNUSED_PAD src0_sel:WORD_0 src1_sel:DWORD
	v_mul_u32_u24_sdwa v44, v44, s8 dst_sel:DWORD dst_unused:UNUSED_PAD src0_sel:WORD_1 src1_sel:DWORD
	v_mul_u32_u24_sdwa v84, v45, s8 dst_sel:DWORD dst_unused:UNUSED_PAD src0_sel:WORD_0 src1_sel:DWORD
	v_mul_u32_u24_sdwa v45, v45, s8 dst_sel:DWORD dst_unused:UNUSED_PAD src0_sel:WORD_1 src1_sel:DWORD
	v_pk_fma_f16 v47, v20, v81, v47
	v_pk_fma_f16 v46, v20, v42, v46
	v_pk_fma_f16 v85, v20, v82, v91
	v_pk_fma_f16 v86, v20, v43, v99
	v_pk_fma_f16 v29, v20, v83, v29
	v_pk_fma_f16 v87, v20, v44, v100
	v_pk_fma_f16 v88, v20, v84, v101
	v_pk_fma_f16 v18, v20, v45, v18
	v_pk_fma_f16 v20, v21, v81, v65
	v_pk_fma_f16 v30, v21, v42, v30
	v_pk_fma_f16 v31, v21, v82, v31
	v_pk_fma_f16 v42, v21, v43, v78
	v_pk_fma_f16 v41, v21, v83, v41
	v_pk_fma_f16 v43, v21, v44, v79
	v_pk_fma_f16 v44, v21, v84, v80
	v_pk_fma_f16 v19, v21, v45, v19
	v_mul_u32_u24_sdwa v21, v66, s8 dst_sel:DWORD dst_unused:UNUSED_PAD src0_sel:WORD_0 src1_sel:DWORD
	v_mul_u32_u24_sdwa v45, v66, s8 dst_sel:DWORD dst_unused:UNUSED_PAD src0_sel:WORD_1 src1_sel:DWORD
	v_mul_u32_u24_sdwa v65, v67, s8 dst_sel:DWORD dst_unused:UNUSED_PAD src0_sel:WORD_0 src1_sel:DWORD
	v_mul_u32_u24_sdwa v66, v67, s8 dst_sel:DWORD dst_unused:UNUSED_PAD src0_sel:WORD_1 src1_sel:DWORD
	v_mul_u32_u24_sdwa v67, v68, s8 dst_sel:DWORD dst_unused:UNUSED_PAD src0_sel:WORD_0 src1_sel:DWORD
	v_mul_u32_u24_sdwa v68, v68, s8 dst_sel:DWORD dst_unused:UNUSED_PAD src0_sel:WORD_1 src1_sel:DWORD
	v_mul_u32_u24_sdwa v78, v69, s8 dst_sel:DWORD dst_unused:UNUSED_PAD src0_sel:WORD_0 src1_sel:DWORD
	v_mul_u32_u24_sdwa v69, v69, s8 dst_sel:DWORD dst_unused:UNUSED_PAD src0_sel:WORD_1 src1_sel:DWORD
	v_pk_fma_f16 v47, v22, v21, v47
	v_pk_fma_f16 v46, v22, v45, v46
	v_pk_fma_f16 v79, v22, v65, v85
	v_pk_fma_f16 v80, v22, v66, v86
	v_pk_fma_f16 v29, v22, v67, v29
	v_pk_fma_f16 v81, v22, v68, v87
	v_pk_fma_f16 v82, v22, v78, v88
	v_pk_fma_f16 v18, v22, v69, v18
	v_pk_fma_f16 v20, v23, v21, v20
	;; [unrolled: 24-line block ×3, first 2 shown]
	v_pk_fma_f16 v84, v25, v43, v21
	v_pk_fma_f16 v85, v25, v44, v22
	;; [unrolled: 1-line block ×7, first 2 shown]
	s_waitcnt vmcnt(0) lgkmcnt(0)
	ds_write_b128 v16, v[74:77] offset:24576
	s_waitcnt lgkmcnt(0)
	s_barrier
	ds_read_b128 v[18:21], v12 offset:16640
	ds_read2_b64 v[22:25], v13 offset1:32
	ds_read_b128 v[42:45], v12 offset:16656
	ds_read_b128 v[66:69], v12 offset:16672
	;; [unrolled: 1-line block ×3, first 2 shown]
	s_waitcnt lgkmcnt(4)
	v_mul_u32_u24_sdwa v74, v18, s8 dst_sel:DWORD dst_unused:UNUSED_PAD src0_sel:WORD_0 src1_sel:DWORD
	v_mul_u32_u24_sdwa v18, v18, s8 dst_sel:DWORD dst_unused:UNUSED_PAD src0_sel:WORD_1 src1_sel:DWORD
	v_mul_u32_u24_sdwa v75, v19, s8 dst_sel:DWORD dst_unused:UNUSED_PAD src0_sel:WORD_0 src1_sel:DWORD
	v_mul_u32_u24_sdwa v19, v19, s8 dst_sel:DWORD dst_unused:UNUSED_PAD src0_sel:WORD_1 src1_sel:DWORD
	v_mul_u32_u24_sdwa v76, v20, s8 dst_sel:DWORD dst_unused:UNUSED_PAD src0_sel:WORD_0 src1_sel:DWORD
	v_mul_u32_u24_sdwa v20, v20, s8 dst_sel:DWORD dst_unused:UNUSED_PAD src0_sel:WORD_1 src1_sel:DWORD
	v_mul_u32_u24_sdwa v77, v21, s8 dst_sel:DWORD dst_unused:UNUSED_PAD src0_sel:WORD_0 src1_sel:DWORD
	v_mul_u32_u24_sdwa v21, v21, s8 dst_sel:DWORD dst_unused:UNUSED_PAD src0_sel:WORD_1 src1_sel:DWORD
	s_waitcnt lgkmcnt(3)
	v_pk_fma_f16 v47, v22, v74, v47
	v_pk_fma_f16 v46, v22, v18, v46
	v_pk_fma_f16 v78, v22, v75, v78
	v_pk_fma_f16 v79, v22, v19, v79
	v_pk_fma_f16 v29, v22, v76, v29
	v_pk_fma_f16 v80, v22, v20, v80
	v_pk_fma_f16 v81, v22, v77, v81
	v_pk_fma_f16 v22, v22, v21, v82
	v_pk_fma_f16 v74, v23, v74, v83
	v_pk_fma_f16 v18, v23, v18, v84
	v_pk_fma_f16 v75, v23, v75, v85
	v_pk_fma_f16 v19, v23, v19, v30
	v_pk_fma_f16 v30, v23, v76, v31
	v_pk_fma_f16 v20, v23, v20, v41
	v_pk_fma_f16 v31, v23, v77, v65
	v_pk_fma_f16 v21, v23, v21, v86
	s_waitcnt lgkmcnt(2)
	v_mul_u32_u24_sdwa v23, v42, s8 dst_sel:DWORD dst_unused:UNUSED_PAD src0_sel:WORD_0 src1_sel:DWORD
	v_mul_u32_u24_sdwa v41, v42, s8 dst_sel:DWORD dst_unused:UNUSED_PAD src0_sel:WORD_1 src1_sel:DWORD
	v_mul_u32_u24_sdwa v42, v43, s8 dst_sel:DWORD dst_unused:UNUSED_PAD src0_sel:WORD_0 src1_sel:DWORD
	v_mul_u32_u24_sdwa v43, v43, s8 dst_sel:DWORD dst_unused:UNUSED_PAD src0_sel:WORD_1 src1_sel:DWORD
	;; [unrolled: 2-line block ×4, first 2 shown]
	v_pk_fma_f16 v47, v24, v23, v47
	v_pk_fma_f16 v46, v24, v41, v46
	;; [unrolled: 1-line block ×16, first 2 shown]
	ds_read2_b64 v[18:21], v13 offset0:64 offset1:96
	s_waitcnt lgkmcnt(2)
	v_mul_u32_u24_sdwa v44, v66, s8 dst_sel:DWORD dst_unused:UNUSED_PAD src0_sel:WORD_0 src1_sel:DWORD
	v_mul_u32_u24_sdwa v45, v66, s8 dst_sel:DWORD dst_unused:UNUSED_PAD src0_sel:WORD_1 src1_sel:DWORD
	v_mul_u32_u24_sdwa v65, v67, s8 dst_sel:DWORD dst_unused:UNUSED_PAD src0_sel:WORD_0 src1_sel:DWORD
	v_mul_u32_u24_sdwa v66, v67, s8 dst_sel:DWORD dst_unused:UNUSED_PAD src0_sel:WORD_1 src1_sel:DWORD
	;; [unrolled: 2-line block ×4, first 2 shown]
	s_waitcnt lgkmcnt(0)
	v_pk_fma_f16 v47, v18, v44, v47
	v_pk_fma_f16 v46, v18, v45, v46
	;; [unrolled: 1-line block ×16, first 2 shown]
	v_mul_u32_u24_sdwa v25, v70, s8 dst_sel:DWORD dst_unused:UNUSED_PAD src0_sel:WORD_0 src1_sel:DWORD
	v_mul_u32_u24_sdwa v43, v70, s8 dst_sel:DWORD dst_unused:UNUSED_PAD src0_sel:WORD_1 src1_sel:DWORD
	v_mul_u32_u24_sdwa v44, v71, s8 dst_sel:DWORD dst_unused:UNUSED_PAD src0_sel:WORD_0 src1_sel:DWORD
	v_mul_u32_u24_sdwa v45, v71, s8 dst_sel:DWORD dst_unused:UNUSED_PAD src0_sel:WORD_1 src1_sel:DWORD
	;; [unrolled: 2-line block ×4, first 2 shown]
	v_pk_fma_f16 v47, v20, v25, v47
	v_pk_fma_f16 v69, v20, v44, v75
	;; [unrolled: 1-line block ×6, first 2 shown]
	ds_read_b128 v[22:25], v12 offset:16704
	v_pk_fma_f16 v46, v20, v43, v46
	v_pk_fma_f16 v29, v20, v65, v29
	;; [unrolled: 1-line block ×10, first 2 shown]
	ds_read2_b64 v[18:21], v13 offset0:128 offset1:160
	ds_read_b128 v[42:45], v12 offset:16720
	s_waitcnt lgkmcnt(2)
	v_mul_u32_u24_sdwa v67, v22, s8 dst_sel:DWORD dst_unused:UNUSED_PAD src0_sel:WORD_0 src1_sel:DWORD
	v_mul_u32_u24_sdwa v22, v22, s8 dst_sel:DWORD dst_unused:UNUSED_PAD src0_sel:WORD_1 src1_sel:DWORD
	v_mul_u32_u24_sdwa v68, v23, s8 dst_sel:DWORD dst_unused:UNUSED_PAD src0_sel:WORD_0 src1_sel:DWORD
	v_mul_u32_u24_sdwa v23, v23, s8 dst_sel:DWORD dst_unused:UNUSED_PAD src0_sel:WORD_1 src1_sel:DWORD
	;; [unrolled: 2-line block ×4, first 2 shown]
	s_waitcnt lgkmcnt(1)
	v_pk_fma_f16 v47, v18, v67, v47
	v_pk_fma_f16 v46, v18, v22, v46
	;; [unrolled: 1-line block ×16, first 2 shown]
	s_waitcnt lgkmcnt(0)
	v_mul_u32_u24_sdwa v25, v42, s8 dst_sel:DWORD dst_unused:UNUSED_PAD src0_sel:WORD_0 src1_sel:DWORD
	v_mul_u32_u24_sdwa v41, v42, s8 dst_sel:DWORD dst_unused:UNUSED_PAD src0_sel:WORD_1 src1_sel:DWORD
	v_mul_u32_u24_sdwa v42, v43, s8 dst_sel:DWORD dst_unused:UNUSED_PAD src0_sel:WORD_0 src1_sel:DWORD
	v_mul_u32_u24_sdwa v43, v43, s8 dst_sel:DWORD dst_unused:UNUSED_PAD src0_sel:WORD_1 src1_sel:DWORD
	;; [unrolled: 2-line block ×4, first 2 shown]
	v_pk_fma_f16 v47, v20, v25, v47
	v_pk_fma_f16 v46, v20, v41, v46
	;; [unrolled: 1-line block ×8, first 2 shown]
	ds_read_b128 v[22:25], v12 offset:16736
	v_pk_fma_f16 v69, v20, v42, v69
	v_pk_fma_f16 v70, v20, v43, v70
	;; [unrolled: 1-line block ×8, first 2 shown]
	ds_read2_b64 v[18:21], v13 offset0:192 offset1:224
	ds_read_b128 v[42:45], v12 offset:16752
	s_waitcnt lgkmcnt(2)
	v_mul_u32_u24_sdwa v75, v22, s8 dst_sel:DWORD dst_unused:UNUSED_PAD src0_sel:WORD_0 src1_sel:DWORD
	v_mul_u32_u24_sdwa v22, v22, s8 dst_sel:DWORD dst_unused:UNUSED_PAD src0_sel:WORD_1 src1_sel:DWORD
	v_mul_u32_u24_sdwa v76, v23, s8 dst_sel:DWORD dst_unused:UNUSED_PAD src0_sel:WORD_0 src1_sel:DWORD
	v_mul_u32_u24_sdwa v23, v23, s8 dst_sel:DWORD dst_unused:UNUSED_PAD src0_sel:WORD_1 src1_sel:DWORD
	;; [unrolled: 2-line block ×4, first 2 shown]
	s_waitcnt lgkmcnt(1)
	v_pk_fma_f16 v47, v18, v75, v47
	v_pk_fma_f16 v46, v18, v22, v46
	;; [unrolled: 1-line block ×16, first 2 shown]
	s_waitcnt lgkmcnt(0)
	v_mul_u32_u24_sdwa v25, v42, s8 dst_sel:DWORD dst_unused:UNUSED_PAD src0_sel:WORD_0 src1_sel:DWORD
	v_mul_u32_u24_sdwa v42, v42, s8 dst_sel:DWORD dst_unused:UNUSED_PAD src0_sel:WORD_1 src1_sel:DWORD
	v_mul_u32_u24_sdwa v65, v43, s8 dst_sel:DWORD dst_unused:UNUSED_PAD src0_sel:WORD_0 src1_sel:DWORD
	v_mul_u32_u24_sdwa v43, v43, s8 dst_sel:DWORD dst_unused:UNUSED_PAD src0_sel:WORD_1 src1_sel:DWORD
	;; [unrolled: 2-line block ×4, first 2 shown]
	v_pk_fma_f16 v47, v20, v25, v47
	v_pk_fma_f16 v69, v20, v65, v69
	;; [unrolled: 1-line block ×9, first 2 shown]
	ds_read_b128 v[22:25], v12 offset:16768
	v_pk_fma_f16 v46, v20, v42, v46
	v_pk_fma_f16 v70, v20, v43, v70
	;; [unrolled: 1-line block ×7, first 2 shown]
	ds_read2_b64 v[18:21], v8 offset1:32
	ds_read_b128 v[42:45], v12 offset:16784
	s_waitcnt lgkmcnt(2)
	v_mul_u32_u24_sdwa v75, v22, s8 dst_sel:DWORD dst_unused:UNUSED_PAD src0_sel:WORD_0 src1_sel:DWORD
	v_mul_u32_u24_sdwa v22, v22, s8 dst_sel:DWORD dst_unused:UNUSED_PAD src0_sel:WORD_1 src1_sel:DWORD
	v_mul_u32_u24_sdwa v76, v23, s8 dst_sel:DWORD dst_unused:UNUSED_PAD src0_sel:WORD_0 src1_sel:DWORD
	v_mul_u32_u24_sdwa v23, v23, s8 dst_sel:DWORD dst_unused:UNUSED_PAD src0_sel:WORD_1 src1_sel:DWORD
	;; [unrolled: 2-line block ×4, first 2 shown]
	s_waitcnt lgkmcnt(1)
	v_pk_fma_f16 v47, v18, v75, v47
	v_pk_fma_f16 v46, v18, v22, v46
	;; [unrolled: 1-line block ×16, first 2 shown]
	s_waitcnt lgkmcnt(0)
	v_mul_u32_u24_sdwa v25, v42, s8 dst_sel:DWORD dst_unused:UNUSED_PAD src0_sel:WORD_0 src1_sel:DWORD
	v_mul_u32_u24_sdwa v42, v42, s8 dst_sel:DWORD dst_unused:UNUSED_PAD src0_sel:WORD_1 src1_sel:DWORD
	v_mul_u32_u24_sdwa v65, v43, s8 dst_sel:DWORD dst_unused:UNUSED_PAD src0_sel:WORD_0 src1_sel:DWORD
	v_mul_u32_u24_sdwa v43, v43, s8 dst_sel:DWORD dst_unused:UNUSED_PAD src0_sel:WORD_1 src1_sel:DWORD
	;; [unrolled: 2-line block ×4, first 2 shown]
	v_pk_fma_f16 v47, v20, v25, v47
	v_pk_fma_f16 v69, v20, v65, v69
	;; [unrolled: 1-line block ×9, first 2 shown]
	ds_read_b128 v[22:25], v12 offset:16800
	v_pk_fma_f16 v46, v20, v42, v46
	v_pk_fma_f16 v70, v20, v43, v70
	;; [unrolled: 1-line block ×7, first 2 shown]
	ds_read2_b64 v[18:21], v8 offset0:64 offset1:96
	ds_read_b128 v[42:45], v12 offset:16816
	s_waitcnt lgkmcnt(2)
	v_mul_u32_u24_sdwa v75, v22, s8 dst_sel:DWORD dst_unused:UNUSED_PAD src0_sel:WORD_0 src1_sel:DWORD
	v_mul_u32_u24_sdwa v22, v22, s8 dst_sel:DWORD dst_unused:UNUSED_PAD src0_sel:WORD_1 src1_sel:DWORD
	v_mul_u32_u24_sdwa v76, v23, s8 dst_sel:DWORD dst_unused:UNUSED_PAD src0_sel:WORD_0 src1_sel:DWORD
	v_mul_u32_u24_sdwa v23, v23, s8 dst_sel:DWORD dst_unused:UNUSED_PAD src0_sel:WORD_1 src1_sel:DWORD
	;; [unrolled: 2-line block ×4, first 2 shown]
	s_waitcnt lgkmcnt(1)
	v_pk_fma_f16 v47, v18, v75, v47
	v_pk_fma_f16 v46, v18, v22, v46
	;; [unrolled: 1-line block ×16, first 2 shown]
	s_waitcnt lgkmcnt(0)
	v_mul_u32_u24_sdwa v25, v42, s8 dst_sel:DWORD dst_unused:UNUSED_PAD src0_sel:WORD_0 src1_sel:DWORD
	v_mul_u32_u24_sdwa v42, v42, s8 dst_sel:DWORD dst_unused:UNUSED_PAD src0_sel:WORD_1 src1_sel:DWORD
	v_mul_u32_u24_sdwa v65, v43, s8 dst_sel:DWORD dst_unused:UNUSED_PAD src0_sel:WORD_0 src1_sel:DWORD
	v_mul_u32_u24_sdwa v43, v43, s8 dst_sel:DWORD dst_unused:UNUSED_PAD src0_sel:WORD_1 src1_sel:DWORD
	v_mul_u32_u24_sdwa v66, v44, s8 dst_sel:DWORD dst_unused:UNUSED_PAD src0_sel:WORD_0 src1_sel:DWORD
	v_mul_u32_u24_sdwa v44, v44, s8 dst_sel:DWORD dst_unused:UNUSED_PAD src0_sel:WORD_1 src1_sel:DWORD
	v_pk_fma_f16 v47, v20, v25, v47
	v_pk_fma_f16 v69, v20, v65, v69
	v_pk_fma_f16 v67, v21, v25, v67
	v_pk_fma_f16 v78, v21, v42, v22
	v_pk_fma_f16 v41, v21, v65, v41
	v_pk_fma_f16 v65, v21, v43, v23
	v_pk_fma_f16 v80, v21, v44, v24
	ds_read_b128 v[22:25], v12 offset:16832
	v_mul_u32_u24_sdwa v68, v45, s8 dst_sel:DWORD dst_unused:UNUSED_PAD src0_sel:WORD_0 src1_sel:DWORD
	v_mul_u32_u24_sdwa v45, v45, s8 dst_sel:DWORD dst_unused:UNUSED_PAD src0_sel:WORD_1 src1_sel:DWORD
	v_pk_fma_f16 v46, v20, v42, v46
	v_pk_fma_f16 v70, v20, v43, v70
	;; [unrolled: 1-line block ×9, first 2 shown]
	ds_read2_b64 v[18:21], v8 offset0:128 offset1:160
	ds_read_b128 v[42:45], v12 offset:16848
	s_or_b32 s4, s28, 32
	s_waitcnt lgkmcnt(2)
	v_mul_u32_u24_sdwa v30, v22, s8 dst_sel:DWORD dst_unused:UNUSED_PAD src0_sel:WORD_0 src1_sel:DWORD
	s_mul_hi_i32 s5, s4, s2
	s_mul_i32 s4, s4, s2
	s_sub_i32 s6, s18, 32
	v_mul_u32_u24_sdwa v83, v22, s8 dst_sel:DWORD dst_unused:UNUSED_PAD src0_sel:WORD_1 src1_sel:DWORD
	v_mul_u32_u24_sdwa v84, v23, s8 dst_sel:DWORD dst_unused:UNUSED_PAD src0_sel:WORD_0 src1_sel:DWORD
	v_mul_u32_u24_sdwa v85, v23, s8 dst_sel:DWORD dst_unused:UNUSED_PAD src0_sel:WORD_1 src1_sel:DWORD
	v_mul_u32_u24_sdwa v86, v24, s8 dst_sel:DWORD dst_unused:UNUSED_PAD src0_sel:WORD_0 src1_sel:DWORD
	;; [unrolled: 2-line block ×3, first 2 shown]
	v_mul_u32_u24_sdwa v89, v25, s8 dst_sel:DWORD dst_unused:UNUSED_PAD src0_sel:WORD_1 src1_sel:DWORD
	s_waitcnt lgkmcnt(1)
	v_pk_fma_f16 v47, v18, v30, v47
	v_pk_fma_f16 v101, v19, v30, v67
	v_lshl_add_u64 v[30:31], s[4:5], 2, v[10:11]
	v_cmp_gt_i32_e32 vcc, s6, v14
	v_pk_fma_f16 v46, v18, v83, v46
	v_pk_fma_f16 v90, v18, v84, v69
	;; [unrolled: 1-line block ×7, first 2 shown]
	ds_read2_b64 v[22:25], v8 offset0:192 offset1:224
	ds_read_b128 v[66:69], v12 offset:16864
	ds_read_b128 v[70:73], v12 offset:16880
	s_waitcnt lgkmcnt(0)
	s_barrier
	scratch_store_dword off, v9, off
	scratch_store_dwordx3 off, v[26:28], off offset:4
	v_cndmask_b32_e32 v31, v15, v31, vcc
	v_cndmask_b32_e32 v30, v17, v30, vcc
	flat_load_dwordx4 v[74:77], v[30:31]
	v_pk_fma_f16 v30, v19, v83, v78
	v_pk_fma_f16 v31, v19, v84, v41
	v_pk_fma_f16 v41, v19, v85, v65
	v_pk_fma_f16 v65, v19, v86, v79
	v_pk_fma_f16 v78, v19, v87, v80
	v_pk_fma_f16 v79, v19, v88, v81
	v_pk_fma_f16 v19, v19, v89, v82
	v_mul_u32_u24_sdwa v80, v42, s8 dst_sel:DWORD dst_unused:UNUSED_PAD src0_sel:WORD_0 src1_sel:DWORD
	v_mul_u32_u24_sdwa v42, v42, s8 dst_sel:DWORD dst_unused:UNUSED_PAD src0_sel:WORD_1 src1_sel:DWORD
	v_mul_u32_u24_sdwa v81, v43, s8 dst_sel:DWORD dst_unused:UNUSED_PAD src0_sel:WORD_0 src1_sel:DWORD
	v_mul_u32_u24_sdwa v43, v43, s8 dst_sel:DWORD dst_unused:UNUSED_PAD src0_sel:WORD_1 src1_sel:DWORD
	v_mul_u32_u24_sdwa v82, v44, s8 dst_sel:DWORD dst_unused:UNUSED_PAD src0_sel:WORD_0 src1_sel:DWORD
	v_mul_u32_u24_sdwa v44, v44, s8 dst_sel:DWORD dst_unused:UNUSED_PAD src0_sel:WORD_1 src1_sel:DWORD
	v_mul_u32_u24_sdwa v83, v45, s8 dst_sel:DWORD dst_unused:UNUSED_PAD src0_sel:WORD_0 src1_sel:DWORD
	v_mul_u32_u24_sdwa v45, v45, s8 dst_sel:DWORD dst_unused:UNUSED_PAD src0_sel:WORD_1 src1_sel:DWORD
	v_pk_fma_f16 v47, v20, v80, v47
	v_pk_fma_f16 v46, v20, v42, v46
	v_pk_fma_f16 v84, v20, v81, v90
	v_pk_fma_f16 v85, v20, v43, v91
	v_pk_fma_f16 v29, v20, v82, v29
	v_pk_fma_f16 v86, v20, v44, v99
	v_pk_fma_f16 v87, v20, v83, v100
	v_pk_fma_f16 v18, v20, v45, v18
	v_pk_fma_f16 v20, v21, v80, v101
	v_pk_fma_f16 v30, v21, v42, v30
	v_pk_fma_f16 v31, v21, v81, v31
	v_pk_fma_f16 v41, v21, v43, v41
	v_pk_fma_f16 v42, v21, v82, v65
	v_pk_fma_f16 v43, v21, v44, v78
	v_pk_fma_f16 v44, v21, v83, v79
	v_pk_fma_f16 v19, v21, v45, v19
	v_mul_u32_u24_sdwa v21, v66, s8 dst_sel:DWORD dst_unused:UNUSED_PAD src0_sel:WORD_0 src1_sel:DWORD
	v_mul_u32_u24_sdwa v45, v66, s8 dst_sel:DWORD dst_unused:UNUSED_PAD src0_sel:WORD_1 src1_sel:DWORD
	v_mul_u32_u24_sdwa v65, v67, s8 dst_sel:DWORD dst_unused:UNUSED_PAD src0_sel:WORD_0 src1_sel:DWORD
	v_mul_u32_u24_sdwa v66, v67, s8 dst_sel:DWORD dst_unused:UNUSED_PAD src0_sel:WORD_1 src1_sel:DWORD
	v_mul_u32_u24_sdwa v67, v68, s8 dst_sel:DWORD dst_unused:UNUSED_PAD src0_sel:WORD_0 src1_sel:DWORD
	v_mul_u32_u24_sdwa v68, v68, s8 dst_sel:DWORD dst_unused:UNUSED_PAD src0_sel:WORD_1 src1_sel:DWORD
	v_mul_u32_u24_sdwa v78, v69, s8 dst_sel:DWORD dst_unused:UNUSED_PAD src0_sel:WORD_0 src1_sel:DWORD
	v_mul_u32_u24_sdwa v69, v69, s8 dst_sel:DWORD dst_unused:UNUSED_PAD src0_sel:WORD_1 src1_sel:DWORD
	v_pk_fma_f16 v47, v22, v21, v47
	v_pk_fma_f16 v46, v22, v45, v46
	v_pk_fma_f16 v79, v22, v65, v84
	v_pk_fma_f16 v80, v22, v66, v85
	v_pk_fma_f16 v29, v22, v67, v29
	v_pk_fma_f16 v81, v22, v68, v86
	v_pk_fma_f16 v82, v22, v78, v87
	v_pk_fma_f16 v18, v22, v69, v18
	v_pk_fma_f16 v20, v23, v21, v20
	;; [unrolled: 24-line block ×3, first 2 shown]
	v_pk_fma_f16 v84, v25, v43, v21
	v_pk_fma_f16 v85, v25, v44, v22
	;; [unrolled: 1-line block ×7, first 2 shown]
	s_waitcnt vmcnt(0) lgkmcnt(0)
	ds_write_b128 v16, v[74:77] offset:24576
	s_waitcnt lgkmcnt(0)
	s_barrier
	ds_read_b128 v[18:21], v12 offset:16896
	ds_read2_b64 v[22:25], v13 offset1:32
	ds_read_b128 v[42:45], v12 offset:16912
	ds_read_b128 v[66:69], v12 offset:16928
	ds_read_b128 v[70:73], v12 offset:16944
	s_waitcnt lgkmcnt(4)
	v_mul_u32_u24_sdwa v74, v18, s8 dst_sel:DWORD dst_unused:UNUSED_PAD src0_sel:WORD_0 src1_sel:DWORD
	v_mul_u32_u24_sdwa v18, v18, s8 dst_sel:DWORD dst_unused:UNUSED_PAD src0_sel:WORD_1 src1_sel:DWORD
	v_mul_u32_u24_sdwa v75, v19, s8 dst_sel:DWORD dst_unused:UNUSED_PAD src0_sel:WORD_0 src1_sel:DWORD
	v_mul_u32_u24_sdwa v19, v19, s8 dst_sel:DWORD dst_unused:UNUSED_PAD src0_sel:WORD_1 src1_sel:DWORD
	;; [unrolled: 2-line block ×4, first 2 shown]
	s_waitcnt lgkmcnt(3)
	v_pk_fma_f16 v47, v22, v74, v47
	v_pk_fma_f16 v46, v22, v18, v46
	;; [unrolled: 1-line block ×16, first 2 shown]
	s_waitcnt lgkmcnt(2)
	v_mul_u32_u24_sdwa v23, v42, s8 dst_sel:DWORD dst_unused:UNUSED_PAD src0_sel:WORD_0 src1_sel:DWORD
	v_mul_u32_u24_sdwa v41, v42, s8 dst_sel:DWORD dst_unused:UNUSED_PAD src0_sel:WORD_1 src1_sel:DWORD
	v_mul_u32_u24_sdwa v42, v43, s8 dst_sel:DWORD dst_unused:UNUSED_PAD src0_sel:WORD_0 src1_sel:DWORD
	v_mul_u32_u24_sdwa v43, v43, s8 dst_sel:DWORD dst_unused:UNUSED_PAD src0_sel:WORD_1 src1_sel:DWORD
	;; [unrolled: 2-line block ×4, first 2 shown]
	v_pk_fma_f16 v47, v24, v23, v47
	v_pk_fma_f16 v46, v24, v41, v46
	;; [unrolled: 1-line block ×16, first 2 shown]
	ds_read2_b64 v[18:21], v13 offset0:64 offset1:96
	s_waitcnt lgkmcnt(2)
	v_mul_u32_u24_sdwa v44, v66, s8 dst_sel:DWORD dst_unused:UNUSED_PAD src0_sel:WORD_0 src1_sel:DWORD
	v_mul_u32_u24_sdwa v45, v66, s8 dst_sel:DWORD dst_unused:UNUSED_PAD src0_sel:WORD_1 src1_sel:DWORD
	v_mul_u32_u24_sdwa v65, v67, s8 dst_sel:DWORD dst_unused:UNUSED_PAD src0_sel:WORD_0 src1_sel:DWORD
	v_mul_u32_u24_sdwa v66, v67, s8 dst_sel:DWORD dst_unused:UNUSED_PAD src0_sel:WORD_1 src1_sel:DWORD
	;; [unrolled: 2-line block ×4, first 2 shown]
	s_waitcnt lgkmcnt(0)
	v_pk_fma_f16 v47, v18, v44, v47
	v_pk_fma_f16 v46, v18, v45, v46
	v_pk_fma_f16 v75, v18, v65, v77
	v_pk_fma_f16 v76, v18, v66, v78
	v_pk_fma_f16 v29, v18, v67, v29
	v_pk_fma_f16 v77, v18, v68, v79
	v_pk_fma_f16 v78, v18, v74, v80
	v_pk_fma_f16 v18, v18, v69, v22
	v_pk_fma_f16 v22, v19, v44, v23
	v_pk_fma_f16 v23, v19, v45, v24
	v_pk_fma_f16 v24, v19, v65, v41
	v_pk_fma_f16 v41, v19, v66, v42
	v_pk_fma_f16 v30, v19, v67, v30
	v_pk_fma_f16 v42, v19, v68, v43
	v_pk_fma_f16 v31, v19, v74, v31
	v_pk_fma_f16 v19, v19, v69, v25
	v_mul_u32_u24_sdwa v25, v70, s8 dst_sel:DWORD dst_unused:UNUSED_PAD src0_sel:WORD_0 src1_sel:DWORD
	v_mul_u32_u24_sdwa v43, v70, s8 dst_sel:DWORD dst_unused:UNUSED_PAD src0_sel:WORD_1 src1_sel:DWORD
	v_mul_u32_u24_sdwa v44, v71, s8 dst_sel:DWORD dst_unused:UNUSED_PAD src0_sel:WORD_0 src1_sel:DWORD
	v_mul_u32_u24_sdwa v45, v71, s8 dst_sel:DWORD dst_unused:UNUSED_PAD src0_sel:WORD_1 src1_sel:DWORD
	;; [unrolled: 2-line block ×4, first 2 shown]
	v_pk_fma_f16 v47, v20, v25, v47
	v_pk_fma_f16 v69, v20, v44, v75
	;; [unrolled: 1-line block ×6, first 2 shown]
	ds_read_b128 v[22:25], v12 offset:16960
	v_pk_fma_f16 v46, v20, v43, v46
	v_pk_fma_f16 v29, v20, v65, v29
	;; [unrolled: 1-line block ×10, first 2 shown]
	ds_read2_b64 v[18:21], v13 offset0:128 offset1:160
	ds_read_b128 v[42:45], v12 offset:16976
	s_waitcnt lgkmcnt(2)
	v_mul_u32_u24_sdwa v67, v22, s8 dst_sel:DWORD dst_unused:UNUSED_PAD src0_sel:WORD_0 src1_sel:DWORD
	v_mul_u32_u24_sdwa v22, v22, s8 dst_sel:DWORD dst_unused:UNUSED_PAD src0_sel:WORD_1 src1_sel:DWORD
	v_mul_u32_u24_sdwa v68, v23, s8 dst_sel:DWORD dst_unused:UNUSED_PAD src0_sel:WORD_0 src1_sel:DWORD
	v_mul_u32_u24_sdwa v23, v23, s8 dst_sel:DWORD dst_unused:UNUSED_PAD src0_sel:WORD_1 src1_sel:DWORD
	;; [unrolled: 2-line block ×4, first 2 shown]
	s_waitcnt lgkmcnt(1)
	v_pk_fma_f16 v47, v18, v67, v47
	v_pk_fma_f16 v46, v18, v22, v46
	;; [unrolled: 1-line block ×16, first 2 shown]
	s_waitcnt lgkmcnt(0)
	v_mul_u32_u24_sdwa v25, v42, s8 dst_sel:DWORD dst_unused:UNUSED_PAD src0_sel:WORD_0 src1_sel:DWORD
	v_mul_u32_u24_sdwa v41, v42, s8 dst_sel:DWORD dst_unused:UNUSED_PAD src0_sel:WORD_1 src1_sel:DWORD
	v_mul_u32_u24_sdwa v42, v43, s8 dst_sel:DWORD dst_unused:UNUSED_PAD src0_sel:WORD_0 src1_sel:DWORD
	v_mul_u32_u24_sdwa v43, v43, s8 dst_sel:DWORD dst_unused:UNUSED_PAD src0_sel:WORD_1 src1_sel:DWORD
	;; [unrolled: 2-line block ×4, first 2 shown]
	v_pk_fma_f16 v47, v20, v25, v47
	v_pk_fma_f16 v46, v20, v41, v46
	;; [unrolled: 1-line block ×8, first 2 shown]
	ds_read_b128 v[22:25], v12 offset:16992
	v_pk_fma_f16 v69, v20, v42, v69
	v_pk_fma_f16 v70, v20, v43, v70
	v_pk_fma_f16 v71, v20, v44, v71
	v_pk_fma_f16 v72, v20, v66, v72
	v_pk_fma_f16 v73, v20, v45, v18
	v_pk_fma_f16 v68, v21, v42, v68
	v_pk_fma_f16 v31, v21, v66, v31
	v_pk_fma_f16 v66, v21, v45, v19
	ds_read2_b64 v[18:21], v13 offset0:192 offset1:224
	ds_read_b128 v[42:45], v12 offset:17008
	s_waitcnt lgkmcnt(2)
	v_mul_u32_u24_sdwa v75, v22, s8 dst_sel:DWORD dst_unused:UNUSED_PAD src0_sel:WORD_0 src1_sel:DWORD
	v_mul_u32_u24_sdwa v22, v22, s8 dst_sel:DWORD dst_unused:UNUSED_PAD src0_sel:WORD_1 src1_sel:DWORD
	v_mul_u32_u24_sdwa v76, v23, s8 dst_sel:DWORD dst_unused:UNUSED_PAD src0_sel:WORD_0 src1_sel:DWORD
	v_mul_u32_u24_sdwa v23, v23, s8 dst_sel:DWORD dst_unused:UNUSED_PAD src0_sel:WORD_1 src1_sel:DWORD
	;; [unrolled: 2-line block ×4, first 2 shown]
	s_waitcnt lgkmcnt(1)
	v_pk_fma_f16 v47, v18, v75, v47
	v_pk_fma_f16 v46, v18, v22, v46
	;; [unrolled: 1-line block ×16, first 2 shown]
	s_waitcnt lgkmcnt(0)
	v_mul_u32_u24_sdwa v25, v42, s8 dst_sel:DWORD dst_unused:UNUSED_PAD src0_sel:WORD_0 src1_sel:DWORD
	v_mul_u32_u24_sdwa v42, v42, s8 dst_sel:DWORD dst_unused:UNUSED_PAD src0_sel:WORD_1 src1_sel:DWORD
	v_mul_u32_u24_sdwa v65, v43, s8 dst_sel:DWORD dst_unused:UNUSED_PAD src0_sel:WORD_0 src1_sel:DWORD
	v_mul_u32_u24_sdwa v43, v43, s8 dst_sel:DWORD dst_unused:UNUSED_PAD src0_sel:WORD_1 src1_sel:DWORD
	;; [unrolled: 2-line block ×4, first 2 shown]
	v_pk_fma_f16 v47, v20, v25, v47
	v_pk_fma_f16 v69, v20, v65, v69
	;; [unrolled: 1-line block ×9, first 2 shown]
	ds_read_b128 v[22:25], v12 offset:17024
	v_pk_fma_f16 v46, v20, v42, v46
	v_pk_fma_f16 v70, v20, v43, v70
	;; [unrolled: 1-line block ×7, first 2 shown]
	ds_read2_b64 v[18:21], v8 offset1:32
	ds_read_b128 v[42:45], v12 offset:17040
	s_waitcnt lgkmcnt(2)
	v_mul_u32_u24_sdwa v75, v22, s8 dst_sel:DWORD dst_unused:UNUSED_PAD src0_sel:WORD_0 src1_sel:DWORD
	v_mul_u32_u24_sdwa v22, v22, s8 dst_sel:DWORD dst_unused:UNUSED_PAD src0_sel:WORD_1 src1_sel:DWORD
	v_mul_u32_u24_sdwa v76, v23, s8 dst_sel:DWORD dst_unused:UNUSED_PAD src0_sel:WORD_0 src1_sel:DWORD
	v_mul_u32_u24_sdwa v23, v23, s8 dst_sel:DWORD dst_unused:UNUSED_PAD src0_sel:WORD_1 src1_sel:DWORD
	;; [unrolled: 2-line block ×4, first 2 shown]
	s_waitcnt lgkmcnt(1)
	v_pk_fma_f16 v47, v18, v75, v47
	v_pk_fma_f16 v46, v18, v22, v46
	;; [unrolled: 1-line block ×16, first 2 shown]
	s_waitcnt lgkmcnt(0)
	v_mul_u32_u24_sdwa v25, v42, s8 dst_sel:DWORD dst_unused:UNUSED_PAD src0_sel:WORD_0 src1_sel:DWORD
	v_mul_u32_u24_sdwa v42, v42, s8 dst_sel:DWORD dst_unused:UNUSED_PAD src0_sel:WORD_1 src1_sel:DWORD
	v_mul_u32_u24_sdwa v65, v43, s8 dst_sel:DWORD dst_unused:UNUSED_PAD src0_sel:WORD_0 src1_sel:DWORD
	v_mul_u32_u24_sdwa v43, v43, s8 dst_sel:DWORD dst_unused:UNUSED_PAD src0_sel:WORD_1 src1_sel:DWORD
	v_mul_u32_u24_sdwa v66, v44, s8 dst_sel:DWORD dst_unused:UNUSED_PAD src0_sel:WORD_0 src1_sel:DWORD
	v_mul_u32_u24_sdwa v44, v44, s8 dst_sel:DWORD dst_unused:UNUSED_PAD src0_sel:WORD_1 src1_sel:DWORD
	v_mul_u32_u24_sdwa v68, v45, s8 dst_sel:DWORD dst_unused:UNUSED_PAD src0_sel:WORD_0 src1_sel:DWORD
	v_mul_u32_u24_sdwa v45, v45, s8 dst_sel:DWORD dst_unused:UNUSED_PAD src0_sel:WORD_1 src1_sel:DWORD
	v_pk_fma_f16 v47, v20, v25, v47
	v_pk_fma_f16 v69, v20, v65, v69
	;; [unrolled: 1-line block ×9, first 2 shown]
	ds_read_b128 v[22:25], v12 offset:17056
	v_pk_fma_f16 v46, v20, v42, v46
	v_pk_fma_f16 v70, v20, v43, v70
	;; [unrolled: 1-line block ×7, first 2 shown]
	ds_read2_b64 v[18:21], v8 offset0:64 offset1:96
	ds_read_b128 v[42:45], v12 offset:17072
	s_waitcnt lgkmcnt(2)
	v_mul_u32_u24_sdwa v75, v22, s8 dst_sel:DWORD dst_unused:UNUSED_PAD src0_sel:WORD_0 src1_sel:DWORD
	v_mul_u32_u24_sdwa v22, v22, s8 dst_sel:DWORD dst_unused:UNUSED_PAD src0_sel:WORD_1 src1_sel:DWORD
	v_mul_u32_u24_sdwa v76, v23, s8 dst_sel:DWORD dst_unused:UNUSED_PAD src0_sel:WORD_0 src1_sel:DWORD
	v_mul_u32_u24_sdwa v23, v23, s8 dst_sel:DWORD dst_unused:UNUSED_PAD src0_sel:WORD_1 src1_sel:DWORD
	;; [unrolled: 2-line block ×4, first 2 shown]
	s_waitcnt lgkmcnt(1)
	v_pk_fma_f16 v47, v18, v75, v47
	v_pk_fma_f16 v46, v18, v22, v46
	;; [unrolled: 1-line block ×16, first 2 shown]
	s_waitcnt lgkmcnt(0)
	v_mul_u32_u24_sdwa v25, v42, s8 dst_sel:DWORD dst_unused:UNUSED_PAD src0_sel:WORD_0 src1_sel:DWORD
	v_mul_u32_u24_sdwa v42, v42, s8 dst_sel:DWORD dst_unused:UNUSED_PAD src0_sel:WORD_1 src1_sel:DWORD
	v_mul_u32_u24_sdwa v65, v43, s8 dst_sel:DWORD dst_unused:UNUSED_PAD src0_sel:WORD_0 src1_sel:DWORD
	v_mul_u32_u24_sdwa v43, v43, s8 dst_sel:DWORD dst_unused:UNUSED_PAD src0_sel:WORD_1 src1_sel:DWORD
	;; [unrolled: 2-line block ×3, first 2 shown]
	v_pk_fma_f16 v47, v20, v25, v47
	v_pk_fma_f16 v69, v20, v65, v69
	;; [unrolled: 1-line block ×7, first 2 shown]
	ds_read_b128 v[22:25], v12 offset:17088
	v_mul_u32_u24_sdwa v68, v45, s8 dst_sel:DWORD dst_unused:UNUSED_PAD src0_sel:WORD_0 src1_sel:DWORD
	v_mul_u32_u24_sdwa v45, v45, s8 dst_sel:DWORD dst_unused:UNUSED_PAD src0_sel:WORD_1 src1_sel:DWORD
	v_pk_fma_f16 v46, v20, v42, v46
	v_pk_fma_f16 v70, v20, v43, v70
	;; [unrolled: 1-line block ×9, first 2 shown]
	ds_read2_b64 v[18:21], v8 offset0:128 offset1:160
	ds_read_b128 v[42:45], v12 offset:17104
	s_or_b32 s4, s28, 48
	s_mul_hi_i32 s5, s4, s2
	s_mul_i32 s4, s4, s2
	s_sub_i32 s2, s18, 48
	s_waitcnt lgkmcnt(2)
	v_mul_u32_u24_sdwa v66, v22, s8 dst_sel:DWORD dst_unused:UNUSED_PAD src0_sel:WORD_0 src1_sel:DWORD
	v_mul_u32_u24_sdwa v77, v22, s8 dst_sel:DWORD dst_unused:UNUSED_PAD src0_sel:WORD_1 src1_sel:DWORD
	v_mul_u32_u24_sdwa v78, v23, s8 dst_sel:DWORD dst_unused:UNUSED_PAD src0_sel:WORD_0 src1_sel:DWORD
	v_mul_u32_u24_sdwa v79, v23, s8 dst_sel:DWORD dst_unused:UNUSED_PAD src0_sel:WORD_1 src1_sel:DWORD
	;; [unrolled: 2-line block ×4, first 2 shown]
	v_lshl_add_u64 v[10:11], s[4:5], 2, v[10:11]
	v_cmp_gt_i32_e32 vcc, s2, v14
	s_waitcnt lgkmcnt(1)
	v_pk_fma_f16 v47, v18, v66, v47
	v_pk_fma_f16 v46, v18, v77, v46
	;; [unrolled: 1-line block ×9, first 2 shown]
	ds_read2_b64 v[22:25], v8 offset0:192 offset1:224
	ds_read_b128 v[66:69], v12 offset:17120
	ds_read_b128 v[70:73], v12 offset:17136
	s_waitcnt lgkmcnt(0)
	s_barrier
	scratch_store_dword off, v9, off
	scratch_store_dwordx3 off, v[26:28], off offset:4
	v_cndmask_b32_e32 v11, v15, v11, vcc
	v_cndmask_b32_e32 v10, v17, v10, vcc
	flat_load_dwordx4 v[26:29], v[10:11]
	v_pk_fma_f16 v9, v19, v77, v74
	v_pk_fma_f16 v10, v19, v78, v41
	v_pk_fma_f16 v11, v19, v79, v65
	v_pk_fma_f16 v14, v19, v80, v30
	v_pk_fma_f16 v15, v19, v81, v75
	v_pk_fma_f16 v17, v19, v82, v31
	v_pk_fma_f16 v19, v19, v83, v76
	v_mul_u32_u24_sdwa v30, v42, s8 dst_sel:DWORD dst_unused:UNUSED_PAD src0_sel:WORD_0 src1_sel:DWORD
	v_mul_u32_u24_sdwa v31, v42, s8 dst_sel:DWORD dst_unused:UNUSED_PAD src0_sel:WORD_1 src1_sel:DWORD
	v_mul_u32_u24_sdwa v41, v43, s8 dst_sel:DWORD dst_unused:UNUSED_PAD src0_sel:WORD_0 src1_sel:DWORD
	v_mul_u32_u24_sdwa v42, v43, s8 dst_sel:DWORD dst_unused:UNUSED_PAD src0_sel:WORD_1 src1_sel:DWORD
	v_mul_u32_u24_sdwa v43, v44, s8 dst_sel:DWORD dst_unused:UNUSED_PAD src0_sel:WORD_0 src1_sel:DWORD
	v_mul_u32_u24_sdwa v44, v44, s8 dst_sel:DWORD dst_unused:UNUSED_PAD src0_sel:WORD_1 src1_sel:DWORD
	v_mul_u32_u24_sdwa v65, v45, s8 dst_sel:DWORD dst_unused:UNUSED_PAD src0_sel:WORD_0 src1_sel:DWORD
	v_mul_u32_u24_sdwa v45, v45, s8 dst_sel:DWORD dst_unused:UNUSED_PAD src0_sel:WORD_1 src1_sel:DWORD
	v_pk_fma_f16 v47, v20, v30, v47
	v_pk_fma_f16 v46, v20, v31, v46
	v_pk_fma_f16 v74, v20, v41, v84
	v_pk_fma_f16 v75, v20, v42, v85
	v_pk_fma_f16 v76, v20, v43, v86
	v_pk_fma_f16 v77, v20, v44, v87
	v_pk_fma_f16 v78, v20, v65, v88
	v_pk_fma_f16 v18, v20, v45, v18
	v_pk_fma_f16 v20, v21, v30, v89
	v_pk_fma_f16 v9, v21, v31, v9
	v_pk_fma_f16 v10, v21, v41, v10
	v_pk_fma_f16 v11, v21, v42, v11
	v_pk_fma_f16 v14, v21, v43, v14
	v_pk_fma_f16 v15, v21, v44, v15
	v_pk_fma_f16 v17, v21, v65, v17
	v_pk_fma_f16 v19, v21, v45, v19
	v_mul_u32_u24_sdwa v21, v66, s8 dst_sel:DWORD dst_unused:UNUSED_PAD src0_sel:WORD_0 src1_sel:DWORD
	v_mul_u32_u24_sdwa v30, v66, s8 dst_sel:DWORD dst_unused:UNUSED_PAD src0_sel:WORD_1 src1_sel:DWORD
	v_mul_u32_u24_sdwa v31, v67, s8 dst_sel:DWORD dst_unused:UNUSED_PAD src0_sel:WORD_0 src1_sel:DWORD
	v_mul_u32_u24_sdwa v41, v67, s8 dst_sel:DWORD dst_unused:UNUSED_PAD src0_sel:WORD_1 src1_sel:DWORD
	v_mul_u32_u24_sdwa v42, v68, s8 dst_sel:DWORD dst_unused:UNUSED_PAD src0_sel:WORD_0 src1_sel:DWORD
	v_mul_u32_u24_sdwa v43, v68, s8 dst_sel:DWORD dst_unused:UNUSED_PAD src0_sel:WORD_1 src1_sel:DWORD
	v_mul_u32_u24_sdwa v44, v69, s8 dst_sel:DWORD dst_unused:UNUSED_PAD src0_sel:WORD_0 src1_sel:DWORD
	v_mul_u32_u24_sdwa v45, v69, s8 dst_sel:DWORD dst_unused:UNUSED_PAD src0_sel:WORD_1 src1_sel:DWORD
	v_pk_fma_f16 v47, v22, v21, v47
	v_pk_fma_f16 v46, v22, v30, v46
	v_pk_fma_f16 v65, v22, v31, v74
	v_pk_fma_f16 v66, v22, v41, v75
	v_pk_fma_f16 v67, v22, v42, v76
	v_pk_fma_f16 v68, v22, v43, v77
	v_pk_fma_f16 v69, v22, v44, v78
	v_pk_fma_f16 v18, v22, v45, v18
	v_pk_fma_f16 v20, v23, v21, v20
	;; [unrolled: 24-line block ×3, first 2 shown]
	v_pk_fma_f16 v9, v25, v22, v9
	v_pk_fma_f16 v10, v25, v23, v10
	;; [unrolled: 1-line block ×7, first 2 shown]
	s_waitcnt vmcnt(0) lgkmcnt(0)
	ds_write_b128 v16, v[26:29] offset:24576
	s_waitcnt lgkmcnt(0)
	s_barrier
	ds_read_b128 v[14:17], v12 offset:17152
	ds_read2_b64 v[18:21], v13 offset1:32
	ds_read_b128 v[22:25], v12 offset:17168
	ds_read_b128 v[26:29], v12 offset:17184
	;; [unrolled: 1-line block ×3, first 2 shown]
	s_waitcnt lgkmcnt(4)
	v_mul_u32_u24_sdwa v73, v14, s8 dst_sel:DWORD dst_unused:UNUSED_PAD src0_sel:WORD_0 src1_sel:DWORD
	v_mul_u32_u24_sdwa v14, v14, s8 dst_sel:DWORD dst_unused:UNUSED_PAD src0_sel:WORD_1 src1_sel:DWORD
	v_mul_u32_u24_sdwa v74, v15, s8 dst_sel:DWORD dst_unused:UNUSED_PAD src0_sel:WORD_0 src1_sel:DWORD
	v_mul_u32_u24_sdwa v15, v15, s8 dst_sel:DWORD dst_unused:UNUSED_PAD src0_sel:WORD_1 src1_sel:DWORD
	;; [unrolled: 2-line block ×4, first 2 shown]
	s_waitcnt lgkmcnt(3)
	v_pk_fma_f16 v47, v18, v73, v47
	v_pk_fma_f16 v46, v18, v14, v46
	;; [unrolled: 1-line block ×16, first 2 shown]
	s_waitcnt lgkmcnt(2)
	v_mul_u32_u24_sdwa v19, v22, s8 dst_sel:DWORD dst_unused:UNUSED_PAD src0_sel:WORD_0 src1_sel:DWORD
	v_mul_u32_u24_sdwa v22, v22, s8 dst_sel:DWORD dst_unused:UNUSED_PAD src0_sel:WORD_1 src1_sel:DWORD
	v_mul_u32_u24_sdwa v30, v23, s8 dst_sel:DWORD dst_unused:UNUSED_PAD src0_sel:WORD_0 src1_sel:DWORD
	v_mul_u32_u24_sdwa v23, v23, s8 dst_sel:DWORD dst_unused:UNUSED_PAD src0_sel:WORD_1 src1_sel:DWORD
	;; [unrolled: 2-line block ×4, first 2 shown]
	v_pk_fma_f16 v47, v20, v19, v47
	v_pk_fma_f16 v46, v20, v22, v46
	;; [unrolled: 1-line block ×16, first 2 shown]
	ds_read2_b64 v[14:17], v13 offset0:64 offset1:96
	s_waitcnt lgkmcnt(2)
	v_mul_u32_u24_sdwa v24, v26, s8 dst_sel:DWORD dst_unused:UNUSED_PAD src0_sel:WORD_0 src1_sel:DWORD
	v_mul_u32_u24_sdwa v25, v26, s8 dst_sel:DWORD dst_unused:UNUSED_PAD src0_sel:WORD_1 src1_sel:DWORD
	v_mul_u32_u24_sdwa v26, v27, s8 dst_sel:DWORD dst_unused:UNUSED_PAD src0_sel:WORD_0 src1_sel:DWORD
	v_mul_u32_u24_sdwa v27, v27, s8 dst_sel:DWORD dst_unused:UNUSED_PAD src0_sel:WORD_1 src1_sel:DWORD
	;; [unrolled: 2-line block ×4, first 2 shown]
	s_waitcnt lgkmcnt(0)
	v_pk_fma_f16 v41, v14, v24, v47
	v_pk_fma_f16 v46, v14, v25, v46
	;; [unrolled: 1-line block ×16, first 2 shown]
	v_mul_u32_u24_sdwa v21, v42, s8 dst_sel:DWORD dst_unused:UNUSED_PAD src0_sel:WORD_0 src1_sel:DWORD
	v_mul_u32_u24_sdwa v24, v43, s8 dst_sel:DWORD dst_unused:UNUSED_PAD src0_sel:WORD_0 src1_sel:DWORD
	;; [unrolled: 1-line block ×3, first 2 shown]
	v_mul_u32_u24_sdwa v27, v44, s8 dst_sel:DWORD dst_unused:UNUSED_PAD src0_sel:WORD_1 src1_sel:DWORD
	v_mul_u32_u24_sdwa v23, v42, s8 dst_sel:DWORD dst_unused:UNUSED_PAD src0_sel:WORD_1 src1_sel:DWORD
	;; [unrolled: 1-line block ×3, first 2 shown]
	v_mul_u32_u24_sdwa v28, v45, s8 dst_sel:DWORD dst_unused:UNUSED_PAD src0_sel:WORD_0 src1_sel:DWORD
	v_mul_u32_u24_sdwa v29, v45, s8 dst_sel:DWORD dst_unused:UNUSED_PAD src0_sel:WORD_1 src1_sel:DWORD
	v_pk_fma_f16 v30, v16, v21, v41
	v_pk_fma_f16 v41, v16, v24, v47
	;; [unrolled: 1-line block ×7, first 2 shown]
	ds_read_b128 v[18:21], v12 offset:17216
	v_pk_fma_f16 v31, v16, v23, v46
	v_pk_fma_f16 v42, v16, v25, v65
	;; [unrolled: 1-line block ×9, first 2 shown]
	ds_read2_b64 v[14:17], v13 offset0:128 offset1:160
	ds_read_b128 v[22:25], v12 offset:17232
	s_waitcnt lgkmcnt(2)
	v_mul_u32_u24_sdwa v65, v18, s8 dst_sel:DWORD dst_unused:UNUSED_PAD src0_sel:WORD_0 src1_sel:DWORD
	v_mul_u32_u24_sdwa v18, v18, s8 dst_sel:DWORD dst_unused:UNUSED_PAD src0_sel:WORD_1 src1_sel:DWORD
	v_mul_u32_u24_sdwa v66, v19, s8 dst_sel:DWORD dst_unused:UNUSED_PAD src0_sel:WORD_0 src1_sel:DWORD
	v_mul_u32_u24_sdwa v19, v19, s8 dst_sel:DWORD dst_unused:UNUSED_PAD src0_sel:WORD_1 src1_sel:DWORD
	;; [unrolled: 2-line block ×4, first 2 shown]
	s_waitcnt lgkmcnt(1)
	v_pk_fma_f16 v30, v14, v65, v30
	v_pk_fma_f16 v31, v14, v18, v31
	v_pk_fma_f16 v41, v14, v66, v41
	v_pk_fma_f16 v42, v14, v19, v42
	v_pk_fma_f16 v43, v14, v67, v43
	v_pk_fma_f16 v44, v14, v20, v44
	v_pk_fma_f16 v45, v14, v68, v45
	v_pk_fma_f16 v14, v14, v21, v46
	v_pk_fma_f16 v46, v15, v65, v47
	v_pk_fma_f16 v9, v15, v18, v9
	v_pk_fma_f16 v10, v15, v66, v10
	v_pk_fma_f16 v11, v15, v19, v11
	v_pk_fma_f16 v18, v15, v67, v26
	v_pk_fma_f16 v19, v15, v20, v27
	v_pk_fma_f16 v26, v15, v68, v28
	v_pk_fma_f16 v15, v15, v21, v29
	s_waitcnt lgkmcnt(0)
	v_mul_u32_u24_sdwa v20, v22, s8 dst_sel:DWORD dst_unused:UNUSED_PAD src0_sel:WORD_0 src1_sel:DWORD
	v_mul_u32_u24_sdwa v21, v22, s8 dst_sel:DWORD dst_unused:UNUSED_PAD src0_sel:WORD_1 src1_sel:DWORD
	v_mul_u32_u24_sdwa v22, v23, s8 dst_sel:DWORD dst_unused:UNUSED_PAD src0_sel:WORD_0 src1_sel:DWORD
	v_mul_u32_u24_sdwa v23, v23, s8 dst_sel:DWORD dst_unused:UNUSED_PAD src0_sel:WORD_1 src1_sel:DWORD
	;; [unrolled: 2-line block ×4, first 2 shown]
	v_pk_fma_f16 v29, v16, v20, v30
	v_pk_fma_f16 v30, v16, v21, v31
	;; [unrolled: 1-line block ×9, first 2 shown]
	ds_read_b128 v[18:21], v12 offset:17248
	v_pk_fma_f16 v43, v16, v24, v44
	v_pk_fma_f16 v44, v16, v28, v45
	;; [unrolled: 1-line block ×7, first 2 shown]
	ds_read2_b64 v[14:17], v13 offset0:192 offset1:224
	ds_read_b128 v[22:25], v12 offset:17264
	s_waitcnt lgkmcnt(2)
	v_mul_u32_u24_sdwa v13, v18, s8 dst_sel:DWORD dst_unused:UNUSED_PAD src0_sel:WORD_0 src1_sel:DWORD
	v_mul_u32_u24_sdwa v18, v18, s8 dst_sel:DWORD dst_unused:UNUSED_PAD src0_sel:WORD_1 src1_sel:DWORD
	v_mul_u32_u24_sdwa v65, v19, s8 dst_sel:DWORD dst_unused:UNUSED_PAD src0_sel:WORD_0 src1_sel:DWORD
	v_mul_u32_u24_sdwa v19, v19, s8 dst_sel:DWORD dst_unused:UNUSED_PAD src0_sel:WORD_1 src1_sel:DWORD
	;; [unrolled: 2-line block ×4, first 2 shown]
	s_waitcnt lgkmcnt(1)
	v_pk_fma_f16 v29, v14, v13, v29
	v_pk_fma_f16 v30, v14, v18, v30
	;; [unrolled: 1-line block ×16, first 2 shown]
	s_waitcnt lgkmcnt(0)
	v_mul_u32_u24_sdwa v20, v22, s8 dst_sel:DWORD dst_unused:UNUSED_PAD src0_sel:WORD_0 src1_sel:DWORD
	v_mul_u32_u24_sdwa v21, v22, s8 dst_sel:DWORD dst_unused:UNUSED_PAD src0_sel:WORD_1 src1_sel:DWORD
	v_mul_u32_u24_sdwa v27, v24, s8 dst_sel:DWORD dst_unused:UNUSED_PAD src0_sel:WORD_0 src1_sel:DWORD
	v_mul_u32_u24_sdwa v24, v24, s8 dst_sel:DWORD dst_unused:UNUSED_PAD src0_sel:WORD_1 src1_sel:DWORD
	;; [unrolled: 2-line block ×4, first 2 shown]
	v_pk_fma_f16 v29, v16, v20, v29
	v_pk_fma_f16 v30, v16, v21, v30
	;; [unrolled: 1-line block ×7, first 2 shown]
	ds_read_b128 v[18:21], v12 offset:17280
	v_pk_fma_f16 v31, v16, v22, v31
	v_pk_fma_f16 v41, v16, v23, v41
	v_pk_fma_f16 v43, v16, v24, v43
	v_pk_fma_f16 v44, v16, v28, v44
	v_pk_fma_f16 v45, v16, v25, v14
	v_pk_fma_f16 v10, v17, v22, v10
	v_pk_fma_f16 v11, v17, v23, v11
	v_pk_fma_f16 v26, v17, v28, v26
	v_pk_fma_f16 v28, v17, v25, v15
	ds_read2_b64 v[14:17], v8 offset1:32
	ds_read_b128 v[22:25], v12 offset:17296
	s_waitcnt lgkmcnt(2)
	v_mul_u32_u24_sdwa v47, v18, s8 dst_sel:DWORD dst_unused:UNUSED_PAD src0_sel:WORD_0 src1_sel:DWORD
	v_mul_u32_u24_sdwa v18, v18, s8 dst_sel:DWORD dst_unused:UNUSED_PAD src0_sel:WORD_1 src1_sel:DWORD
	v_mul_u32_u24_sdwa v65, v19, s8 dst_sel:DWORD dst_unused:UNUSED_PAD src0_sel:WORD_0 src1_sel:DWORD
	v_mul_u32_u24_sdwa v19, v19, s8 dst_sel:DWORD dst_unused:UNUSED_PAD src0_sel:WORD_1 src1_sel:DWORD
	;; [unrolled: 2-line block ×4, first 2 shown]
	s_waitcnt lgkmcnt(1)
	v_pk_fma_f16 v29, v14, v47, v29
	v_pk_fma_f16 v30, v14, v18, v30
	v_pk_fma_f16 v31, v14, v65, v31
	v_pk_fma_f16 v41, v14, v19, v41
	v_pk_fma_f16 v42, v14, v66, v42
	v_pk_fma_f16 v43, v14, v20, v43
	v_pk_fma_f16 v44, v14, v67, v44
	v_pk_fma_f16 v14, v14, v21, v45
	v_pk_fma_f16 v13, v15, v47, v13
	v_pk_fma_f16 v9, v15, v18, v9
	v_pk_fma_f16 v10, v15, v65, v10
	v_pk_fma_f16 v11, v15, v19, v11
	v_pk_fma_f16 v18, v15, v66, v27
	v_pk_fma_f16 v19, v15, v20, v46
	v_pk_fma_f16 v26, v15, v67, v26
	v_pk_fma_f16 v15, v15, v21, v28
	s_waitcnt lgkmcnt(0)
	v_mul_u32_u24_sdwa v20, v22, s8 dst_sel:DWORD dst_unused:UNUSED_PAD src0_sel:WORD_0 src1_sel:DWORD
	v_mul_u32_u24_sdwa v21, v22, s8 dst_sel:DWORD dst_unused:UNUSED_PAD src0_sel:WORD_1 src1_sel:DWORD
	v_mul_u32_u24_sdwa v27, v24, s8 dst_sel:DWORD dst_unused:UNUSED_PAD src0_sel:WORD_0 src1_sel:DWORD
	v_mul_u32_u24_sdwa v24, v24, s8 dst_sel:DWORD dst_unused:UNUSED_PAD src0_sel:WORD_1 src1_sel:DWORD
	;; [unrolled: 2-line block ×4, first 2 shown]
	v_pk_fma_f16 v29, v16, v20, v29
	v_pk_fma_f16 v30, v16, v21, v30
	;; [unrolled: 1-line block ×7, first 2 shown]
	ds_read_b128 v[18:21], v12 offset:17312
	v_pk_fma_f16 v31, v16, v22, v31
	v_pk_fma_f16 v41, v16, v23, v41
	;; [unrolled: 1-line block ×9, first 2 shown]
	ds_read2_b64 v[14:17], v8 offset0:64 offset1:96
	ds_read_b128 v[22:25], v12 offset:17328
	s_waitcnt lgkmcnt(2)
	v_mul_u32_u24_sdwa v47, v18, s8 dst_sel:DWORD dst_unused:UNUSED_PAD src0_sel:WORD_0 src1_sel:DWORD
	v_mul_u32_u24_sdwa v18, v18, s8 dst_sel:DWORD dst_unused:UNUSED_PAD src0_sel:WORD_1 src1_sel:DWORD
	v_mul_u32_u24_sdwa v65, v19, s8 dst_sel:DWORD dst_unused:UNUSED_PAD src0_sel:WORD_0 src1_sel:DWORD
	v_mul_u32_u24_sdwa v19, v19, s8 dst_sel:DWORD dst_unused:UNUSED_PAD src0_sel:WORD_1 src1_sel:DWORD
	;; [unrolled: 2-line block ×4, first 2 shown]
	s_waitcnt lgkmcnt(1)
	v_pk_fma_f16 v29, v14, v47, v29
	v_pk_fma_f16 v30, v14, v18, v30
	;; [unrolled: 1-line block ×16, first 2 shown]
	s_waitcnt lgkmcnt(0)
	v_mul_u32_u24_sdwa v20, v22, s8 dst_sel:DWORD dst_unused:UNUSED_PAD src0_sel:WORD_0 src1_sel:DWORD
	v_mul_u32_u24_sdwa v21, v22, s8 dst_sel:DWORD dst_unused:UNUSED_PAD src0_sel:WORD_1 src1_sel:DWORD
	v_mul_u32_u24_sdwa v27, v24, s8 dst_sel:DWORD dst_unused:UNUSED_PAD src0_sel:WORD_0 src1_sel:DWORD
	v_mul_u32_u24_sdwa v24, v24, s8 dst_sel:DWORD dst_unused:UNUSED_PAD src0_sel:WORD_1 src1_sel:DWORD
	;; [unrolled: 2-line block ×4, first 2 shown]
	v_pk_fma_f16 v29, v16, v20, v29
	v_pk_fma_f16 v30, v16, v21, v30
	;; [unrolled: 1-line block ×7, first 2 shown]
	ds_read_b128 v[18:21], v12 offset:17344
	v_pk_fma_f16 v31, v16, v22, v31
	v_pk_fma_f16 v41, v16, v23, v41
	;; [unrolled: 1-line block ×9, first 2 shown]
	ds_read2_b64 v[14:17], v8 offset0:128 offset1:160
	ds_read_b128 v[22:25], v12 offset:17360
	s_waitcnt lgkmcnt(2)
	v_mul_u32_u24_sdwa v47, v18, s8 dst_sel:DWORD dst_unused:UNUSED_PAD src0_sel:WORD_0 src1_sel:DWORD
	v_mul_u32_u24_sdwa v18, v18, s8 dst_sel:DWORD dst_unused:UNUSED_PAD src0_sel:WORD_1 src1_sel:DWORD
	v_mul_u32_u24_sdwa v65, v19, s8 dst_sel:DWORD dst_unused:UNUSED_PAD src0_sel:WORD_0 src1_sel:DWORD
	v_mul_u32_u24_sdwa v19, v19, s8 dst_sel:DWORD dst_unused:UNUSED_PAD src0_sel:WORD_1 src1_sel:DWORD
	;; [unrolled: 2-line block ×4, first 2 shown]
	s_waitcnt lgkmcnt(1)
	v_pk_fma_f16 v29, v14, v47, v29
	v_pk_fma_f16 v30, v14, v18, v30
	;; [unrolled: 1-line block ×16, first 2 shown]
	s_waitcnt lgkmcnt(0)
	v_mul_u32_u24_sdwa v20, v22, s8 dst_sel:DWORD dst_unused:UNUSED_PAD src0_sel:WORD_0 src1_sel:DWORD
	v_mul_u32_u24_sdwa v21, v22, s8 dst_sel:DWORD dst_unused:UNUSED_PAD src0_sel:WORD_1 src1_sel:DWORD
	v_mul_u32_u24_sdwa v27, v24, s8 dst_sel:DWORD dst_unused:UNUSED_PAD src0_sel:WORD_0 src1_sel:DWORD
	v_mul_u32_u24_sdwa v24, v24, s8 dst_sel:DWORD dst_unused:UNUSED_PAD src0_sel:WORD_1 src1_sel:DWORD
	;; [unrolled: 2-line block ×4, first 2 shown]
	v_pk_fma_f16 v29, v16, v20, v29
	v_pk_fma_f16 v30, v16, v21, v30
	;; [unrolled: 1-line block ×8, first 2 shown]
	ds_read_b128 v[18:21], v12 offset:17376
	v_pk_fma_f16 v31, v16, v22, v31
	v_pk_fma_f16 v41, v16, v23, v41
	;; [unrolled: 1-line block ×8, first 2 shown]
	ds_read2_b64 v[8:11], v8 offset0:192 offset1:224
	ds_read_b128 v[12:15], v12 offset:17392
	s_waitcnt lgkmcnt(2)
	v_mul_u32_u24_sdwa v25, v18, s8 dst_sel:DWORD dst_unused:UNUSED_PAD src0_sel:WORD_0 src1_sel:DWORD
	v_mul_u32_u24_sdwa v18, v18, s8 dst_sel:DWORD dst_unused:UNUSED_PAD src0_sel:WORD_1 src1_sel:DWORD
	v_mul_u32_u24_sdwa v28, v19, s8 dst_sel:DWORD dst_unused:UNUSED_PAD src0_sel:WORD_0 src1_sel:DWORD
	v_mul_u32_u24_sdwa v19, v19, s8 dst_sel:DWORD dst_unused:UNUSED_PAD src0_sel:WORD_1 src1_sel:DWORD
	;; [unrolled: 2-line block ×4, first 2 shown]
	s_waitcnt lgkmcnt(1)
	v_pk_fma_f16 v29, v8, v25, v29
	v_pk_fma_f16 v30, v8, v18, v30
	;; [unrolled: 1-line block ×16, first 2 shown]
	s_waitcnt lgkmcnt(0)
	v_mul_u32_u24_sdwa v17, v12, s8 dst_sel:DWORD dst_unused:UNUSED_PAD src0_sel:WORD_0 src1_sel:DWORD
	v_mul_u32_u24_sdwa v12, v12, s8 dst_sel:DWORD dst_unused:UNUSED_PAD src0_sel:WORD_1 src1_sel:DWORD
	v_mul_u32_u24_sdwa v21, v13, s8 dst_sel:DWORD dst_unused:UNUSED_PAD src0_sel:WORD_0 src1_sel:DWORD
	v_mul_u32_u24_sdwa v13, v13, s8 dst_sel:DWORD dst_unused:UNUSED_PAD src0_sel:WORD_1 src1_sel:DWORD
	;; [unrolled: 2-line block ×4, first 2 shown]
	v_pk_fma_f16 v90, v10, v17, v29
	v_pk_fma_f16 v88, v10, v12, v30
	v_pk_fma_f16 v84, v10, v21, v31
	v_pk_fma_f16 v78, v10, v25, v42
	v_pk_fma_f16 v72, v10, v26, v44
	v_pk_fma_f16 v91, v11, v17, v16
	v_pk_fma_f16 v89, v11, v12, v18
	v_pk_fma_f16 v85, v11, v21, v22
	v_pk_fma_f16 v82, v11, v13, v19
	v_pk_fma_f16 v79, v11, v25, v23
	v_pk_fma_f16 v76, v11, v14, v20
	v_pk_fma_f16 v73, v11, v26, v24
	v_mov_b64_e32 v[24:25], v[32:33]
	v_mov_b64_e32 v[22:23], v[6:7]
	v_pk_fma_f16 v80, v10, v13, v41
	v_pk_fma_f16 v75, v10, v14, v43
	;; [unrolled: 1-line block ×4, first 2 shown]
	v_mov_b64_e32 v[26:27], v[34:35]
	v_mov_b64_e32 v[28:29], v[36:37]
	;; [unrolled: 1-line block ×6, first 2 shown]
	s_barrier
.LBB86_264:
	v_cmp_lt_i32_e32 vcc, v95, v93
	s_cmp_eq_u64 s[16:17], 0
	s_cselect_b64 s[4:5], -1, 0
	v_cndmask_b32_e32 v0, v92, v95, vcc
	v_lshlrev_b32_e32 v9, 2, v0
	ds_bpermute_b32 v4, v9, v18
	ds_bpermute_b32 v5, v9, v19
	;; [unrolled: 1-line block ×4, first 2 shown]
	v_cmp_lt_i32_e32 vcc, v98, v93
	ds_bpermute_b32 v10, v9, v22
	s_waitcnt lgkmcnt(3)
	v_pk_add_f32 v[4:5], v[18:19], v[4:5]
	v_cndmask_b32_e32 v2, v92, v98, vcc
	v_cmp_lt_i32_e32 vcc, v96, v93
	v_lshlrev_b32_e32 v15, 2, v2
	s_waitcnt lgkmcnt(1)
	v_pk_add_f32 v[0:1], v[16:17], v[0:1]
	v_cndmask_b32_e32 v2, v92, v96, vcc
	v_cmp_lt_i32_e32 vcc, v97, v93
	ds_bpermute_b32 v7, v15, v5
	v_lshlrev_b32_e32 v32, 2, v2
	v_cndmask_b32_e32 v6, v92, v97, vcc
	v_lshlrev_b32_e32 v17, 2, v6
	ds_bpermute_b32 v6, v15, v4
	ds_bpermute_b32 v11, v9, v23
	v_cmp_lt_i32_e32 vcc, v94, v93
	ds_bpermute_b32 v2, v15, v0
	ds_bpermute_b32 v3, v15, v1
	s_waitcnt lgkmcnt(3)
	v_pk_add_f32 v[4:5], v[4:5], v[6:7]
	ds_bpermute_b32 v6, v32, v4
	ds_bpermute_b32 v7, v32, v5
	s_waitcnt lgkmcnt(4)
	v_pk_add_f32 v[10:11], v[22:23], v[10:11]
	v_cndmask_b32_e32 v8, v92, v94, vcc
	ds_bpermute_b32 v14, v15, v10
	v_lshlrev_b32_e32 v33, 2, v8
	s_waitcnt lgkmcnt(1)
	v_pk_add_f32 v[4:5], v[4:5], v[6:7]
	ds_bpermute_b32 v6, v9, v20
	ds_bpermute_b32 v7, v9, v21
	;; [unrolled: 1-line block ×4, first 2 shown]
	v_pk_add_f32 v[0:1], v[0:1], v[2:3]
	ds_bpermute_b32 v2, v32, v0
	s_waitcnt lgkmcnt(3)
	v_pk_add_f32 v[6:7], v[20:21], v[6:7]
	ds_bpermute_b32 v12, v15, v6
	ds_bpermute_b32 v13, v15, v7
	;; [unrolled: 1-line block ×4, first 2 shown]
	s_waitcnt lgkmcnt(5)
	v_pk_add_f32 v[4:5], v[4:5], v[8:9]
	ds_bpermute_b32 v16, v33, v4
	s_waitcnt lgkmcnt(3)
	v_pk_add_f32 v[6:7], v[6:7], v[12:13]
	s_waitcnt lgkmcnt(2)
	v_pk_add_f32 v[10:11], v[10:11], v[14:15]
	ds_bpermute_b32 v8, v32, v6
	ds_bpermute_b32 v9, v32, v7
	;; [unrolled: 1-line block ×4, first 2 shown]
	s_waitcnt lgkmcnt(5)
	v_pk_add_f32 v[0:1], v[0:1], v[2:3]
	ds_bpermute_b32 v2, v17, v0
	s_waitcnt lgkmcnt(3)
	v_pk_add_f32 v[6:7], v[6:7], v[8:9]
	ds_bpermute_b32 v3, v17, v1
	;; [unrolled: 3-line block ×3, first 2 shown]
	ds_bpermute_b32 v9, v17, v7
	ds_bpermute_b32 v12, v17, v10
	;; [unrolled: 1-line block ×3, first 2 shown]
	s_waitcnt lgkmcnt(4)
	v_pk_add_f32 v[0:1], v[0:1], v[2:3]
	ds_bpermute_b32 v2, v33, v0
	s_waitcnt lgkmcnt(3)
	v_pk_add_f32 v[6:7], v[6:7], v[8:9]
	ds_bpermute_b32 v3, v33, v1
	;; [unrolled: 3-line block ×3, first 2 shown]
	ds_bpermute_b32 v8, v33, v6
	ds_bpermute_b32 v9, v33, v7
	;; [unrolled: 1-line block ×4, first 2 shown]
	s_cmp_lg_u32 s3, 0
	s_cselect_b64 s[6:7], -1, 0
	s_or_b64 s[4:5], s[6:7], s[4:5]
	s_waitcnt lgkmcnt(5)
	v_pk_add_f32 v[14:15], v[0:1], v[2:3]
	s_waitcnt lgkmcnt(4)
	v_pk_add_f32 v[12:13], v[4:5], v[16:17]
	;; [unrolled: 2-line block ×4, first 2 shown]
	s_and_b64 vcc, exec, s[4:5]
	s_cbranch_vccnz .LBB86_266
; %bb.265:
	s_lshl_b64 s[4:5], s[34:35], 2
	s_add_u32 s4, s16, s4
	s_addc_u32 s5, s17, s5
	v_mov_b32_e32 v0, 0
	global_load_dword v32, v0, s[4:5]
	v_max_f32_e32 v0, v24, v24
	v_max_f32_e32 v1, v25, v25
	s_mov_b32 s5, 0x3fb8aa3b
	v_max_f32_e32 v2, v26, v26
	s_mov_b32 s2, 0xc2ce8ed0
	s_mov_b32 s4, 0x42b17218
	v_mov_b32_e32 v33, 0x7f800000
	s_waitcnt vmcnt(0)
	v_max_f32_e32 v7, v32, v32
	v_max_f32_e32 v0, v0, v7
	v_sub_f32_e32 v3, v24, v0
	v_max_f32_e32 v1, v1, v7
	v_sub_f32_e32 v4, v32, v0
	v_mul_f32_e32 v16, 0x3fb8aa3b, v3
	v_max_f32_e32 v2, v2, v7
	v_sub_f32_e32 v5, v25, v1
	v_mul_f32_e32 v17, 0x3fb8aa3b, v4
	v_fma_f32 v24, v3, s5, -v16
	v_rndne_f32_e32 v25, v16
	v_sub_f32_e32 v6, v32, v1
	v_sub_f32_e32 v20, v26, v2
	v_mul_f32_e32 v18, 0x3fb8aa3b, v5
	v_fma_f32 v26, v4, s5, -v17
	v_rndne_f32_e32 v34, v17
	v_fmac_f32_e32 v24, 0x32a5705f, v3
	v_sub_f32_e32 v16, v16, v25
	v_mul_f32_e32 v19, 0x3fb8aa3b, v6
	v_fma_f32 v35, v5, s5, -v18
	v_rndne_f32_e32 v36, v18
	v_fmac_f32_e32 v26, 0x32a5705f, v4
	v_sub_f32_e32 v17, v17, v34
	v_add_f32_e32 v16, v16, v24
	v_mul_f32_e32 v22, 0x3fb8aa3b, v20
	v_fma_f32 v37, v6, s5, -v19
	v_rndne_f32_e32 v38, v19
	v_cvt_i32_f32_e32 v25, v25
	v_fmac_f32_e32 v35, 0x32a5705f, v5
	v_sub_f32_e32 v18, v18, v36
	v_add_f32_e32 v17, v17, v26
	v_exp_f32_e32 v16, v16
	v_fma_f32 v39, v20, s5, -v22
	v_rndne_f32_e32 v41, v22
	v_cvt_i32_f32_e32 v34, v34
	v_fmac_f32_e32 v37, 0x32a5705f, v6
	v_sub_f32_e32 v19, v19, v38
	v_add_f32_e32 v18, v18, v35
	v_exp_f32_e32 v17, v17
	v_cvt_i32_f32_e32 v36, v36
	v_fmac_f32_e32 v39, 0x32a5705f, v20
	v_sub_f32_e32 v22, v22, v41
	v_add_f32_e32 v19, v19, v37
	v_exp_f32_e32 v18, v18
	v_cvt_i32_f32_e32 v38, v38
	v_add_f32_e32 v22, v22, v39
	v_exp_f32_e32 v19, v19
	v_cvt_i32_f32_e32 v41, v41
	v_exp_f32_e32 v22, v22
	v_ldexp_f32 v16, v16, v25
	v_cmp_ngt_f32_e32 vcc, s2, v3
	v_ldexp_f32 v17, v17, v34
	v_ldexp_f32 v18, v18, v36
	v_cndmask_b32_e32 v16, 0, v16, vcc
	v_cmp_ngt_f32_e32 vcc, s2, v4
	v_sub_f32_e32 v21, v32, v2
	v_ldexp_f32 v19, v19, v38
	v_cndmask_b32_e32 v17, 0, v17, vcc
	v_cmp_ngt_f32_e32 vcc, s2, v5
	v_mul_f32_e32 v23, 0x3fb8aa3b, v21
	v_ldexp_f32 v22, v22, v41
	v_cndmask_b32_e32 v24, 0, v18, vcc
	v_cmp_ngt_f32_e32 vcc, s2, v6
	v_fma_f32 v42, v21, s5, -v23
	v_rndne_f32_e32 v43, v23
	v_cndmask_b32_e32 v19, 0, v19, vcc
	v_cmp_ngt_f32_e32 vcc, s2, v20
	v_fmac_f32_e32 v42, 0x32a5705f, v21
	v_sub_f32_e32 v23, v23, v43
	v_cndmask_b32_e32 v22, 0, v22, vcc
	v_cmp_nlt_f32_e32 vcc, s4, v3
	v_add_f32_e32 v23, v23, v42
	v_cvt_i32_f32_e32 v43, v43
	v_cndmask_b32_e32 v16, v33, v16, vcc
	v_cvt_f16_f32_e32 v3, v16
	v_exp_f32_e32 v23, v23
	v_cmp_nlt_f32_e32 vcc, s4, v4
	v_mul_u32_u24_e32 v3, 0x10001, v3
	s_nop 0
	v_cndmask_b32_e32 v18, v33, v17, vcc
	v_cmp_nlt_f32_e32 vcc, s4, v5
	v_pk_mul_f16 v90, v90, v3
	v_pk_mul_f16 v91, v91, v3
	v_cndmask_b32_e32 v17, v33, v24, vcc
	v_cmp_nlt_f32_e32 vcc, s4, v6
	v_ldexp_f32 v3, v23, v43
	v_cvt_f16_f32_e32 v4, v17
	v_cndmask_b32_e32 v19, v33, v19, vcc
	v_cmp_nlt_f32_e32 vcc, s4, v20
	v_pk_fma_f32 v[14:15], v[14:15], v[16:17], v[18:19]
	v_mul_u32_u24_e32 v4, 0x10001, v4
	v_cndmask_b32_e32 v20, v33, v22, vcc
	v_cmp_ngt_f32_e32 vcc, s2, v21
	v_pk_mul_f16 v88, v88, v4
	v_pk_mul_f16 v89, v89, v4
	v_cndmask_b32_e32 v3, 0, v3, vcc
	v_cmp_nlt_f32_e32 vcc, s4, v21
	v_cvt_f16_f32_e32 v4, v20
	v_mul_u32_u24_e32 v4, 0x10001, v4
	v_cndmask_b32_e32 v22, v33, v3, vcc
	v_max_f32_e32 v3, v27, v27
	v_max_f32_e32 v3, v3, v7
	v_sub_f32_e32 v5, v27, v3
	v_mul_f32_e32 v6, 0x3fb8aa3b, v5
	v_fma_f32 v21, v5, s5, -v6
	v_rndne_f32_e32 v23, v6
	v_fmac_f32_e32 v21, 0x32a5705f, v5
	v_sub_f32_e32 v6, v6, v23
	v_add_f32_e32 v6, v6, v21
	v_exp_f32_e32 v6, v6
	v_cvt_i32_f32_e32 v21, v23
	v_pk_mul_f16 v84, v84, v4
	v_pk_mul_f16 v85, v85, v4
	v_cmp_ngt_f32_e32 vcc, s2, v5
	v_ldexp_f32 v4, v6, v21
	v_sub_f32_e32 v6, v32, v3
	v_mul_f32_e32 v21, 0x3fb8aa3b, v6
	v_fma_f32 v23, v6, s5, -v21
	v_rndne_f32_e32 v24, v21
	v_fmac_f32_e32 v23, 0x32a5705f, v6
	v_sub_f32_e32 v21, v21, v24
	v_add_f32_e32 v21, v21, v23
	v_exp_f32_e32 v23, v21
	v_cvt_i32_f32_e32 v24, v24
	v_cndmask_b32_e32 v4, 0, v4, vcc
	v_cmp_nlt_f32_e32 vcc, s4, v5
	s_nop 1
	v_cndmask_b32_e32 v21, v33, v4, vcc
	v_ldexp_f32 v4, v23, v24
	v_cmp_ngt_f32_e32 vcc, s2, v6
	v_cvt_f16_f32_e32 v5, v21
	v_mul_u32_u24_e32 v5, 0x10001, v5
	v_cndmask_b32_e32 v4, 0, v4, vcc
	v_cmp_nlt_f32_e32 vcc, s4, v6
	v_pk_mul_f16 v80, v80, v5
	v_pk_mul_f16 v82, v82, v5
	v_cndmask_b32_e32 v23, v33, v4, vcc
	v_max_f32_e32 v4, v28, v28
	v_max_f32_e32 v4, v4, v7
	v_sub_f32_e32 v6, v28, v4
	v_mul_f32_e32 v24, 0x3fb8aa3b, v6
	v_fma_f32 v25, v6, s5, -v24
	v_rndne_f32_e32 v26, v24
	v_fmac_f32_e32 v25, 0x32a5705f, v6
	v_sub_f32_e32 v24, v24, v26
	v_add_f32_e32 v24, v24, v25
	v_exp_f32_e32 v24, v24
	v_cvt_i32_f32_e32 v25, v26
	v_cmp_ngt_f32_e32 vcc, s2, v6
	v_pk_fma_f32 v[12:13], v[12:13], v[20:21], v[22:23]
	v_ldexp_f32 v5, v24, v25
	v_sub_f32_e32 v25, v32, v4
	v_mul_f32_e32 v24, 0x3fb8aa3b, v25
	v_fma_f32 v26, v25, s5, -v24
	v_rndne_f32_e32 v27, v24
	v_fmac_f32_e32 v26, 0x32a5705f, v25
	v_sub_f32_e32 v24, v24, v27
	v_add_f32_e32 v24, v24, v26
	v_exp_f32_e32 v26, v24
	v_cvt_i32_f32_e32 v27, v27
	v_cndmask_b32_e32 v5, 0, v5, vcc
	v_cmp_nlt_f32_e32 vcc, s4, v6
	s_nop 1
	v_cndmask_b32_e32 v24, v33, v5, vcc
	v_ldexp_f32 v5, v26, v27
	v_cmp_ngt_f32_e32 vcc, s2, v25
	v_cvt_f16_f32_e32 v6, v24
	v_mul_u32_u24_e32 v6, 0x10001, v6
	v_cndmask_b32_e32 v5, 0, v5, vcc
	v_cmp_nlt_f32_e32 vcc, s4, v25
	v_pk_mul_f16 v78, v78, v6
	v_pk_mul_f16 v79, v79, v6
	v_cndmask_b32_e32 v26, v33, v5, vcc
	v_max_f32_e32 v5, v29, v29
	v_max_f32_e32 v5, v5, v7
	v_sub_f32_e32 v25, v29, v5
	v_mul_f32_e32 v27, 0x3fb8aa3b, v25
	v_fma_f32 v28, v25, s5, -v27
	v_rndne_f32_e32 v29, v27
	v_fmac_f32_e32 v28, 0x32a5705f, v25
	v_sub_f32_e32 v27, v27, v29
	v_add_f32_e32 v27, v27, v28
	v_exp_f32_e32 v27, v27
	v_cvt_i32_f32_e32 v28, v29
	v_cmp_ngt_f32_e32 vcc, s2, v25
	v_ldexp_f32 v6, v27, v28
	v_sub_f32_e32 v27, v32, v5
	v_mul_f32_e32 v28, 0x3fb8aa3b, v27
	v_fma_f32 v29, v27, s5, -v28
	v_rndne_f32_e32 v34, v28
	v_fmac_f32_e32 v29, 0x32a5705f, v27
	v_sub_f32_e32 v28, v28, v34
	v_add_f32_e32 v28, v28, v29
	v_exp_f32_e32 v28, v28
	v_cvt_i32_f32_e32 v29, v34
	v_cndmask_b32_e32 v6, 0, v6, vcc
	v_cmp_nlt_f32_e32 vcc, s4, v25
	s_nop 1
	v_cndmask_b32_e32 v25, v33, v6, vcc
	v_ldexp_f32 v6, v28, v29
	v_cmp_ngt_f32_e32 vcc, s2, v27
	v_cvt_f16_f32_e32 v28, v25
	v_mul_u32_u24_e32 v28, 0x10001, v28
	v_cndmask_b32_e32 v6, 0, v6, vcc
	v_cmp_nlt_f32_e32 vcc, s4, v27
	v_pk_mul_f16 v75, v75, v28
	v_pk_mul_f16 v76, v76, v28
	v_cndmask_b32_e32 v27, v33, v6, vcc
	v_max_f32_e32 v6, v30, v30
	v_max_f32_e32 v6, v6, v7
	v_sub_f32_e32 v29, v30, v6
	v_mul_f32_e32 v30, 0x3fb8aa3b, v29
	v_fma_f32 v34, v29, s5, -v30
	v_rndne_f32_e32 v35, v30
	v_fmac_f32_e32 v34, 0x32a5705f, v29
	v_sub_f32_e32 v30, v30, v35
	v_add_f32_e32 v30, v30, v34
	v_exp_f32_e32 v30, v30
	v_cvt_i32_f32_e32 v34, v35
	v_cmp_ngt_f32_e32 vcc, s2, v29
	v_pk_fma_f32 v[10:11], v[10:11], v[24:25], v[26:27]
	v_ldexp_f32 v28, v30, v34
	v_sub_f32_e32 v30, v32, v6
	v_mul_f32_e32 v34, 0x3fb8aa3b, v30
	v_fma_f32 v35, v30, s5, -v34
	v_rndne_f32_e32 v36, v34
	v_fmac_f32_e32 v35, 0x32a5705f, v30
	v_sub_f32_e32 v34, v34, v36
	v_add_f32_e32 v34, v34, v35
	v_exp_f32_e32 v34, v34
	v_cvt_i32_f32_e32 v35, v36
	v_cndmask_b32_e32 v28, 0, v28, vcc
	v_cmp_nlt_f32_e32 vcc, s4, v29
	v_ldexp_f32 v29, v34, v35
	v_max_f32_e32 v34, v31, v31
	v_max_f32_e32 v7, v34, v7
	v_sub_f32_e32 v31, v31, v7
	v_mul_f32_e32 v34, 0x3fb8aa3b, v31
	v_cndmask_b32_e32 v28, v33, v28, vcc
	v_cmp_ngt_f32_e32 vcc, s2, v30
	v_fma_f32 v35, v31, s5, -v34
	v_rndne_f32_e32 v36, v34
	v_cndmask_b32_e32 v29, 0, v29, vcc
	v_cmp_nlt_f32_e32 vcc, s4, v30
	v_fmac_f32_e32 v35, 0x32a5705f, v31
	v_sub_f32_e32 v34, v34, v36
	v_cndmask_b32_e32 v30, v33, v29, vcc
	v_cvt_f16_f32_e32 v29, v28
	v_add_f32_e32 v34, v34, v35
	v_exp_f32_e32 v34, v34
	v_cvt_i32_f32_e32 v35, v36
	v_mul_u32_u24_e32 v29, 0x10001, v29
	v_sub_f32_e32 v32, v32, v7
	v_pk_mul_f16 v72, v72, v29
	v_pk_mul_f16 v73, v73, v29
	v_ldexp_f32 v29, v34, v35
	v_mul_f32_e32 v34, 0x3fb8aa3b, v32
	v_fma_f32 v35, v32, s5, -v34
	v_rndne_f32_e32 v36, v34
	v_fmac_f32_e32 v35, 0x32a5705f, v32
	v_sub_f32_e32 v34, v34, v36
	v_add_f32_e32 v34, v34, v35
	v_exp_f32_e32 v34, v34
	v_cvt_i32_f32_e32 v35, v36
	v_cmp_ngt_f32_e32 vcc, s2, v31
	s_nop 1
	v_cndmask_b32_e32 v29, 0, v29, vcc
	v_cmp_nlt_f32_e32 vcc, s4, v31
	v_ldexp_f32 v31, v34, v35
	s_nop 0
	v_cndmask_b32_e32 v29, v33, v29, vcc
	v_cvt_f16_f32_e32 v34, v29
	v_cmp_ngt_f32_e32 vcc, s2, v32
	s_nop 1
	v_cndmask_b32_e32 v31, 0, v31, vcc
	v_cmp_nlt_f32_e32 vcc, s4, v32
	v_mul_u32_u24_e32 v32, 0x10001, v34
	v_pk_mul_f16 v44, v44, v32
	v_cndmask_b32_e32 v31, v33, v31, vcc
	v_pk_fma_f32 v[8:9], v[8:9], v[28:29], v[30:31]
	v_mov_b64_e32 v[30:31], v[6:7]
	v_pk_mul_f16 v45, v45, v32
	v_mov_b64_e32 v[28:29], v[4:5]
	v_mov_b64_e32 v[26:27], v[2:3]
	;; [unrolled: 1-line block ×3, first 2 shown]
.LBB86_266:
	v_cmp_gt_i32_e32 vcc, s26, v63
	s_and_saveexec_b64 s[4:5], vcc
	s_cbranch_execz .LBB86_306
; %bb.267:
	s_load_dword s2, s[0:1], 0xd4
	v_mov_b32_e32 v0, 1.0
	s_waitcnt lgkmcnt(0)
	s_cmp_lg_u32 s2, 1
	s_cselect_b64 s[0:1], -1, 0
	s_cmp_eq_u32 s2, 1
	s_cselect_b64 s[6:7], -1, 0
	s_and_b64 vcc, exec, s[0:1]
	s_cbranch_vccnz .LBB86_269
; %bb.268:
	v_div_scale_f32 v0, s[4:5], v14, v14, 1.0
	v_rcp_f32_e32 v1, v0
	v_div_scale_f32 v2, vcc, 1.0, v14, 1.0
	v_fma_f32 v3, -v0, v1, 1.0
	v_fmac_f32_e32 v1, v3, v1
	v_mul_f32_e32 v3, v2, v1
	v_fma_f32 v4, -v0, v3, v2
	v_fmac_f32_e32 v3, v4, v1
	v_fma_f32 v0, -v0, v3, v2
	v_div_fmas_f32 v0, v0, v1, v3
	v_div_fixup_f32 v0, v0, v14, 1.0
.LBB86_269:
	s_mul_i32 s8, s33, s26
	s_add_i32 s8, s8, s14
	v_add_u32_e32 v1, s8, v61
	v_mul_lo_u32 v1, v1, s27
	v_add_u32_e32 v1, s34, v1
	v_cvt_f32_f16_sdwa v7, v90 dst_sel:DWORD dst_unused:UNUSED_PAD src0_sel:WORD_1
	v_cvt_f32_f16_e32 v6, v90
	v_cvt_f32_f16_sdwa v17, v91 dst_sel:DWORD dst_unused:UNUSED_PAD src0_sel:WORD_1
	v_cvt_f32_f16_e32 v16, v91
	v_mul_lo_u32 v1, s2, v1
	v_add_u32_e32 v2, s3, v1
	v_cmp_eq_u32_e32 vcc, 0, v40
	v_lshl_add_u32 v4, v2, 7, v56
	v_mov_b32_e32 v5, 0
	v_lshl_add_u64 v[18:19], v[4:5], 2, s[20:21]
	v_pk_mul_f32 v[4:5], v[0:1], v[6:7] op_sel_hi:[0,1]
	v_pk_mul_f32 v[6:7], v[0:1], v[16:17] op_sel_hi:[0,1]
	s_and_b64 s[4:5], vcc, s[0:1]
	global_store_dwordx4 v[18:19], v[4:7], off
	s_and_saveexec_b64 s[0:1], s[4:5]
	s_cbranch_execz .LBB86_271
; %bb.270:
	v_ashrrev_i32_e32 v3, 31, v2
	v_lshl_add_u64 v[0:1], v[2:3], 3, s[22:23]
	v_mov_b32_e32 v2, v24
	v_mov_b32_e32 v3, v14
	global_store_dwordx2 v[0:1], v[2:3], off
.LBB86_271:
	s_or_b64 exec, exec, s[0:1]
	v_cmp_gt_i32_e32 vcc, s26, v64
	s_and_b64 exec, exec, vcc
	s_cbranch_execz .LBB86_306
; %bb.272:
	v_cndmask_b32_e64 v0, 0, 1, s[6:7]
	v_cmp_ne_u32_e64 s[0:1], 1, v0
	s_andn2_b64 vcc, exec, s[6:7]
	v_mov_b32_e32 v2, 1.0
	s_cbranch_vccnz .LBB86_274
; %bb.273:
	v_div_scale_f32 v0, s[6:7], v15, v15, 1.0
	v_rcp_f32_e32 v1, v0
	v_div_scale_f32 v2, vcc, 1.0, v15, 1.0
	v_fma_f32 v3, -v0, v1, 1.0
	v_fmac_f32_e32 v1, v3, v1
	v_mul_f32_e32 v3, v2, v1
	v_fma_f32 v4, -v0, v3, v2
	v_fmac_f32_e32 v3, v4, v1
	v_fma_f32 v0, -v0, v3, v2
	v_div_fmas_f32 v0, v0, v1, v3
	v_div_fixup_f32 v2, v0, v15, 1.0
.LBB86_274:
	v_add_u32_e32 v0, s8, v60
	v_mul_lo_u32 v0, v0, s27
	v_add_u32_e32 v0, s34, v0
	v_cvt_f32_f16_sdwa v7, v88 dst_sel:DWORD dst_unused:UNUSED_PAD src0_sel:WORD_1
	v_cvt_f32_f16_e32 v6, v88
	v_cvt_f32_f16_sdwa v17, v89 dst_sel:DWORD dst_unused:UNUSED_PAD src0_sel:WORD_1
	v_cvt_f32_f16_e32 v16, v89
	v_mul_lo_u32 v0, s2, v0
	v_add_u32_e32 v0, s3, v0
	v_lshl_add_u32 v4, v0, 7, v56
	v_mov_b32_e32 v5, 0
	v_lshl_add_u64 v[18:19], v[4:5], 2, s[20:21]
	v_pk_mul_f32 v[4:5], v[2:3], v[6:7] op_sel_hi:[0,1]
	v_pk_mul_f32 v[6:7], v[2:3], v[16:17] op_sel_hi:[0,1]
	global_store_dwordx4 v[18:19], v[4:7], off
	s_and_saveexec_b64 s[6:7], s[4:5]
	s_cbranch_execz .LBB86_276
; %bb.275:
	v_ashrrev_i32_e32 v1, 31, v0
	v_lshl_add_u64 v[0:1], v[0:1], 3, s[22:23]
	v_mov_b32_e32 v14, v25
	global_store_dwordx2 v[0:1], v[14:15], off
.LBB86_276:
	s_or_b64 exec, exec, s[6:7]
	v_cmp_gt_i32_e32 vcc, s26, v62
	s_and_b64 exec, exec, vcc
	s_cbranch_execz .LBB86_306
; %bb.277:
	s_and_b64 vcc, exec, s[0:1]
	v_mov_b32_e32 v2, 1.0
	s_cbranch_vccnz .LBB86_279
; %bb.278:
	v_div_scale_f32 v0, s[6:7], v12, v12, 1.0
	v_rcp_f32_e32 v1, v0
	v_div_scale_f32 v2, vcc, 1.0, v12, 1.0
	v_fma_f32 v3, -v0, v1, 1.0
	v_fmac_f32_e32 v1, v3, v1
	v_mul_f32_e32 v3, v2, v1
	v_fma_f32 v4, -v0, v3, v2
	v_fmac_f32_e32 v3, v4, v1
	v_fma_f32 v0, -v0, v3, v2
	v_div_fmas_f32 v0, v0, v1, v3
	v_div_fixup_f32 v2, v0, v12, 1.0
.LBB86_279:
	v_add_u32_e32 v0, s8, v58
	v_mul_lo_u32 v0, v0, s27
	v_add_u32_e32 v0, s34, v0
	v_cvt_f32_f16_sdwa v7, v84 dst_sel:DWORD dst_unused:UNUSED_PAD src0_sel:WORD_1
	v_cvt_f32_f16_e32 v6, v84
	v_cvt_f32_f16_sdwa v15, v85 dst_sel:DWORD dst_unused:UNUSED_PAD src0_sel:WORD_1
	v_cvt_f32_f16_e32 v14, v85
	v_mul_lo_u32 v0, s2, v0
	v_add_u32_e32 v0, s3, v0
	v_lshl_add_u32 v4, v0, 7, v56
	v_mov_b32_e32 v5, 0
	v_lshl_add_u64 v[16:17], v[4:5], 2, s[20:21]
	v_pk_mul_f32 v[4:5], v[2:3], v[6:7] op_sel_hi:[0,1]
	v_pk_mul_f32 v[6:7], v[2:3], v[14:15] op_sel_hi:[0,1]
	global_store_dwordx4 v[16:17], v[4:7], off
	s_and_saveexec_b64 s[6:7], s[4:5]
	s_cbranch_execz .LBB86_281
; %bb.280:
	v_ashrrev_i32_e32 v1, 31, v0
	v_lshl_add_u64 v[0:1], v[0:1], 3, s[22:23]
	v_mov_b32_e32 v2, v26
	v_mov_b32_e32 v3, v12
	global_store_dwordx2 v[0:1], v[2:3], off
.LBB86_281:
	s_or_b64 exec, exec, s[6:7]
	v_cmp_gt_i32_e32 vcc, s26, v59
	s_and_b64 exec, exec, vcc
	s_cbranch_execz .LBB86_306
; %bb.282:
	s_and_b64 vcc, exec, s[0:1]
	v_mov_b32_e32 v2, 1.0
	s_cbranch_vccnz .LBB86_284
; %bb.283:
	v_div_scale_f32 v0, s[6:7], v13, v13, 1.0
	v_rcp_f32_e32 v1, v0
	v_div_scale_f32 v2, vcc, 1.0, v13, 1.0
	v_fma_f32 v3, -v0, v1, 1.0
	v_fmac_f32_e32 v1, v3, v1
	v_mul_f32_e32 v3, v2, v1
	v_fma_f32 v4, -v0, v3, v2
	v_fmac_f32_e32 v3, v4, v1
	v_fma_f32 v0, -v0, v3, v2
	v_div_fmas_f32 v0, v0, v1, v3
	v_div_fixup_f32 v2, v0, v13, 1.0
.LBB86_284:
	v_add_u32_e32 v0, s8, v57
	v_mul_lo_u32 v0, v0, s27
	v_add_u32_e32 v0, s34, v0
	v_cvt_f32_f16_sdwa v7, v80 dst_sel:DWORD dst_unused:UNUSED_PAD src0_sel:WORD_1
	v_cvt_f32_f16_e32 v6, v80
	v_cvt_f32_f16_sdwa v15, v82 dst_sel:DWORD dst_unused:UNUSED_PAD src0_sel:WORD_1
	v_cvt_f32_f16_e32 v14, v82
	v_mul_lo_u32 v0, s2, v0
	v_add_u32_e32 v0, s3, v0
	v_lshl_add_u32 v4, v0, 7, v56
	v_mov_b32_e32 v5, 0
	v_lshl_add_u64 v[16:17], v[4:5], 2, s[20:21]
	v_pk_mul_f32 v[4:5], v[2:3], v[6:7] op_sel_hi:[0,1]
	v_pk_mul_f32 v[6:7], v[2:3], v[14:15] op_sel_hi:[0,1]
	global_store_dwordx4 v[16:17], v[4:7], off
	s_and_saveexec_b64 s[6:7], s[4:5]
	s_cbranch_execz .LBB86_286
; %bb.285:
	v_ashrrev_i32_e32 v1, 31, v0
	v_lshl_add_u64 v[0:1], v[0:1], 3, s[22:23]
	v_mov_b32_e32 v12, v27
	global_store_dwordx2 v[0:1], v[12:13], off
.LBB86_286:
	s_or_b64 exec, exec, s[6:7]
	v_cmp_gt_i32_e32 vcc, s26, v55
	s_and_b64 exec, exec, vcc
	s_cbranch_execz .LBB86_306
; %bb.287:
	s_and_b64 vcc, exec, s[0:1]
	v_mov_b32_e32 v2, 1.0
	s_cbranch_vccnz .LBB86_289
; %bb.288:
	v_div_scale_f32 v0, s[6:7], v10, v10, 1.0
	v_rcp_f32_e32 v1, v0
	v_div_scale_f32 v2, vcc, 1.0, v10, 1.0
	v_fma_f32 v3, -v0, v1, 1.0
	v_fmac_f32_e32 v1, v3, v1
	v_mul_f32_e32 v3, v2, v1
	v_fma_f32 v4, -v0, v3, v2
	v_fmac_f32_e32 v3, v4, v1
	v_fma_f32 v0, -v0, v3, v2
	v_div_fmas_f32 v0, v0, v1, v3
	v_div_fixup_f32 v2, v0, v10, 1.0
.LBB86_289:
	v_add_u32_e32 v0, s8, v52
	v_mul_lo_u32 v0, v0, s27
	v_add_u32_e32 v0, s34, v0
	v_cvt_f32_f16_sdwa v7, v78 dst_sel:DWORD dst_unused:UNUSED_PAD src0_sel:WORD_1
	v_cvt_f32_f16_e32 v6, v78
	v_cvt_f32_f16_sdwa v13, v79 dst_sel:DWORD dst_unused:UNUSED_PAD src0_sel:WORD_1
	v_cvt_f32_f16_e32 v12, v79
	v_mul_lo_u32 v0, s2, v0
	v_add_u32_e32 v0, s3, v0
	v_lshl_add_u32 v4, v0, 7, v56
	v_mov_b32_e32 v5, 0
	v_lshl_add_u64 v[14:15], v[4:5], 2, s[20:21]
	v_pk_mul_f32 v[4:5], v[2:3], v[6:7] op_sel_hi:[0,1]
	v_pk_mul_f32 v[6:7], v[2:3], v[12:13] op_sel_hi:[0,1]
	global_store_dwordx4 v[14:15], v[4:7], off
	s_and_saveexec_b64 s[6:7], s[4:5]
	s_cbranch_execz .LBB86_291
; %bb.290:
	v_ashrrev_i32_e32 v1, 31, v0
	v_lshl_add_u64 v[0:1], v[0:1], 3, s[22:23]
	v_mov_b32_e32 v2, v28
	v_mov_b32_e32 v3, v10
	global_store_dwordx2 v[0:1], v[2:3], off
.LBB86_291:
	s_or_b64 exec, exec, s[6:7]
	v_cmp_gt_i32_e32 vcc, s26, v54
	s_and_b64 exec, exec, vcc
	s_cbranch_execz .LBB86_306
; %bb.292:
	s_and_b64 vcc, exec, s[0:1]
	v_mov_b32_e32 v2, 1.0
	s_cbranch_vccnz .LBB86_294
; %bb.293:
	v_div_scale_f32 v0, s[6:7], v11, v11, 1.0
	v_rcp_f32_e32 v1, v0
	v_div_scale_f32 v2, vcc, 1.0, v11, 1.0
	v_fma_f32 v3, -v0, v1, 1.0
	v_fmac_f32_e32 v1, v3, v1
	v_mul_f32_e32 v3, v2, v1
	v_fma_f32 v4, -v0, v3, v2
	v_fmac_f32_e32 v3, v4, v1
	v_fma_f32 v0, -v0, v3, v2
	v_div_fmas_f32 v0, v0, v1, v3
	v_div_fixup_f32 v2, v0, v11, 1.0
.LBB86_294:
	v_add_u32_e32 v0, s8, v53
	v_mul_lo_u32 v0, v0, s27
	v_add_u32_e32 v0, s34, v0
	v_cvt_f32_f16_sdwa v7, v75 dst_sel:DWORD dst_unused:UNUSED_PAD src0_sel:WORD_1
	v_cvt_f32_f16_e32 v6, v75
	v_cvt_f32_f16_sdwa v13, v76 dst_sel:DWORD dst_unused:UNUSED_PAD src0_sel:WORD_1
	v_cvt_f32_f16_e32 v12, v76
	v_mul_lo_u32 v0, s2, v0
	v_add_u32_e32 v0, s3, v0
	v_lshl_add_u32 v4, v0, 7, v56
	v_mov_b32_e32 v5, 0
	v_lshl_add_u64 v[14:15], v[4:5], 2, s[20:21]
	v_pk_mul_f32 v[4:5], v[2:3], v[6:7] op_sel_hi:[0,1]
	v_pk_mul_f32 v[6:7], v[2:3], v[12:13] op_sel_hi:[0,1]
	global_store_dwordx4 v[14:15], v[4:7], off
	s_and_saveexec_b64 s[6:7], s[4:5]
	s_cbranch_execz .LBB86_296
; %bb.295:
	v_ashrrev_i32_e32 v1, 31, v0
	v_lshl_add_u64 v[0:1], v[0:1], 3, s[22:23]
	v_mov_b32_e32 v10, v29
	global_store_dwordx2 v[0:1], v[10:11], off
.LBB86_296:
	s_or_b64 exec, exec, s[6:7]
	v_cmp_gt_i32_e32 vcc, s26, v51
	s_and_b64 exec, exec, vcc
	s_cbranch_execz .LBB86_306
; %bb.297:
	s_and_b64 vcc, exec, s[0:1]
	v_mov_b32_e32 v2, 1.0
	s_cbranch_vccnz .LBB86_299
; %bb.298:
	v_div_scale_f32 v0, s[6:7], v8, v8, 1.0
	v_rcp_f32_e32 v1, v0
	v_div_scale_f32 v2, vcc, 1.0, v8, 1.0
	v_fma_f32 v3, -v0, v1, 1.0
	v_fmac_f32_e32 v1, v3, v1
	v_mul_f32_e32 v3, v2, v1
	v_fma_f32 v4, -v0, v3, v2
	v_fmac_f32_e32 v3, v4, v1
	v_fma_f32 v0, -v0, v3, v2
	v_div_fmas_f32 v0, v0, v1, v3
	v_div_fixup_f32 v2, v0, v8, 1.0
.LBB86_299:
	v_add_u32_e32 v0, s8, v50
	v_mul_lo_u32 v0, v0, s27
	v_add_u32_e32 v0, s34, v0
	v_cvt_f32_f16_sdwa v7, v72 dst_sel:DWORD dst_unused:UNUSED_PAD src0_sel:WORD_1
	v_cvt_f32_f16_e32 v6, v72
	v_cvt_f32_f16_sdwa v11, v73 dst_sel:DWORD dst_unused:UNUSED_PAD src0_sel:WORD_1
	v_cvt_f32_f16_e32 v10, v73
	v_mul_lo_u32 v0, s2, v0
	v_add_u32_e32 v0, s3, v0
	v_lshl_add_u32 v4, v0, 7, v56
	v_mov_b32_e32 v5, 0
	v_lshl_add_u64 v[12:13], v[4:5], 2, s[20:21]
	v_pk_mul_f32 v[4:5], v[2:3], v[6:7] op_sel_hi:[0,1]
	v_pk_mul_f32 v[6:7], v[2:3], v[10:11] op_sel_hi:[0,1]
	global_store_dwordx4 v[12:13], v[4:7], off
	s_and_saveexec_b64 s[6:7], s[4:5]
	s_cbranch_execz .LBB86_301
; %bb.300:
	v_ashrrev_i32_e32 v1, 31, v0
	v_lshl_add_u64 v[0:1], v[0:1], 3, s[22:23]
	v_mov_b32_e32 v2, v30
	v_mov_b32_e32 v3, v8
	global_store_dwordx2 v[0:1], v[2:3], off
.LBB86_301:
	s_or_b64 exec, exec, s[6:7]
	v_cmp_gt_i32_e32 vcc, s26, v49
	s_and_b64 exec, exec, vcc
	s_cbranch_execz .LBB86_306
; %bb.302:
	s_and_b64 vcc, exec, s[0:1]
	v_mov_b32_e32 v2, 1.0
	s_cbranch_vccnz .LBB86_304
; %bb.303:
	v_div_scale_f32 v0, s[0:1], v9, v9, 1.0
	v_rcp_f32_e32 v1, v0
	v_div_scale_f32 v2, vcc, 1.0, v9, 1.0
	v_fma_f32 v3, -v0, v1, 1.0
	v_fmac_f32_e32 v1, v3, v1
	v_mul_f32_e32 v3, v2, v1
	v_fma_f32 v4, -v0, v3, v2
	v_fmac_f32_e32 v3, v4, v1
	v_fma_f32 v0, -v0, v3, v2
	v_div_fmas_f32 v0, v0, v1, v3
	v_div_fixup_f32 v2, v0, v9, 1.0
.LBB86_304:
	v_add_u32_e32 v0, s8, v48
	v_mul_lo_u32 v0, v0, s27
	v_add_u32_e32 v0, s34, v0
	v_cvt_f32_f16_sdwa v7, v44 dst_sel:DWORD dst_unused:UNUSED_PAD src0_sel:WORD_1
	v_cvt_f32_f16_e32 v6, v44
	v_cvt_f32_f16_sdwa v11, v45 dst_sel:DWORD dst_unused:UNUSED_PAD src0_sel:WORD_1
	v_cvt_f32_f16_e32 v10, v45
	v_mul_lo_u32 v0, s2, v0
	v_add_u32_e32 v0, s3, v0
	v_lshl_add_u32 v4, v0, 7, v56
	v_mov_b32_e32 v5, 0
	v_lshl_add_u64 v[12:13], v[4:5], 2, s[20:21]
	v_pk_mul_f32 v[4:5], v[2:3], v[6:7] op_sel_hi:[0,1]
	v_pk_mul_f32 v[6:7], v[2:3], v[10:11] op_sel_hi:[0,1]
	global_store_dwordx4 v[12:13], v[4:7], off
	s_and_b64 exec, exec, s[4:5]
	s_cbranch_execz .LBB86_306
; %bb.305:
	v_ashrrev_i32_e32 v1, 31, v0
	v_lshl_add_u64 v[0:1], v[0:1], 3, s[22:23]
	v_mov_b32_e32 v8, v31
	global_store_dwordx2 v[0:1], v[8:9], off
.LBB86_306:
	s_endpgm
	.section	.rodata,"a",@progbits
	.p2align	6, 0x0
	.amdhsa_kernel _ZL15flash_attn_tileILi128ELi128ELi64ELi1ELb1EEvPKcS1_S1_S1_S1_PKiPfP15HIP_vector_typeIfLj2EEffffjfiS5_IjLj3EEiiiiiiiiiiiliiliiiiil
		.amdhsa_group_segment_fixed_size 29696
		.amdhsa_private_segment_fixed_size 32
		.amdhsa_kernarg_size 464
		.amdhsa_user_sgpr_count 2
		.amdhsa_user_sgpr_dispatch_ptr 0
		.amdhsa_user_sgpr_queue_ptr 0
		.amdhsa_user_sgpr_kernarg_segment_ptr 1
		.amdhsa_user_sgpr_dispatch_id 0
		.amdhsa_user_sgpr_kernarg_preload_length 0
		.amdhsa_user_sgpr_kernarg_preload_offset 0
		.amdhsa_user_sgpr_private_segment_size 0
		.amdhsa_uses_dynamic_stack 0
		.amdhsa_enable_private_segment 1
		.amdhsa_system_sgpr_workgroup_id_x 1
		.amdhsa_system_sgpr_workgroup_id_y 1
		.amdhsa_system_sgpr_workgroup_id_z 1
		.amdhsa_system_sgpr_workgroup_info 0
		.amdhsa_system_vgpr_workitem_id 1
		.amdhsa_next_free_vgpr 148
		.amdhsa_next_free_sgpr 96
		.amdhsa_accum_offset 148
		.amdhsa_reserve_vcc 1
		.amdhsa_float_round_mode_32 0
		.amdhsa_float_round_mode_16_64 0
		.amdhsa_float_denorm_mode_32 3
		.amdhsa_float_denorm_mode_16_64 3
		.amdhsa_dx10_clamp 1
		.amdhsa_ieee_mode 1
		.amdhsa_fp16_overflow 0
		.amdhsa_tg_split 0
		.amdhsa_exception_fp_ieee_invalid_op 0
		.amdhsa_exception_fp_denorm_src 0
		.amdhsa_exception_fp_ieee_div_zero 0
		.amdhsa_exception_fp_ieee_overflow 0
		.amdhsa_exception_fp_ieee_underflow 0
		.amdhsa_exception_fp_ieee_inexact 0
		.amdhsa_exception_int_div_zero 0
	.end_amdhsa_kernel
	.section	.text._ZL15flash_attn_tileILi128ELi128ELi64ELi1ELb1EEvPKcS1_S1_S1_S1_PKiPfP15HIP_vector_typeIfLj2EEffffjfiS5_IjLj3EEiiiiiiiiiiiliiliiiiil,"axG",@progbits,_ZL15flash_attn_tileILi128ELi128ELi64ELi1ELb1EEvPKcS1_S1_S1_S1_PKiPfP15HIP_vector_typeIfLj2EEffffjfiS5_IjLj3EEiiiiiiiiiiiliiliiiiil,comdat
.Lfunc_end86:
	.size	_ZL15flash_attn_tileILi128ELi128ELi64ELi1ELb1EEvPKcS1_S1_S1_S1_PKiPfP15HIP_vector_typeIfLj2EEffffjfiS5_IjLj3EEiiiiiiiiiiiliiliiiiil, .Lfunc_end86-_ZL15flash_attn_tileILi128ELi128ELi64ELi1ELb1EEvPKcS1_S1_S1_S1_PKiPfP15HIP_vector_typeIfLj2EEffffjfiS5_IjLj3EEiiiiiiiiiiiliiliiiiil
                                        ; -- End function
	.set _ZL15flash_attn_tileILi128ELi128ELi64ELi1ELb1EEvPKcS1_S1_S1_S1_PKiPfP15HIP_vector_typeIfLj2EEffffjfiS5_IjLj3EEiiiiiiiiiiiliiliiiiil.num_vgpr, 148
	.set _ZL15flash_attn_tileILi128ELi128ELi64ELi1ELb1EEvPKcS1_S1_S1_S1_PKiPfP15HIP_vector_typeIfLj2EEffffjfiS5_IjLj3EEiiiiiiiiiiiliiliiiiil.num_agpr, 0
	.set _ZL15flash_attn_tileILi128ELi128ELi64ELi1ELb1EEvPKcS1_S1_S1_S1_PKiPfP15HIP_vector_typeIfLj2EEffffjfiS5_IjLj3EEiiiiiiiiiiiliiliiiiil.numbered_sgpr, 48
	.set _ZL15flash_attn_tileILi128ELi128ELi64ELi1ELb1EEvPKcS1_S1_S1_S1_PKiPfP15HIP_vector_typeIfLj2EEffffjfiS5_IjLj3EEiiiiiiiiiiiliiliiiiil.num_named_barrier, 0
	.set _ZL15flash_attn_tileILi128ELi128ELi64ELi1ELb1EEvPKcS1_S1_S1_S1_PKiPfP15HIP_vector_typeIfLj2EEffffjfiS5_IjLj3EEiiiiiiiiiiiliiliiiiil.private_seg_size, 32
	.set _ZL15flash_attn_tileILi128ELi128ELi64ELi1ELb1EEvPKcS1_S1_S1_S1_PKiPfP15HIP_vector_typeIfLj2EEffffjfiS5_IjLj3EEiiiiiiiiiiiliiliiiiil.uses_vcc, 1
	.set _ZL15flash_attn_tileILi128ELi128ELi64ELi1ELb1EEvPKcS1_S1_S1_S1_PKiPfP15HIP_vector_typeIfLj2EEffffjfiS5_IjLj3EEiiiiiiiiiiiliiliiiiil.uses_flat_scratch, 0
	.set _ZL15flash_attn_tileILi128ELi128ELi64ELi1ELb1EEvPKcS1_S1_S1_S1_PKiPfP15HIP_vector_typeIfLj2EEffffjfiS5_IjLj3EEiiiiiiiiiiiliiliiiiil.has_dyn_sized_stack, 0
	.set _ZL15flash_attn_tileILi128ELi128ELi64ELi1ELb1EEvPKcS1_S1_S1_S1_PKiPfP15HIP_vector_typeIfLj2EEffffjfiS5_IjLj3EEiiiiiiiiiiiliiliiiiil.has_recursion, 0
	.set _ZL15flash_attn_tileILi128ELi128ELi64ELi1ELb1EEvPKcS1_S1_S1_S1_PKiPfP15HIP_vector_typeIfLj2EEffffjfiS5_IjLj3EEiiiiiiiiiiiliiliiiiil.has_indirect_call, 0
	.section	.AMDGPU.csdata,"",@progbits
; Kernel info:
; codeLenInByte = 95756
; TotalNumSgprs: 54
; NumVgprs: 148
; NumAgprs: 0
; TotalNumVgprs: 148
; ScratchSize: 32
; MemoryBound: 0
; FloatMode: 240
; IeeeMode: 1
; LDSByteSize: 29696 bytes/workgroup (compile time only)
; SGPRBlocks: 12
; VGPRBlocks: 18
; NumSGPRsForWavesPerEU: 102
; NumVGPRsForWavesPerEU: 148
; AccumOffset: 148
; Occupancy: 3
; WaveLimiterHint : 0
; COMPUTE_PGM_RSRC2:SCRATCH_EN: 1
; COMPUTE_PGM_RSRC2:USER_SGPR: 2
; COMPUTE_PGM_RSRC2:TRAP_HANDLER: 0
; COMPUTE_PGM_RSRC2:TGID_X_EN: 1
; COMPUTE_PGM_RSRC2:TGID_Y_EN: 1
; COMPUTE_PGM_RSRC2:TGID_Z_EN: 1
; COMPUTE_PGM_RSRC2:TIDIG_COMP_CNT: 1
; COMPUTE_PGM_RSRC3_GFX90A:ACCUM_OFFSET: 36
; COMPUTE_PGM_RSRC3_GFX90A:TG_SPLIT: 0
	.section	.text._ZL15flash_attn_tileILi128ELi128ELi32ELi1ELb1EEvPKcS1_S1_S1_S1_PKiPfP15HIP_vector_typeIfLj2EEffffjfiS5_IjLj3EEiiiiiiiiiiiliiliiiiil,"axG",@progbits,_ZL15flash_attn_tileILi128ELi128ELi32ELi1ELb1EEvPKcS1_S1_S1_S1_PKiPfP15HIP_vector_typeIfLj2EEffffjfiS5_IjLj3EEiiiiiiiiiiiliiliiiiil,comdat
	.globl	_ZL15flash_attn_tileILi128ELi128ELi32ELi1ELb1EEvPKcS1_S1_S1_S1_PKiPfP15HIP_vector_typeIfLj2EEffffjfiS5_IjLj3EEiiiiiiiiiiiliiliiiiil ; -- Begin function _ZL15flash_attn_tileILi128ELi128ELi32ELi1ELb1EEvPKcS1_S1_S1_S1_PKiPfP15HIP_vector_typeIfLj2EEffffjfiS5_IjLj3EEiiiiiiiiiiiliiliiiiil
	.p2align	8
	.type	_ZL15flash_attn_tileILi128ELi128ELi32ELi1ELb1EEvPKcS1_S1_S1_S1_PKiPfP15HIP_vector_typeIfLj2EEffffjfiS5_IjLj3EEiiiiiiiiiiiliiliiiiil,@function
_ZL15flash_attn_tileILi128ELi128ELi32ELi1ELb1EEvPKcS1_S1_S1_S1_PKiPfP15HIP_vector_typeIfLj2EEffffjfiS5_IjLj3EEiiiiiiiiiiiliiliiiiil: ; @_ZL15flash_attn_tileILi128ELi128ELi32ELi1ELb1EEvPKcS1_S1_S1_S1_PKiPfP15HIP_vector_typeIfLj2EEffffjfiS5_IjLj3EEiiiiiiiiiiiliiliiiiil
; %bb.0:
	s_load_dwordx4 s[24:27], s[0:1], 0x5c
	s_load_dwordx2 s[38:39], s[0:1], 0x80
	s_load_dwordx2 s[40:41], s[0:1], 0xb8
	s_mov_b64 s[36:37], 0
	s_waitcnt lgkmcnt(0)
	v_cvt_f32_u32_e32 v1, s27
	s_sub_i32 s5, 0, s27
	v_rcp_iflag_f32_e32 v1, v1
	s_nop 0
	v_mul_f32_e32 v1, 0x4f7ffffe, v1
	v_cvt_u32_f32_e32 v1, v1
	s_nop 0
	v_readfirstlane_b32 s6, v1
	s_mul_i32 s5, s5, s6
	s_mul_hi_u32 s5, s6, s5
	s_add_i32 s6, s6, s5
	s_mul_hi_u32 s5, s4, s6
	s_mul_i32 s6, s5, s27
	s_sub_i32 s6, s4, s6
	s_add_i32 s7, s5, 1
	s_sub_i32 s8, s6, s27
	s_cmp_ge_u32 s6, s27
	s_cselect_b32 s5, s7, s5
	s_cselect_b32 s6, s8, s6
	s_add_i32 s7, s5, 1
	s_cmp_ge_u32 s6, s27
	s_cselect_b32 s33, s7, s5
	s_abs_i32 s5, s39
	v_cvt_f32_u32_e32 v1, s5
	s_mul_i32 s8, s33, s27
	s_sub_i32 s9, 0, s5
	s_sub_i32 s34, s4, s8
	v_rcp_iflag_f32_e32 v1, v1
	s_abs_i32 s7, s27
	s_xor_b32 s6, s27, s39
	s_ashr_i32 s6, s6, 31
	v_mul_f32_e32 v1, 0x4f7ffffe, v1
	v_cvt_u32_f32_e32 v1, v1
	s_nop 0
	v_readfirstlane_b32 s4, v1
	s_mul_i32 s9, s9, s4
	s_mul_hi_u32 s8, s4, s9
	s_add_i32 s4, s4, s8
	s_mul_hi_u32 s4, s7, s4
	s_mul_i32 s8, s4, s5
	s_sub_i32 s7, s7, s8
	s_add_i32 s9, s4, 1
	s_sub_i32 s8, s7, s5
	s_cmp_ge_u32 s7, s5
	s_cselect_b32 s4, s9, s4
	s_cselect_b32 s7, s8, s7
	s_add_i32 s8, s4, 1
	s_cmp_ge_u32 s7, s5
	s_cselect_b32 s4, s8, s4
	s_xor_b32 s4, s4, s6
	s_sub_i32 s43, s4, s6
	s_abs_i32 s39, s43
	v_cvt_f32_u32_e32 v1, s39
	s_load_dwordx16 s[8:23], s[0:1], 0x0
	s_sub_i32 s4, 0, s39
	s_abs_i32 s42, s34
	v_rcp_iflag_f32_e32 v1, v1
	s_nop 0
	v_mul_f32_e32 v1, 0x4f7ffffe, v1
	v_cvt_u32_f32_e32 v1, v1
	s_nop 0
	v_readfirstlane_b32 s5, v1
	s_mul_i32 s4, s4, s5
	s_mul_hi_u32 s4, s5, s4
	s_add_i32 s4, s5, s4
	s_waitcnt lgkmcnt(0)
	s_cmp_eq_u64 s[14:15], 0
	s_cbranch_scc1 .LBB87_2
; %bb.1:
	s_abs_i32 s5, s40
	v_cvt_f32_u32_e32 v1, s5
	s_sub_i32 s30, 0, s5
	s_abs_i32 s29, s33
	s_ashr_i32 s28, s33, 31
	v_rcp_iflag_f32_e32 v1, v1
	s_load_dwordx2 s[6:7], s[0:1], 0xc8
	v_mul_f32_e32 v1, 0x4f7ffffe, v1
	v_cvt_u32_f32_e32 v1, v1
	s_nop 0
	v_readfirstlane_b32 s31, v1
	s_mul_i32 s30, s30, s31
	s_mul_hi_u32 s30, s31, s30
	s_add_i32 s31, s31, s30
	s_mul_hi_u32 s30, s29, s31
	s_mul_i32 s30, s30, s5
	s_sub_i32 s29, s29, s30
	s_sub_i32 s30, s29, s5
	s_cmp_ge_u32 s29, s5
	s_cselect_b32 s29, s30, s29
	s_sub_i32 s30, s29, s5
	s_cmp_ge_u32 s29, s5
	s_cselect_b32 s5, s30, s29
	s_xor_b32 s5, s5, s28
	s_sub_i32 s5, s5, s28
	s_ashr_i32 s28, s5, 31
	s_waitcnt lgkmcnt(0)
	s_mul_hi_u32 s29, s6, s5
	s_mul_i32 s28, s6, s28
	s_mul_i32 s7, s7, s5
	s_add_i32 s28, s29, s28
	s_add_i32 s28, s28, s7
	s_mul_i32 s5, s6, s5
	s_add_u32 s36, s14, s5
	s_addc_u32 s37, s15, s28
.LBB87_2:
	s_load_dwordx4 s[28:31], s[0:1], 0x40
	s_load_dwordx2 s[14:15], s[0:1], 0x50
	s_mul_hi_u32 s40, s42, s4
	v_mov_b32_e32 v43, 1.0
	s_waitcnt lgkmcnt(0)
	v_cmp_le_f32_e64 s[4:5], s29, 0
	s_and_b64 vcc, exec, s[4:5]
	s_cbranch_vccnz .LBB87_4
; %bb.3:
	v_mov_b32_e32 v1, s14
	v_sub_co_u32_e32 v1, vcc, s34, v1
	v_mov_b32_e32 v2, s31
	v_mov_b32_e32 v3, s30
	s_add_i32 s4, s34, 1
	v_lshlrev_b32_e32 v1, 1, v1
	v_cndmask_b32_e32 v2, v2, v3, vcc
	v_or_b32_e32 v1, 1, v1
	v_mov_b32_e32 v3, s4
	v_cndmask_b32_e32 v1, v1, v3, vcc
	v_cvt_f32_i32_e32 v1, v1
	v_cmp_neq_f32_e32 vcc, 1.0, v2
	s_mov_b32 s4, 0x3f2aaaab
	s_movk_i32 s6, 0x204
	v_cndmask_b32_e32 v1, 1.0, v1, vcc
	v_cmp_neq_f32_e32 vcc, 0, v1
	s_mov_b32 s5, 0x42b17218
	s_mov_b32 s7, 0x3fb8aa3b
	v_cndmask_b32_e32 v18, 1.0, v2, vcc
	v_frexp_mant_f32_e64 v2, |v18|
	v_cmp_gt_f32_e32 vcc, s4, v2
	s_mov_b32 s4, 0x3f317218
	s_brev_b32 s14, -2
	v_cndmask_b32_e64 v3, 1.0, 2.0, vcc
	v_mul_f32_e32 v2, v2, v3
	v_add_f32_e32 v5, 1.0, v2
	v_rcp_f32_e32 v10, v5
	v_add_f32_e32 v3, -1.0, v5
	v_sub_f32_e32 v7, v2, v3
	v_add_f32_e32 v3, -1.0, v2
	v_mul_f32_e32 v11, v3, v10
	v_mul_f32_e32 v4, v5, v11
	v_fma_f32 v6, v11, v5, -v4
	v_fmac_f32_e32 v6, v11, v7
	v_add_f32_e32 v2, v4, v6
	v_sub_f32_e32 v5, v3, v2
	v_pk_add_f32 v[8:9], v[2:3], v[4:5] neg_lo:[0,1] neg_hi:[0,1]
	v_mov_b32_e32 v7, v2
	v_pk_add_f32 v[2:3], v[8:9], v[6:7] neg_lo:[0,1] neg_hi:[0,1]
	v_mov_b32_e32 v6, 0x3e91f4c4
	v_add_f32_e32 v2, v2, v3
	v_add_f32_e32 v2, v5, v2
	v_mul_f32_e32 v3, v10, v2
	v_add_f32_e32 v2, v11, v3
	v_sub_f32_e32 v4, v2, v11
	v_sub_f32_e32 v12, v3, v4
	v_mul_f32_e32 v3, v2, v2
	v_fma_f32 v5, v2, v2, -v3
	v_add_f32_e32 v4, v12, v12
	v_fmac_f32_e32 v5, v2, v4
	v_add_f32_e32 v4, v3, v5
	v_fmac_f32_e32 v6, 0x3e76c4e1, v4
	v_fmaak_f32 v6, v4, v6, 0x3ecccdef
	v_sub_f32_e32 v3, v4, v3
	v_sub_f32_e32 v13, v5, v3
	v_mul_f32_e32 v3, v4, v6
	v_fma_f32 v5, v4, v6, -v3
	v_fmac_f32_e32 v5, v13, v6
	v_add_f32_e32 v6, v3, v5
	v_add_f32_e32 v7, 0x3f2aaaaa, v6
	v_sub_f32_e32 v3, v6, v3
	v_sub_f32_e32 v3, v5, v3
	v_add_f32_e32 v5, 0xbf2aaaaa, v7
	v_add_f32_e32 v3, 0x31739010, v3
	v_sub_f32_e32 v5, v6, v5
	v_pk_mul_f32 v[8:9], v[2:3], v[4:5]
	v_pk_add_f32 v[10:11], v[2:3], v[4:5]
	v_fma_f32 v6, v4, v2, -v8
	v_fmac_f32_e32 v6, v4, v12
	v_mov_b32_e32 v9, v11
	v_fmac_f32_e32 v6, v13, v2
	v_pk_add_f32 v[4:5], v[8:9], v[6:7]
	v_ldexp_f32 v14, v12, 1
	v_sub_f32_e32 v3, v4, v8
	v_sub_f32_e32 v3, v6, v3
	;; [unrolled: 1-line block ×3, first 2 shown]
	v_add_f32_e32 v9, v11, v6
	v_pk_mul_f32 v[6:7], v[4:5], v[4:5] op_sel:[0,1] op_sel_hi:[1,0]
	v_cvt_f64_f32_e64 v[10:11], |v18|
	v_frexp_exp_i32_f64_e32 v7, v[10:11]
	v_subbrev_co_u32_e32 v7, vcc, 0, v7, vcc
	v_cvt_f32_i32_e32 v7, v7
	v_fma_f32 v8, v4, v5, -v6
	v_fmac_f32_e32 v8, v4, v9
	v_fmac_f32_e32 v8, v3, v5
	v_mul_f32_e32 v4, 0x3f317218, v7
	v_fma_f32 v3, v7, s4, -v4
	v_fmamk_f32 v10, v7, 0xb102e308, v3
	v_ldexp_f32 v11, v2, 1
	v_add_f32_e32 v5, v6, v8
	v_pk_add_f32 v[2:3], v[4:5], v[10:11]
	v_mov_b32_e32 v12, v5
	v_mov_b32_e32 v13, v3
	;; [unrolled: 1-line block ×3, first 2 shown]
	v_pk_add_f32 v[6:7], v[12:13], v[6:7] neg_lo:[0,1] neg_hi:[0,1]
	v_mov_b32_e32 v9, v5
	v_pk_add_f32 v[6:7], v[8:9], v[6:7] neg_lo:[0,1] neg_hi:[0,1]
	v_mov_b32_e32 v11, v2
	v_add_f32_e32 v5, v14, v6
	v_add_f32_e32 v5, v5, v7
	v_pk_add_f32 v[6:7], v[2:3], v[4:5] neg_lo:[0,1] neg_hi:[0,1]
	v_pk_add_f32 v[8:9], v[2:3], v[4:5]
	v_mov_b32_e32 v16, v3
	v_mov_b32_e32 v7, v9
	v_pk_add_f32 v[12:13], v[10:11], v[6:7] neg_lo:[0,1] neg_hi:[0,1]
	v_pk_add_f32 v[6:7], v[10:11], v[6:7]
	v_mov_b32_e32 v4, v5
	v_pk_add_f32 v[10:11], v[6:7], v[2:3] op_sel:[1,0] op_sel_hi:[0,1] neg_lo:[0,1] neg_hi:[0,1]
	v_pk_add_f32 v[14:15], v[8:9], v[10:11] op_sel_hi:[1,0] neg_lo:[0,1] neg_hi:[0,1]
	v_mov_b32_e32 v8, v9
	v_mov_b32_e32 v9, v7
	;; [unrolled: 1-line block ×3, first 2 shown]
	v_pk_add_f32 v[8:9], v[8:9], v[16:17] neg_lo:[0,1] neg_hi:[0,1]
	v_mov_b32_e32 v5, v2
	v_pk_add_f32 v[2:3], v[4:5], v[8:9] neg_lo:[0,1] neg_hi:[0,1]
	v_mov_b32_e32 v14, v12
	v_pk_add_f32 v[4:5], v[14:15], v[2:3]
	v_mov_b32_e32 v13, v7
	v_pk_add_f32 v[8:9], v[4:5], v[4:5] op_sel:[0,1] op_sel_hi:[1,0]
	s_mov_b32 s4, 0x7f800000
	v_pk_add_f32 v[6:7], v[6:7], v[8:9] op_sel:[1,0] op_sel_hi:[0,1]
	v_mov_b32_e32 v5, v6
	v_pk_add_f32 v[10:11], v[4:5], v[12:13] neg_lo:[0,1] neg_hi:[0,1]
	v_mov_b32_e32 v3, v8
	v_sub_f32_e32 v4, v4, v10
	v_pk_add_f32 v[2:3], v[2:3], v[10:11] neg_lo:[0,1] neg_hi:[0,1]
	v_sub_f32_e32 v4, v12, v4
	v_add_f32_e32 v2, v2, v4
	v_add_f32_e32 v2, v2, v3
	;; [unrolled: 1-line block ×3, first 2 shown]
	v_sub_f32_e32 v4, v3, v6
	v_sub_f32_e32 v2, v2, v4
	v_mul_f32_e32 v4, v1, v3
	v_fma_f32 v3, v1, v3, -v4
	v_fmac_f32_e32 v3, v1, v2
	v_add_f32_e32 v2, v4, v3
	v_cmp_class_f32_e64 vcc, v4, s6
	v_sub_f32_e32 v5, v2, v4
	v_sub_f32_e32 v3, v3, v5
	v_cndmask_b32_e32 v2, v2, v4, vcc
	v_mov_b32_e32 v4, 0x37000000
	v_cmp_eq_f32_e32 vcc, s5, v2
	v_cmp_class_f32_e64 s[30:31], v18, s6
	s_nop 0
	v_cndmask_b32_e32 v4, 0, v4, vcc
	v_sub_f32_e32 v5, v2, v4
	v_mul_f32_e32 v6, 0x3fb8aa3b, v5
	v_fma_f32 v7, v5, s7, -v6
	v_rndne_f32_e32 v8, v6
	v_fmamk_f32 v7, v5, 0x32a5705f, v7
	v_sub_f32_e32 v6, v6, v8
	v_add_f32_e32 v6, v6, v7
	v_exp_f32_e32 v6, v6
	v_cvt_i32_f32_e32 v7, v8
	v_cmp_neq_f32_e64 vcc, |v2|, s4
	s_mov_b32 s4, 0xc2ce8ed0
	s_nop 0
	v_cndmask_b32_e32 v2, 0, v3, vcc
	v_ldexp_f32 v3, v6, v7
	v_cmp_ngt_f32_e32 vcc, s4, v5
	v_add_f32_e32 v2, v4, v2
	v_mov_b32_e32 v4, 0x7f800000
	v_cndmask_b32_e32 v3, 0, v3, vcc
	v_cmp_nlt_f32_e32 vcc, s5, v5
	v_mov_b32_e32 v5, 0x7fc00000
	s_nop 0
	v_cndmask_b32_e32 v3, v4, v3, vcc
	v_fma_f32 v2, v3, v2, v3
	v_cmp_class_f32_e64 vcc, v3, s6
	v_cmp_gt_f32_e64 s[6:7], 0, v1
	s_nop 0
	v_cndmask_b32_e32 v2, v2, v3, vcc
	v_trunc_f32_e32 v3, v1
	v_cmp_eq_f32_e32 vcc, v3, v1
	v_mul_f32_e32 v3, 0.5, v1
	v_trunc_f32_e32 v6, v3
	v_cmp_neq_f32_e64 s[4:5], v6, v3
	s_and_b64 s[4:5], vcc, s[4:5]
	s_nop 0
	v_cndmask_b32_e64 v3, 1.0, v18, s[4:5]
	v_bfi_b32 v2, s14, v2, v3
	v_cndmask_b32_e32 v3, v5, v2, vcc
	v_cmp_gt_f32_e32 vcc, 0, v18
	s_nop 1
	v_cndmask_b32_e32 v2, v2, v3, vcc
	v_cmp_eq_f32_e32 vcc, 0, v18
	s_xor_b64 s[6:7], s[6:7], vcc
	v_cndmask_b32_e64 v1, v4, 0, s[6:7]
	v_cndmask_b32_e64 v3, 0, v18, s[4:5]
	v_bfi_b32 v1, s14, v1, v3
	s_or_b64 vcc, vcc, s[30:31]
	v_cndmask_b32_e32 v1, v2, v1, vcc
	v_cmp_o_f32_e32 vcc, v18, v18
	s_nop 1
	v_cndmask_b32_e32 v43, v5, v1, vcc
.LBB87_4:
	s_load_dwordx4 s[44:47], s[0:1], 0x70
	v_bfe_u32 v23, v0, 10, 10
	v_lshlrev_b32_e32 v38, 2, v23
	s_lshl_b32 s14, s2, 5
	v_or_b32_e32 v36, 1, v38
	s_waitcnt lgkmcnt(0)
	s_mul_i32 s4, s33, s46
	s_ashr_i32 s35, s34, 31
	s_ashr_i32 s6, s43, 31
	;; [unrolled: 1-line block ×3, first 2 shown]
	v_add_u32_e32 v39, s14, v36
	s_mul_i32 s5, s34, s45
	s_add_u32 s4, s8, s4
	v_mul_hi_u32 v1, v39, s24
	s_addc_u32 s7, s9, s7
	s_ashr_i32 s9, s5, 31
	v_add_u32_e32 v40, s14, v38
	v_add_u32_e32 v1, v39, v1
	s_add_u32 s8, s4, s5
	v_and_b32_e32 v20, 0x3ff, v0
	v_mul_hi_u32 v0, v40, s24
	v_lshrrev_b32_e32 v1, s25, v1
	s_addc_u32 s9, s7, s9
	s_ashr_i32 s45, s44, 31
	v_add_u32_e32 v0, v40, v0
	v_mul_lo_u32 v1, v1, s26
	s_lshr_b64 s[4:5], s[44:45], 2
	v_lshlrev_b32_e32 v10, 4, v20
	v_mov_b32_e32 v11, 0
	v_lshrrev_b32_e32 v0, s25, v0
	v_sub_u32_e32 v1, v39, v1
	v_lshl_add_u64 v[16:17], s[8:9], 0, v[10:11]
	v_mul_lo_u32 v0, v0, s26
	v_mad_u64_u32 v[6:7], s[8:9], s4, v1, 0
	v_or_b32_e32 v34, 2, v38
	v_sub_u32_e32 v0, v40, v0
	s_lshr_b32 s7, s45, 2
	v_mov_b32_e32 v8, v7
	v_add_u32_e32 v35, s14, v34
	v_mad_u64_u32 v[2:3], s[8:9], s4, v0, 0
	v_mad_u64_u32 v[8:9], s[8:9], s7, v1, v[8:9]
	v_mul_hi_u32 v1, v35, s24
	v_mov_b32_e32 v4, v3
	v_add_u32_e32 v1, v35, v1
	v_mad_u64_u32 v[4:5], s[8:9], s7, v0, v[4:5]
	v_lshrrev_b32_e32 v1, s25, v1
	v_mov_b32_e32 v3, v4
	v_mul_lo_u32 v1, v1, s26
	v_lshl_add_u64 v[2:3], v[2:3], 2, v[16:17]
	v_sub_u32_e32 v1, v35, v1
	global_load_dwordx4 v[2:5], v[2:3], off
	v_mad_u64_u32 v[12:13], s[8:9], s4, v1, 0
	v_or_b32_e32 v32, 3, v38
	v_mov_b32_e32 v7, v8
	v_mov_b32_e32 v10, v13
	v_add_u32_e32 v33, s14, v32
	v_lshl_add_u64 v[6:7], v[6:7], 2, v[16:17]
	v_mad_u64_u32 v[14:15], s[8:9], s7, v1, v[10:11]
	v_mul_hi_u32 v1, v33, s24
	global_load_dwordx4 v[6:9], v[6:7], off
	v_add_u32_e32 v1, v33, v1
	v_lshrrev_b32_e32 v1, s25, v1
	v_mov_b32_e32 v13, v14
	v_mul_lo_u32 v1, v1, s26
	v_lshl_add_u64 v[12:13], v[12:13], 2, v[16:17]
	v_sub_u32_e32 v1, v33, v1
	global_load_dwordx4 v[12:15], v[12:13], off
	v_mad_u64_u32 v[18:19], s[4:5], s4, v1, 0
	v_mov_b32_e32 v10, v19
	v_mad_u64_u32 v[24:25], s[4:5], s7, v1, v[10:11]
	v_mov_b32_e32 v19, v24
	v_lshl_add_u64 v[16:17], v[18:19], 2, v[16:17]
	global_load_dwordx4 v[16:19], v[16:17], off
	v_lshlrev_b32_e32 v41, 3, v20
	v_lshlrev_b32_e32 v21, 10, v23
	v_add_u32_e32 v1, 0x2400, v41
	v_add_u32_e32 v10, v1, v21
	s_cmp_eq_u64 s[18:19], 0
	s_waitcnt vmcnt(3)
	v_fma_mixlo_f16 v2, s28, v2, 0
	v_fma_mixlo_f16 v3, s28, v3, 0
	;; [unrolled: 1-line block ×4, first 2 shown]
	v_lshlrev_b32_e32 v3, 16, v3
	v_and_b32_e32 v2, 0xffff, v2
	v_lshlrev_b32_e32 v5, 16, v5
	v_and_b32_e32 v4, 0xffff, v4
	v_or_b32_e32 v2, v3, v2
	v_or3_b32 v3, v5, v4, 0
	v_or3_b32 v2, 0, 0, v2
	s_waitcnt vmcnt(2)
	v_fma_mixlo_f16 v6, s28, v6, 0
	v_fma_mixlo_f16 v7, s28, v7, 0
	;; [unrolled: 1-line block ×3, first 2 shown]
	v_lshlrev_b32_e32 v7, 16, v7
	v_and_b32_e32 v6, 0xffff, v6
	ds_write_b64 v10, v[2:3]
	v_fma_mixlo_f16 v2, s28, v9, 0
	v_or_b32_e32 v4, v7, v6
	v_lshlrev_b32_e32 v2, 16, v2
	v_and_b32_e32 v3, 0xffff, v8
	v_lshl_add_u32 v5, v36, 8, v1
	v_or3_b32 v3, v2, v3, 0
	v_or3_b32 v2, 0, 0, v4
	ds_write_b64 v5, v[2:3]
	s_waitcnt vmcnt(1)
	v_fma_mixlo_f16 v2, s28, v12, 0
	v_fma_mixlo_f16 v3, s28, v13, 0
	v_lshlrev_b32_e32 v3, 16, v3
	v_and_b32_e32 v2, 0xffff, v2
	v_or_b32_e32 v2, v3, v2
	v_fma_mixlo_f16 v3, s28, v14, 0
	v_fma_mixlo_f16 v4, s28, v15, 0
	v_lshlrev_b32_e32 v4, 16, v4
	v_and_b32_e32 v3, 0xffff, v3
	v_lshl_add_u32 v5, v34, 8, v1
	v_or3_b32 v3, v4, v3, 0
	v_or3_b32 v2, 0, 0, v2
	ds_write_b64 v5, v[2:3]
	s_waitcnt vmcnt(0)
	v_fma_mixlo_f16 v2, s28, v16, 0
	v_fma_mixlo_f16 v3, s28, v17, 0
	v_lshlrev_b32_e32 v3, 16, v3
	v_and_b32_e32 v2, 0xffff, v2
	v_or_b32_e32 v2, v3, v2
	v_fma_mixlo_f16 v3, s28, v18, 0
	v_fma_mixlo_f16 v4, s28, v19, 0
	v_lshlrev_b32_e32 v4, 16, v4
	v_and_b32_e32 v3, 0xffff, v3
	v_lshl_add_u32 v1, v32, 8, v1
	v_or3_b32 v3, v4, v3, 0
	v_or3_b32 v2, 0, 0, v2
	ds_write_b64 v1, v[2:3]
	s_waitcnt lgkmcnt(0)
	s_barrier
	s_cbranch_scc1 .LBB87_6
; %bb.5:
	s_load_dword s4, s[0:1], 0xd0
	s_mov_b32 s5, 0
	s_waitcnt lgkmcnt(0)
	s_mul_i32 s4, s4, s33
	s_add_i32 s4, s4, s2
	s_lshl_b64 s[4:5], s[4:5], 2
	s_add_u32 s4, s18, s4
	s_addc_u32 s5, s19, s5
	s_load_dword s38, s[4:5], 0x0
.LBB87_6:
	s_nop 0
	s_load_dwordx2 s[4:5], s[0:1], 0x8c
	s_load_dwordx4 s[44:47], s[0:1], 0x98
	s_ashr_i32 s19, s41, 1
	s_load_dwordx2 s[8:9], s[0:1], 0xa8
	v_lshlrev_b32_e32 v37, 2, v20
	s_waitcnt lgkmcnt(0)
	s_ashr_i32 s28, s4, 2
	s_ashr_i32 s4, s33, 31
	s_mul_hi_u32 s7, s44, s33
	s_mul_i32 s18, s44, s4
	s_add_i32 s7, s7, s18
	s_mul_i32 s18, s45, s33
	s_ashr_i32 s2, s46, 2
	s_add_i32 s7, s7, s18
	s_mul_i32 s18, s44, s33
	s_add_u32 s10, s10, s18
	s_addc_u32 s7, s11, s7
	s_mul_i32 s11, s40, s39
	s_sub_i32 s11, s42, s11
	s_xor_b32 s6, s35, s6
	s_add_i32 s18, s40, 1
	s_sub_i32 s29, s11, s39
	s_cmp_ge_u32 s11, s39
	s_cselect_b32 s18, s18, s40
	s_cselect_b32 s11, s29, s11
	s_add_i32 s29, s18, 1
	s_cmp_ge_u32 s11, s39
	s_cselect_b32 s11, s29, s18
	s_xor_b32 s11, s11, s6
	s_sub_i32 s6, s11, s6
	s_mul_i32 s5, s6, s5
	s_ashr_i32 s11, s5, 31
	s_add_u32 s29, s10, s5
	s_mul_hi_u32 s5, s8, s33
	s_mul_i32 s4, s8, s4
	s_addc_u32 s30, s7, s11
	s_add_i32 s4, s5, s4
	s_mul_i32 s5, s9, s33
	s_add_i32 s4, s4, s5
	s_mul_i32 s5, s8, s33
	s_add_u32 s5, s12, s5
	s_mul_i32 s6, s6, s47
	s_addc_u32 s4, s13, s4
	s_ashr_i32 s7, s6, 31
	s_add_u32 s12, s5, s6
	s_addc_u32 s13, s4, s7
	s_lshl_b32 s18, s3, 6
	s_sub_i32 s31, s38, 64
	s_cmp_ge_i32 s18, s31
	v_mul_lo_u32 v55, v0, s19
	v_lshrrev_b32_e32 v1, 3, v20
	v_and_b32_e32 v0, 28, v37
	v_or_b32_e32 v53, 1, v40
	v_or_b32_e32 v51, 2, v40
	;; [unrolled: 1-line block ×3, first 2 shown]
	v_lshrrev_b32_e32 v42, 4, v20
	v_and_b32_e32 v22, 60, v37
	v_mbcnt_lo_u32_b32 v54, -1, 0
	s_cbranch_scc1 .LBB87_62
; %bb.7:
	v_add_u32_e32 v2, v1, v38
	v_lshlrev_b32_e32 v4, 2, v0
	s_movk_i32 s4, 0x90
	v_mad_u32_u24 v56, v2, s4, v4
	v_mul_lo_u32 v4, s28, v2
	v_mul_hi_u32 v2, s24, v53
	v_add_u32_e32 v2, v53, v2
	v_lshrrev_b32_e32 v2, s25, v2
	v_mul_lo_u32 v2, v2, s26
	v_sub_u32_e32 v2, v53, v2
	v_mul_lo_u32 v60, v2, s19
	v_mul_hi_u32 v2, s24, v51
	v_add_u32_e32 v2, v51, v2
	v_lshrrev_b32_e32 v2, s25, v2
	v_mul_lo_u32 v2, v2, s26
	v_sub_u32_e32 v2, v51, v2
	;; [unrolled: 6-line block ×3, first 2 shown]
	v_mul_lo_u32 v62, v2, s19
	v_mov_b32_e32 v2, 0x4400
	v_lshl_add_u32 v63, v23, 9, v2
	v_lshl_add_u32 v2, v23, 1, v42
	v_lshlrev_b32_e32 v8, 2, v22
	v_lshl_or_b32 v64, v2, 8, v8
	v_mul_lo_u32 v8, s2, v2
	s_cmp_lg_u64 s[36:37], 0
	v_lshl_add_u32 v10, s2, 4, v8
	v_mov_b32_e32 v3, 0
	v_lshl_add_u32 v6, s28, 5, v4
	s_cselect_b64 s[6:7], -1, 0
	v_ashrrev_i32_e32 v9, 31, v8
	v_ashrrev_i32_e32 v11, 31, v10
	s_add_u32 s8, s0, 0xd0
                                        ; implicit-def: $vgpr2
                                        ; implicit-def: $vgpr2
	;; [unrolled: 1-line block ×3, first 2 shown]
	v_ashrrev_i32_e32 v5, 31, v4
	v_add_u32_e32 v57, 0x1200, v56
	v_ashrrev_i32_e32 v7, 31, v6
	v_add_u32_e32 v58, 0x2400, v21
	v_mul_u32_u24_e32 v59, 0x90, v20
	v_add_u32_e32 v65, 0x1000, v64
	s_addc_u32 s9, s1, 0
	v_mov_b32_e32 v26, 0xfeffffff
	v_lshlrev_b32_e32 v16, 2, v0
	v_mov_b32_e32 v17, v3
	s_mov_b32 s39, 0x3f200000
	s_mov_b32 s40, 0x3fb8aa3b
	;; [unrolled: 1-line block ×4, first 2 shown]
	v_mov_b32_e32 v66, 0x3ca908c9
	s_brev_b32 s43, -2
	s_mov_b32 s44, 0x10001
	v_lshlrev_b64 v[18:19], 2, v[8:9]
	v_lshlrev_b32_e32 v2, 2, v22
	v_lshlrev_b64 v[24:25], 2, v[10:11]
	v_mov_b32_e32 v67, 0x7f800000
	v_mbcnt_hi_u32_b32 v68, -1, v54
	v_mov_b32_e32 v46, v3
	v_mov_b32_e32 v45, v3
	;; [unrolled: 1-line block ×15, first 2 shown]
.LBB87_8:                               ; =>This Inner Loop Header: Depth=1
	s_mul_hi_i32 s5, s18, s28
	s_mul_i32 s4, s18, s28
	s_lshl_b64 s[4:5], s[4:5], 2
	s_add_u32 s4, s29, s4
	s_addc_u32 s5, s30, s5
	v_lshl_add_u64 v[12:13], v[4:5], 2, s[4:5]
	v_lshl_add_u64 v[12:13], v[12:13], 0, v[16:17]
	;; [unrolled: 1-line block ×4, first 2 shown]
	global_load_dwordx4 v[76:79], v[12:13], off
	global_load_dwordx4 v[80:83], v[14:15], off
	v_mov_b32_e32 v74, 0
	v_mov_b32_e32 v72, 0
	;; [unrolled: 1-line block ×8, first 2 shown]
	s_waitcnt vmcnt(1)
	ds_write_b128 v56, v[76:79]
	s_waitcnt vmcnt(0)
	ds_write_b128 v57, v[80:83]
	s_waitcnt lgkmcnt(0)
	s_barrier
	ds_read_b128 v[76:79], v58
	ds_read_b128 v[80:83], v59
	ds_read_b128 v[84:87], v59 offset:4608
	ds_read_b128 v[88:91], v58 offset:256
	;; [unrolled: 1-line block ×4, first 2 shown]
	s_waitcnt lgkmcnt(4)
	;;#ASMSTART
	v_dot2_f32_f16 v74, v80, v76, v74
	;;#ASMEND
	s_nop 0
	;;#ASMSTART
	v_dot2_f32_f16 v74, v81, v77, v74
	;;#ASMEND
	s_nop 0
	;;#ASMSTART
	v_dot2_f32_f16 v74, v82, v78, v74
	;;#ASMEND
	s_nop 0
	;;#ASMSTART
	v_dot2_f32_f16 v74, v83, v79, v74
	;;#ASMEND
	s_waitcnt lgkmcnt(2)
	;;#ASMSTART
	v_dot2_f32_f16 v72, v80, v88, v72
	;;#ASMEND
	s_nop 0
	;;#ASMSTART
	v_dot2_f32_f16 v72, v81, v89, v72
	;;#ASMEND
	s_nop 0
	;;#ASMSTART
	v_dot2_f32_f16 v72, v82, v90, v72
	;;#ASMEND
	s_nop 0
	;;#ASMSTART
	v_dot2_f32_f16 v72, v83, v91, v72
	;;#ASMEND
	;; [unrolled: 16-line block ×4, first 2 shown]
	;;#ASMSTART
	v_dot2_f32_f16 v75, v84, v76, v75
	;;#ASMEND
	s_nop 0
	;;#ASMSTART
	v_dot2_f32_f16 v75, v85, v77, v75
	;;#ASMEND
	s_nop 0
	;;#ASMSTART
	v_dot2_f32_f16 v75, v86, v78, v75
	;;#ASMEND
	s_nop 0
	;;#ASMSTART
	v_dot2_f32_f16 v75, v87, v79, v75
	;;#ASMEND
	;;#ASMSTART
	v_dot2_f32_f16 v73, v84, v88, v73
	;;#ASMEND
	s_nop 0
	;;#ASMSTART
	v_dot2_f32_f16 v73, v85, v89, v73
	;;#ASMEND
	s_nop 0
	;;#ASMSTART
	v_dot2_f32_f16 v73, v86, v90, v73
	;;#ASMEND
	s_nop 0
	;;#ASMSTART
	v_dot2_f32_f16 v73, v87, v91, v73
	;;#ASMEND
	;; [unrolled: 15-line block ×4, first 2 shown]
	ds_read_b128 v[76:79], v58 offset:16
	ds_read_b128 v[80:83], v59 offset:16
	;; [unrolled: 1-line block ×6, first 2 shown]
	s_waitcnt lgkmcnt(4)
	;;#ASMSTART
	v_dot2_f32_f16 v74, v80, v76, v74
	;;#ASMEND
	s_nop 0
	;;#ASMSTART
	v_dot2_f32_f16 v74, v81, v77, v74
	;;#ASMEND
	s_nop 0
	;;#ASMSTART
	v_dot2_f32_f16 v74, v82, v78, v74
	;;#ASMEND
	s_nop 0
	;;#ASMSTART
	v_dot2_f32_f16 v74, v83, v79, v74
	;;#ASMEND
	s_waitcnt lgkmcnt(2)
	;;#ASMSTART
	v_dot2_f32_f16 v72, v80, v88, v72
	;;#ASMEND
	s_nop 0
	;;#ASMSTART
	v_dot2_f32_f16 v72, v81, v89, v72
	;;#ASMEND
	s_nop 0
	;;#ASMSTART
	v_dot2_f32_f16 v72, v82, v90, v72
	;;#ASMEND
	s_nop 0
	;;#ASMSTART
	v_dot2_f32_f16 v72, v83, v91, v72
	;;#ASMEND
	;; [unrolled: 16-line block ×4, first 2 shown]
	;;#ASMSTART
	v_dot2_f32_f16 v75, v84, v76, v75
	;;#ASMEND
	s_nop 0
	;;#ASMSTART
	v_dot2_f32_f16 v75, v85, v77, v75
	;;#ASMEND
	s_nop 0
	;;#ASMSTART
	v_dot2_f32_f16 v75, v86, v78, v75
	;;#ASMEND
	s_nop 0
	;;#ASMSTART
	v_dot2_f32_f16 v75, v87, v79, v75
	;;#ASMEND
	;;#ASMSTART
	v_dot2_f32_f16 v73, v84, v88, v73
	;;#ASMEND
	s_nop 0
	;;#ASMSTART
	v_dot2_f32_f16 v73, v85, v89, v73
	;;#ASMEND
	s_nop 0
	;;#ASMSTART
	v_dot2_f32_f16 v73, v86, v90, v73
	;;#ASMEND
	s_nop 0
	;;#ASMSTART
	v_dot2_f32_f16 v73, v87, v91, v73
	;;#ASMEND
	;; [unrolled: 15-line block ×4, first 2 shown]
	ds_read_b128 v[76:79], v58 offset:32
	ds_read_b128 v[80:83], v59 offset:32
	;; [unrolled: 1-line block ×6, first 2 shown]
	s_waitcnt lgkmcnt(4)
	;;#ASMSTART
	v_dot2_f32_f16 v74, v80, v76, v74
	;;#ASMEND
	s_nop 0
	;;#ASMSTART
	v_dot2_f32_f16 v74, v81, v77, v74
	;;#ASMEND
	s_nop 0
	;;#ASMSTART
	v_dot2_f32_f16 v74, v82, v78, v74
	;;#ASMEND
	s_nop 0
	;;#ASMSTART
	v_dot2_f32_f16 v74, v83, v79, v74
	;;#ASMEND
	s_waitcnt lgkmcnt(2)
	;;#ASMSTART
	v_dot2_f32_f16 v72, v80, v88, v72
	;;#ASMEND
	s_nop 0
	;;#ASMSTART
	v_dot2_f32_f16 v72, v81, v89, v72
	;;#ASMEND
	s_nop 0
	;;#ASMSTART
	v_dot2_f32_f16 v72, v82, v90, v72
	;;#ASMEND
	s_nop 0
	;;#ASMSTART
	v_dot2_f32_f16 v72, v83, v91, v72
	;;#ASMEND
	;; [unrolled: 16-line block ×4, first 2 shown]
	;;#ASMSTART
	v_dot2_f32_f16 v75, v84, v76, v75
	;;#ASMEND
	s_nop 0
	;;#ASMSTART
	v_dot2_f32_f16 v75, v85, v77, v75
	;;#ASMEND
	s_nop 0
	;;#ASMSTART
	v_dot2_f32_f16 v75, v86, v78, v75
	;;#ASMEND
	s_nop 0
	;;#ASMSTART
	v_dot2_f32_f16 v75, v87, v79, v75
	;;#ASMEND
	;;#ASMSTART
	v_dot2_f32_f16 v73, v84, v88, v73
	;;#ASMEND
	s_nop 0
	;;#ASMSTART
	v_dot2_f32_f16 v73, v85, v89, v73
	;;#ASMEND
	s_nop 0
	;;#ASMSTART
	v_dot2_f32_f16 v73, v86, v90, v73
	;;#ASMEND
	s_nop 0
	;;#ASMSTART
	v_dot2_f32_f16 v73, v87, v91, v73
	;;#ASMEND
	;; [unrolled: 15-line block ×4, first 2 shown]
	ds_read_b128 v[76:79], v58 offset:48
	ds_read_b128 v[80:83], v59 offset:48
	;; [unrolled: 1-line block ×6, first 2 shown]
	s_waitcnt lgkmcnt(4)
	;;#ASMSTART
	v_dot2_f32_f16 v74, v80, v76, v74
	;;#ASMEND
	s_nop 0
	;;#ASMSTART
	v_dot2_f32_f16 v74, v81, v77, v74
	;;#ASMEND
	s_nop 0
	;;#ASMSTART
	v_dot2_f32_f16 v74, v82, v78, v74
	;;#ASMEND
	s_nop 0
	;;#ASMSTART
	v_dot2_f32_f16 v74, v83, v79, v74
	;;#ASMEND
	s_waitcnt lgkmcnt(2)
	;;#ASMSTART
	v_dot2_f32_f16 v72, v80, v88, v72
	;;#ASMEND
	s_nop 0
	;;#ASMSTART
	v_dot2_f32_f16 v72, v81, v89, v72
	;;#ASMEND
	s_nop 0
	;;#ASMSTART
	v_dot2_f32_f16 v72, v82, v90, v72
	;;#ASMEND
	s_nop 0
	;;#ASMSTART
	v_dot2_f32_f16 v72, v83, v91, v72
	;;#ASMEND
	;; [unrolled: 16-line block ×4, first 2 shown]
	;;#ASMSTART
	v_dot2_f32_f16 v75, v84, v76, v75
	;;#ASMEND
	s_nop 0
	;;#ASMSTART
	v_dot2_f32_f16 v75, v85, v77, v75
	;;#ASMEND
	s_nop 0
	;;#ASMSTART
	v_dot2_f32_f16 v75, v86, v78, v75
	;;#ASMEND
	s_nop 0
	;;#ASMSTART
	v_dot2_f32_f16 v75, v87, v79, v75
	;;#ASMEND
	;;#ASMSTART
	v_dot2_f32_f16 v73, v84, v88, v73
	;;#ASMEND
	s_nop 0
	;;#ASMSTART
	v_dot2_f32_f16 v73, v85, v89, v73
	;;#ASMEND
	s_nop 0
	;;#ASMSTART
	v_dot2_f32_f16 v73, v86, v90, v73
	;;#ASMEND
	s_nop 0
	;;#ASMSTART
	v_dot2_f32_f16 v73, v87, v91, v73
	;;#ASMEND
	;; [unrolled: 15-line block ×4, first 2 shown]
	ds_read_b128 v[76:79], v58 offset:64
	ds_read_b128 v[80:83], v59 offset:64
	;; [unrolled: 1-line block ×6, first 2 shown]
	s_waitcnt lgkmcnt(4)
	;;#ASMSTART
	v_dot2_f32_f16 v74, v80, v76, v74
	;;#ASMEND
	s_nop 0
	;;#ASMSTART
	v_dot2_f32_f16 v74, v81, v77, v74
	;;#ASMEND
	s_nop 0
	;;#ASMSTART
	v_dot2_f32_f16 v74, v82, v78, v74
	;;#ASMEND
	s_nop 0
	;;#ASMSTART
	v_dot2_f32_f16 v74, v83, v79, v74
	;;#ASMEND
	s_waitcnt lgkmcnt(2)
	;;#ASMSTART
	v_dot2_f32_f16 v72, v80, v88, v72
	;;#ASMEND
	s_nop 0
	;;#ASMSTART
	v_dot2_f32_f16 v72, v81, v89, v72
	;;#ASMEND
	s_nop 0
	;;#ASMSTART
	v_dot2_f32_f16 v72, v82, v90, v72
	;;#ASMEND
	s_nop 0
	;;#ASMSTART
	v_dot2_f32_f16 v72, v83, v91, v72
	;;#ASMEND
	;; [unrolled: 16-line block ×4, first 2 shown]
	;;#ASMSTART
	v_dot2_f32_f16 v75, v84, v76, v75
	;;#ASMEND
	s_nop 0
	;;#ASMSTART
	v_dot2_f32_f16 v75, v85, v77, v75
	;;#ASMEND
	s_nop 0
	;;#ASMSTART
	v_dot2_f32_f16 v75, v86, v78, v75
	;;#ASMEND
	s_nop 0
	;;#ASMSTART
	v_dot2_f32_f16 v75, v87, v79, v75
	;;#ASMEND
	;;#ASMSTART
	v_dot2_f32_f16 v73, v84, v88, v73
	;;#ASMEND
	s_nop 0
	;;#ASMSTART
	v_dot2_f32_f16 v73, v85, v89, v73
	;;#ASMEND
	s_nop 0
	;;#ASMSTART
	v_dot2_f32_f16 v73, v86, v90, v73
	;;#ASMEND
	s_nop 0
	;;#ASMSTART
	v_dot2_f32_f16 v73, v87, v91, v73
	;;#ASMEND
	;; [unrolled: 15-line block ×4, first 2 shown]
	ds_read_b128 v[76:79], v58 offset:80
	ds_read_b128 v[80:83], v59 offset:80
	;; [unrolled: 1-line block ×6, first 2 shown]
	s_waitcnt lgkmcnt(4)
	;;#ASMSTART
	v_dot2_f32_f16 v74, v80, v76, v74
	;;#ASMEND
	s_nop 0
	;;#ASMSTART
	v_dot2_f32_f16 v74, v81, v77, v74
	;;#ASMEND
	s_nop 0
	;;#ASMSTART
	v_dot2_f32_f16 v74, v82, v78, v74
	;;#ASMEND
	s_nop 0
	;;#ASMSTART
	v_dot2_f32_f16 v74, v83, v79, v74
	;;#ASMEND
	s_waitcnt lgkmcnt(2)
	;;#ASMSTART
	v_dot2_f32_f16 v72, v80, v88, v72
	;;#ASMEND
	s_nop 0
	;;#ASMSTART
	v_dot2_f32_f16 v72, v81, v89, v72
	;;#ASMEND
	s_nop 0
	;;#ASMSTART
	v_dot2_f32_f16 v72, v82, v90, v72
	;;#ASMEND
	s_nop 0
	;;#ASMSTART
	v_dot2_f32_f16 v72, v83, v91, v72
	;;#ASMEND
	;; [unrolled: 16-line block ×4, first 2 shown]
	;;#ASMSTART
	v_dot2_f32_f16 v75, v84, v76, v75
	;;#ASMEND
	s_nop 0
	;;#ASMSTART
	v_dot2_f32_f16 v75, v85, v77, v75
	;;#ASMEND
	s_nop 0
	;;#ASMSTART
	v_dot2_f32_f16 v75, v86, v78, v75
	;;#ASMEND
	s_nop 0
	;;#ASMSTART
	v_dot2_f32_f16 v75, v87, v79, v75
	;;#ASMEND
	;;#ASMSTART
	v_dot2_f32_f16 v73, v84, v88, v73
	;;#ASMEND
	s_nop 0
	;;#ASMSTART
	v_dot2_f32_f16 v73, v85, v89, v73
	;;#ASMEND
	s_nop 0
	;;#ASMSTART
	v_dot2_f32_f16 v73, v86, v90, v73
	;;#ASMEND
	s_nop 0
	;;#ASMSTART
	v_dot2_f32_f16 v73, v87, v91, v73
	;;#ASMEND
	;; [unrolled: 15-line block ×4, first 2 shown]
	ds_read_b128 v[76:79], v58 offset:96
	ds_read_b128 v[80:83], v59 offset:96
	ds_read_b128 v[84:87], v59 offset:4704
	ds_read_b128 v[88:91], v58 offset:352
	ds_read_b128 v[92:95], v58 offset:608
	ds_read_b128 v[96:99], v58 offset:864
	s_waitcnt lgkmcnt(4)
	;;#ASMSTART
	v_dot2_f32_f16 v74, v80, v76, v74
	;;#ASMEND
	s_nop 0
	;;#ASMSTART
	v_dot2_f32_f16 v74, v81, v77, v74
	;;#ASMEND
	s_nop 0
	;;#ASMSTART
	v_dot2_f32_f16 v74, v82, v78, v74
	;;#ASMEND
	s_nop 0
	;;#ASMSTART
	v_dot2_f32_f16 v74, v83, v79, v74
	;;#ASMEND
	s_waitcnt lgkmcnt(2)
	;;#ASMSTART
	v_dot2_f32_f16 v72, v80, v88, v72
	;;#ASMEND
	s_nop 0
	;;#ASMSTART
	v_dot2_f32_f16 v72, v81, v89, v72
	;;#ASMEND
	s_nop 0
	;;#ASMSTART
	v_dot2_f32_f16 v72, v82, v90, v72
	;;#ASMEND
	s_nop 0
	;;#ASMSTART
	v_dot2_f32_f16 v72, v83, v91, v72
	;;#ASMEND
	;; [unrolled: 16-line block ×4, first 2 shown]
	;;#ASMSTART
	v_dot2_f32_f16 v75, v84, v76, v75
	;;#ASMEND
	s_nop 0
	;;#ASMSTART
	v_dot2_f32_f16 v75, v85, v77, v75
	;;#ASMEND
	s_nop 0
	;;#ASMSTART
	v_dot2_f32_f16 v75, v86, v78, v75
	;;#ASMEND
	s_nop 0
	;;#ASMSTART
	v_dot2_f32_f16 v75, v87, v79, v75
	;;#ASMEND
	;;#ASMSTART
	v_dot2_f32_f16 v73, v84, v88, v73
	;;#ASMEND
	s_nop 0
	;;#ASMSTART
	v_dot2_f32_f16 v73, v85, v89, v73
	;;#ASMEND
	s_nop 0
	;;#ASMSTART
	v_dot2_f32_f16 v73, v86, v90, v73
	;;#ASMEND
	s_nop 0
	;;#ASMSTART
	v_dot2_f32_f16 v73, v87, v91, v73
	;;#ASMEND
	;; [unrolled: 15-line block ×4, first 2 shown]
	ds_read_b128 v[76:79], v58 offset:112
	ds_read_b128 v[80:83], v59 offset:112
	;; [unrolled: 1-line block ×6, first 2 shown]
	s_waitcnt lgkmcnt(4)
	;;#ASMSTART
	v_dot2_f32_f16 v74, v80, v76, v74
	;;#ASMEND
	s_nop 0
	;;#ASMSTART
	v_dot2_f32_f16 v74, v81, v77, v74
	;;#ASMEND
	s_nop 0
	;;#ASMSTART
	v_dot2_f32_f16 v74, v82, v78, v74
	;;#ASMEND
	s_nop 0
	;;#ASMSTART
	v_dot2_f32_f16 v74, v83, v79, v74
	;;#ASMEND
	s_waitcnt lgkmcnt(2)
	;;#ASMSTART
	v_dot2_f32_f16 v72, v80, v88, v72
	;;#ASMEND
	s_nop 0
	;;#ASMSTART
	v_dot2_f32_f16 v72, v81, v89, v72
	;;#ASMEND
	s_nop 0
	;;#ASMSTART
	v_dot2_f32_f16 v72, v82, v90, v72
	;;#ASMEND
	s_nop 0
	;;#ASMSTART
	v_dot2_f32_f16 v72, v83, v91, v72
	;;#ASMEND
	;; [unrolled: 16-line block ×4, first 2 shown]
	;;#ASMSTART
	v_dot2_f32_f16 v75, v84, v76, v75
	;;#ASMEND
	s_nop 0
	;;#ASMSTART
	v_dot2_f32_f16 v75, v85, v77, v75
	;;#ASMEND
	s_nop 0
	;;#ASMSTART
	v_dot2_f32_f16 v75, v86, v78, v75
	;;#ASMEND
	s_nop 0
	;;#ASMSTART
	v_dot2_f32_f16 v75, v87, v79, v75
	;;#ASMEND
	;;#ASMSTART
	v_dot2_f32_f16 v73, v84, v88, v73
	;;#ASMEND
	s_nop 0
	;;#ASMSTART
	v_dot2_f32_f16 v73, v85, v89, v73
	;;#ASMEND
	s_nop 0
	;;#ASMSTART
	v_dot2_f32_f16 v73, v86, v90, v73
	;;#ASMEND
	s_nop 0
	;;#ASMSTART
	v_dot2_f32_f16 v73, v87, v91, v73
	;;#ASMEND
	;; [unrolled: 15-line block ×4, first 2 shown]
	s_barrier
	global_load_dwordx4 v[76:79], v[12:13], off offset:128
	global_load_dwordx4 v[80:83], v[14:15], off offset:128
	s_waitcnt vmcnt(1)
	ds_write_b128 v56, v[76:79]
	s_waitcnt vmcnt(0)
	ds_write_b128 v57, v[80:83]
	s_waitcnt lgkmcnt(0)
	s_barrier
	ds_read_b128 v[12:15], v58 offset:128
	ds_read_b128 v[76:79], v59
	ds_read_b128 v[80:83], v59 offset:4608
	ds_read_b128 v[84:87], v58 offset:384
	ds_read_b128 v[88:91], v58 offset:640
	ds_read_b128 v[92:95], v58 offset:896
	s_waitcnt lgkmcnt(4)
	;;#ASMSTART
	v_dot2_f32_f16 v74, v76, v12, v74
	;;#ASMEND
	s_nop 0
	;;#ASMSTART
	v_dot2_f32_f16 v74, v77, v13, v74
	;;#ASMEND
	s_nop 0
	;;#ASMSTART
	v_dot2_f32_f16 v74, v78, v14, v74
	;;#ASMEND
	s_nop 0
	;;#ASMSTART
	v_dot2_f32_f16 v74, v79, v15, v74
	;;#ASMEND
	s_waitcnt lgkmcnt(2)
	;;#ASMSTART
	v_dot2_f32_f16 v72, v76, v84, v72
	;;#ASMEND
	s_nop 0
	;;#ASMSTART
	v_dot2_f32_f16 v72, v77, v85, v72
	;;#ASMEND
	s_nop 0
	;;#ASMSTART
	v_dot2_f32_f16 v72, v78, v86, v72
	;;#ASMEND
	s_nop 0
	;;#ASMSTART
	v_dot2_f32_f16 v72, v79, v87, v72
	;;#ASMEND
	;; [unrolled: 16-line block ×4, first 2 shown]
	;;#ASMSTART
	v_dot2_f32_f16 v75, v80, v12, v75
	;;#ASMEND
	s_nop 0
	;;#ASMSTART
	v_dot2_f32_f16 v75, v81, v13, v75
	;;#ASMEND
	s_nop 0
	;;#ASMSTART
	v_dot2_f32_f16 v75, v82, v14, v75
	;;#ASMEND
	s_nop 0
	;;#ASMSTART
	v_dot2_f32_f16 v75, v83, v15, v75
	;;#ASMEND
	;;#ASMSTART
	v_dot2_f32_f16 v73, v80, v84, v73
	;;#ASMEND
	s_nop 0
	;;#ASMSTART
	v_dot2_f32_f16 v73, v81, v85, v73
	;;#ASMEND
	s_nop 0
	;;#ASMSTART
	v_dot2_f32_f16 v73, v82, v86, v73
	;;#ASMEND
	s_nop 0
	;;#ASMSTART
	v_dot2_f32_f16 v73, v83, v87, v73
	;;#ASMEND
	;; [unrolled: 15-line block ×4, first 2 shown]
	ds_read_b128 v[12:15], v58 offset:144
	ds_read_b128 v[76:79], v59 offset:16
	;; [unrolled: 1-line block ×6, first 2 shown]
	s_waitcnt lgkmcnt(4)
	;;#ASMSTART
	v_dot2_f32_f16 v74, v76, v12, v74
	;;#ASMEND
	s_nop 0
	;;#ASMSTART
	v_dot2_f32_f16 v74, v77, v13, v74
	;;#ASMEND
	s_nop 0
	;;#ASMSTART
	v_dot2_f32_f16 v74, v78, v14, v74
	;;#ASMEND
	s_nop 0
	;;#ASMSTART
	v_dot2_f32_f16 v74, v79, v15, v74
	;;#ASMEND
	s_waitcnt lgkmcnt(2)
	;;#ASMSTART
	v_dot2_f32_f16 v72, v76, v84, v72
	;;#ASMEND
	s_nop 0
	;;#ASMSTART
	v_dot2_f32_f16 v72, v77, v85, v72
	;;#ASMEND
	s_nop 0
	;;#ASMSTART
	v_dot2_f32_f16 v72, v78, v86, v72
	;;#ASMEND
	s_nop 0
	;;#ASMSTART
	v_dot2_f32_f16 v72, v79, v87, v72
	;;#ASMEND
	;; [unrolled: 16-line block ×4, first 2 shown]
	;;#ASMSTART
	v_dot2_f32_f16 v75, v80, v12, v75
	;;#ASMEND
	s_nop 0
	;;#ASMSTART
	v_dot2_f32_f16 v75, v81, v13, v75
	;;#ASMEND
	s_nop 0
	;;#ASMSTART
	v_dot2_f32_f16 v75, v82, v14, v75
	;;#ASMEND
	s_nop 0
	;;#ASMSTART
	v_dot2_f32_f16 v75, v83, v15, v75
	;;#ASMEND
	;;#ASMSTART
	v_dot2_f32_f16 v73, v80, v84, v73
	;;#ASMEND
	s_nop 0
	;;#ASMSTART
	v_dot2_f32_f16 v73, v81, v85, v73
	;;#ASMEND
	s_nop 0
	;;#ASMSTART
	v_dot2_f32_f16 v73, v82, v86, v73
	;;#ASMEND
	s_nop 0
	;;#ASMSTART
	v_dot2_f32_f16 v73, v83, v87, v73
	;;#ASMEND
	;; [unrolled: 15-line block ×4, first 2 shown]
	ds_read_b128 v[12:15], v58 offset:160
	ds_read_b128 v[76:79], v59 offset:32
	ds_read_b128 v[80:83], v59 offset:4640
	ds_read_b128 v[84:87], v58 offset:416
	ds_read_b128 v[88:91], v58 offset:672
	ds_read_b128 v[92:95], v58 offset:928
	s_waitcnt lgkmcnt(4)
	;;#ASMSTART
	v_dot2_f32_f16 v74, v76, v12, v74
	;;#ASMEND
	s_nop 0
	;;#ASMSTART
	v_dot2_f32_f16 v74, v77, v13, v74
	;;#ASMEND
	s_nop 0
	;;#ASMSTART
	v_dot2_f32_f16 v74, v78, v14, v74
	;;#ASMEND
	s_nop 0
	;;#ASMSTART
	v_dot2_f32_f16 v74, v79, v15, v74
	;;#ASMEND
	s_waitcnt lgkmcnt(2)
	;;#ASMSTART
	v_dot2_f32_f16 v72, v76, v84, v72
	;;#ASMEND
	s_nop 0
	;;#ASMSTART
	v_dot2_f32_f16 v72, v77, v85, v72
	;;#ASMEND
	s_nop 0
	;;#ASMSTART
	v_dot2_f32_f16 v72, v78, v86, v72
	;;#ASMEND
	s_nop 0
	;;#ASMSTART
	v_dot2_f32_f16 v72, v79, v87, v72
	;;#ASMEND
	;; [unrolled: 16-line block ×4, first 2 shown]
	;;#ASMSTART
	v_dot2_f32_f16 v75, v80, v12, v75
	;;#ASMEND
	s_nop 0
	;;#ASMSTART
	v_dot2_f32_f16 v75, v81, v13, v75
	;;#ASMEND
	s_nop 0
	;;#ASMSTART
	v_dot2_f32_f16 v75, v82, v14, v75
	;;#ASMEND
	s_nop 0
	;;#ASMSTART
	v_dot2_f32_f16 v75, v83, v15, v75
	;;#ASMEND
	;;#ASMSTART
	v_dot2_f32_f16 v73, v80, v84, v73
	;;#ASMEND
	s_nop 0
	;;#ASMSTART
	v_dot2_f32_f16 v73, v81, v85, v73
	;;#ASMEND
	s_nop 0
	;;#ASMSTART
	v_dot2_f32_f16 v73, v82, v86, v73
	;;#ASMEND
	s_nop 0
	;;#ASMSTART
	v_dot2_f32_f16 v73, v83, v87, v73
	;;#ASMEND
	;; [unrolled: 15-line block ×4, first 2 shown]
	ds_read_b128 v[12:15], v58 offset:176
	ds_read_b128 v[76:79], v59 offset:48
	ds_read_b128 v[80:83], v59 offset:4656
	ds_read_b128 v[84:87], v58 offset:432
	ds_read_b128 v[88:91], v58 offset:688
	ds_read_b128 v[92:95], v58 offset:944
	s_waitcnt lgkmcnt(4)
	;;#ASMSTART
	v_dot2_f32_f16 v74, v76, v12, v74
	;;#ASMEND
	s_nop 0
	;;#ASMSTART
	v_dot2_f32_f16 v74, v77, v13, v74
	;;#ASMEND
	s_nop 0
	;;#ASMSTART
	v_dot2_f32_f16 v74, v78, v14, v74
	;;#ASMEND
	s_nop 0
	;;#ASMSTART
	v_dot2_f32_f16 v74, v79, v15, v74
	;;#ASMEND
	s_waitcnt lgkmcnt(2)
	;;#ASMSTART
	v_dot2_f32_f16 v72, v76, v84, v72
	;;#ASMEND
	s_nop 0
	;;#ASMSTART
	v_dot2_f32_f16 v72, v77, v85, v72
	;;#ASMEND
	s_nop 0
	;;#ASMSTART
	v_dot2_f32_f16 v72, v78, v86, v72
	;;#ASMEND
	s_nop 0
	;;#ASMSTART
	v_dot2_f32_f16 v72, v79, v87, v72
	;;#ASMEND
	;; [unrolled: 16-line block ×4, first 2 shown]
	;;#ASMSTART
	v_dot2_f32_f16 v75, v80, v12, v75
	;;#ASMEND
	s_nop 0
	;;#ASMSTART
	v_dot2_f32_f16 v75, v81, v13, v75
	;;#ASMEND
	s_nop 0
	;;#ASMSTART
	v_dot2_f32_f16 v75, v82, v14, v75
	;;#ASMEND
	s_nop 0
	;;#ASMSTART
	v_dot2_f32_f16 v75, v83, v15, v75
	;;#ASMEND
	;;#ASMSTART
	v_dot2_f32_f16 v73, v80, v84, v73
	;;#ASMEND
	s_nop 0
	;;#ASMSTART
	v_dot2_f32_f16 v73, v81, v85, v73
	;;#ASMEND
	s_nop 0
	;;#ASMSTART
	v_dot2_f32_f16 v73, v82, v86, v73
	;;#ASMEND
	s_nop 0
	;;#ASMSTART
	v_dot2_f32_f16 v73, v83, v87, v73
	;;#ASMEND
	;; [unrolled: 15-line block ×4, first 2 shown]
	ds_read_b128 v[12:15], v58 offset:192
	ds_read_b128 v[76:79], v59 offset:64
	;; [unrolled: 1-line block ×6, first 2 shown]
	s_waitcnt lgkmcnt(4)
	;;#ASMSTART
	v_dot2_f32_f16 v74, v76, v12, v74
	;;#ASMEND
	s_nop 0
	;;#ASMSTART
	v_dot2_f32_f16 v74, v77, v13, v74
	;;#ASMEND
	s_nop 0
	;;#ASMSTART
	v_dot2_f32_f16 v74, v78, v14, v74
	;;#ASMEND
	s_nop 0
	;;#ASMSTART
	v_dot2_f32_f16 v74, v79, v15, v74
	;;#ASMEND
	s_waitcnt lgkmcnt(2)
	;;#ASMSTART
	v_dot2_f32_f16 v72, v76, v84, v72
	;;#ASMEND
	s_nop 0
	;;#ASMSTART
	v_dot2_f32_f16 v72, v77, v85, v72
	;;#ASMEND
	s_nop 0
	;;#ASMSTART
	v_dot2_f32_f16 v72, v78, v86, v72
	;;#ASMEND
	s_nop 0
	;;#ASMSTART
	v_dot2_f32_f16 v72, v79, v87, v72
	;;#ASMEND
	;; [unrolled: 16-line block ×4, first 2 shown]
	;;#ASMSTART
	v_dot2_f32_f16 v75, v80, v12, v75
	;;#ASMEND
	s_nop 0
	;;#ASMSTART
	v_dot2_f32_f16 v75, v81, v13, v75
	;;#ASMEND
	s_nop 0
	;;#ASMSTART
	v_dot2_f32_f16 v75, v82, v14, v75
	;;#ASMEND
	s_nop 0
	;;#ASMSTART
	v_dot2_f32_f16 v75, v83, v15, v75
	;;#ASMEND
	;;#ASMSTART
	v_dot2_f32_f16 v73, v80, v84, v73
	;;#ASMEND
	s_nop 0
	;;#ASMSTART
	v_dot2_f32_f16 v73, v81, v85, v73
	;;#ASMEND
	s_nop 0
	;;#ASMSTART
	v_dot2_f32_f16 v73, v82, v86, v73
	;;#ASMEND
	s_nop 0
	;;#ASMSTART
	v_dot2_f32_f16 v73, v83, v87, v73
	;;#ASMEND
	;; [unrolled: 15-line block ×4, first 2 shown]
	ds_read_b128 v[12:15], v58 offset:208
	ds_read_b128 v[76:79], v59 offset:80
	;; [unrolled: 1-line block ×6, first 2 shown]
	s_waitcnt lgkmcnt(4)
	;;#ASMSTART
	v_dot2_f32_f16 v74, v76, v12, v74
	;;#ASMEND
	s_nop 0
	;;#ASMSTART
	v_dot2_f32_f16 v74, v77, v13, v74
	;;#ASMEND
	s_nop 0
	;;#ASMSTART
	v_dot2_f32_f16 v74, v78, v14, v74
	;;#ASMEND
	s_nop 0
	;;#ASMSTART
	v_dot2_f32_f16 v74, v79, v15, v74
	;;#ASMEND
	s_waitcnt lgkmcnt(2)
	;;#ASMSTART
	v_dot2_f32_f16 v72, v76, v84, v72
	;;#ASMEND
	s_nop 0
	;;#ASMSTART
	v_dot2_f32_f16 v72, v77, v85, v72
	;;#ASMEND
	s_nop 0
	;;#ASMSTART
	v_dot2_f32_f16 v72, v78, v86, v72
	;;#ASMEND
	s_nop 0
	;;#ASMSTART
	v_dot2_f32_f16 v72, v79, v87, v72
	;;#ASMEND
	;; [unrolled: 16-line block ×4, first 2 shown]
	;;#ASMSTART
	v_dot2_f32_f16 v75, v80, v12, v75
	;;#ASMEND
	s_nop 0
	;;#ASMSTART
	v_dot2_f32_f16 v75, v81, v13, v75
	;;#ASMEND
	s_nop 0
	;;#ASMSTART
	v_dot2_f32_f16 v75, v82, v14, v75
	;;#ASMEND
	s_nop 0
	;;#ASMSTART
	v_dot2_f32_f16 v75, v83, v15, v75
	;;#ASMEND
	;;#ASMSTART
	v_dot2_f32_f16 v73, v80, v84, v73
	;;#ASMEND
	s_nop 0
	;;#ASMSTART
	v_dot2_f32_f16 v73, v81, v85, v73
	;;#ASMEND
	s_nop 0
	;;#ASMSTART
	v_dot2_f32_f16 v73, v82, v86, v73
	;;#ASMEND
	s_nop 0
	;;#ASMSTART
	v_dot2_f32_f16 v73, v83, v87, v73
	;;#ASMEND
	;;#ASMSTART
	v_dot2_f32_f16 v71, v80, v88, v71
	;;#ASMEND
	s_nop 0
	;;#ASMSTART
	v_dot2_f32_f16 v71, v81, v89, v71
	;;#ASMEND
	s_nop 0
	;;#ASMSTART
	v_dot2_f32_f16 v71, v82, v90, v71
	;;#ASMEND
	s_nop 0
	;;#ASMSTART
	v_dot2_f32_f16 v71, v83, v91, v71
	;;#ASMEND
	;;#ASMSTART
	v_dot2_f32_f16 v29, v80, v92, v29
	;;#ASMEND
	s_nop 0
	;;#ASMSTART
	v_dot2_f32_f16 v29, v81, v93, v29
	;;#ASMEND
	s_nop 0
	;;#ASMSTART
	v_dot2_f32_f16 v29, v82, v94, v29
	;;#ASMEND
	s_nop 0
	;;#ASMSTART
	v_dot2_f32_f16 v29, v83, v95, v29
	;;#ASMEND
	ds_read_b128 v[12:15], v58 offset:224
	ds_read_b128 v[76:79], v59 offset:96
	;; [unrolled: 1-line block ×6, first 2 shown]
	s_waitcnt lgkmcnt(4)
	;;#ASMSTART
	v_dot2_f32_f16 v74, v76, v12, v74
	;;#ASMEND
	s_nop 0
	;;#ASMSTART
	v_dot2_f32_f16 v74, v77, v13, v74
	;;#ASMEND
	s_nop 0
	;;#ASMSTART
	v_dot2_f32_f16 v74, v78, v14, v74
	;;#ASMEND
	s_nop 0
	;;#ASMSTART
	v_dot2_f32_f16 v74, v79, v15, v74
	;;#ASMEND
	s_waitcnt lgkmcnt(2)
	;;#ASMSTART
	v_dot2_f32_f16 v72, v76, v84, v72
	;;#ASMEND
	s_nop 0
	;;#ASMSTART
	v_dot2_f32_f16 v72, v77, v85, v72
	;;#ASMEND
	s_nop 0
	;;#ASMSTART
	v_dot2_f32_f16 v72, v78, v86, v72
	;;#ASMEND
	s_nop 0
	;;#ASMSTART
	v_dot2_f32_f16 v72, v79, v87, v72
	;;#ASMEND
	s_waitcnt lgkmcnt(1)
	;;#ASMSTART
	v_dot2_f32_f16 v30, v76, v88, v30
	;;#ASMEND
	s_nop 0
	;;#ASMSTART
	v_dot2_f32_f16 v30, v77, v89, v30
	;;#ASMEND
	s_nop 0
	;;#ASMSTART
	v_dot2_f32_f16 v30, v78, v90, v30
	;;#ASMEND
	s_nop 0
	;;#ASMSTART
	v_dot2_f32_f16 v30, v79, v91, v30
	;;#ASMEND
	s_waitcnt lgkmcnt(0)
	;;#ASMSTART
	v_dot2_f32_f16 v28, v76, v92, v28
	;;#ASMEND
	s_nop 0
	;;#ASMSTART
	v_dot2_f32_f16 v28, v77, v93, v28
	;;#ASMEND
	s_nop 0
	;;#ASMSTART
	v_dot2_f32_f16 v28, v78, v94, v28
	;;#ASMEND
	s_nop 0
	;;#ASMSTART
	v_dot2_f32_f16 v28, v79, v95, v28
	;;#ASMEND
	;;#ASMSTART
	v_dot2_f32_f16 v75, v80, v12, v75
	;;#ASMEND
	s_nop 0
	;;#ASMSTART
	v_dot2_f32_f16 v75, v81, v13, v75
	;;#ASMEND
	s_nop 0
	;;#ASMSTART
	v_dot2_f32_f16 v75, v82, v14, v75
	;;#ASMEND
	s_nop 0
	;;#ASMSTART
	v_dot2_f32_f16 v75, v83, v15, v75
	;;#ASMEND
	;;#ASMSTART
	v_dot2_f32_f16 v73, v80, v84, v73
	;;#ASMEND
	s_nop 0
	;;#ASMSTART
	v_dot2_f32_f16 v73, v81, v85, v73
	;;#ASMEND
	s_nop 0
	;;#ASMSTART
	v_dot2_f32_f16 v73, v82, v86, v73
	;;#ASMEND
	s_nop 0
	;;#ASMSTART
	v_dot2_f32_f16 v73, v83, v87, v73
	;;#ASMEND
	;; [unrolled: 15-line block ×4, first 2 shown]
	ds_read_b128 v[12:15], v58 offset:240
	ds_read_b128 v[76:79], v59 offset:112
	;; [unrolled: 1-line block ×6, first 2 shown]
	s_waitcnt lgkmcnt(4)
	;;#ASMSTART
	v_dot2_f32_f16 v74, v76, v12, v74
	;;#ASMEND
	s_nop 0
	;;#ASMSTART
	v_dot2_f32_f16 v74, v77, v13, v74
	;;#ASMEND
	s_nop 0
	;; [unrolled: 4-line block ×3, first 2 shown]
	;;#ASMSTART
	v_dot2_f32_f16 v74, v79, v15, v74
	;;#ASMEND
	s_waitcnt lgkmcnt(2)
	;;#ASMSTART
	v_dot2_f32_f16 v72, v76, v84, v72
	;;#ASMEND
	s_nop 0
	;;#ASMSTART
	v_dot2_f32_f16 v72, v77, v85, v72
	;;#ASMEND
	v_cmp_nlt_f32_e64 s[4:5], |v74|, s39
	;;#ASMSTART
	v_dot2_f32_f16 v72, v78, v86, v72
	;;#ASMEND
	s_nop 0
	;;#ASMSTART
	v_dot2_f32_f16 v72, v79, v87, v72
	;;#ASMEND
	s_waitcnt lgkmcnt(1)
	;;#ASMSTART
	v_dot2_f32_f16 v30, v76, v88, v30
	;;#ASMEND
	s_nop 0
	;;#ASMSTART
	v_dot2_f32_f16 v30, v77, v89, v30
	;;#ASMEND
	s_nop 0
	;; [unrolled: 4-line block ×3, first 2 shown]
	;;#ASMSTART
	v_dot2_f32_f16 v30, v79, v91, v30
	;;#ASMEND
	s_waitcnt lgkmcnt(0)
	;;#ASMSTART
	v_dot2_f32_f16 v28, v76, v92, v28
	;;#ASMEND
	s_nop 0
	;;#ASMSTART
	v_dot2_f32_f16 v28, v77, v93, v28
	;;#ASMEND
	s_nop 0
	;; [unrolled: 4-line block ×3, first 2 shown]
	;;#ASMSTART
	v_dot2_f32_f16 v28, v79, v95, v28
	;;#ASMEND
	;;#ASMSTART
	v_dot2_f32_f16 v75, v80, v12, v75
	;;#ASMEND
	s_nop 0
	;;#ASMSTART
	v_dot2_f32_f16 v75, v81, v13, v75
	;;#ASMEND
	s_nop 0
	;;#ASMSTART
	v_dot2_f32_f16 v75, v82, v14, v75
	;;#ASMEND
                                        ; implicit-def: $vgpr14
	s_nop 0
	;;#ASMSTART
	v_dot2_f32_f16 v75, v83, v15, v75
	;;#ASMEND
	;;#ASMSTART
	v_dot2_f32_f16 v73, v80, v84, v73
	;;#ASMEND
	s_nop 0
	;;#ASMSTART
	v_dot2_f32_f16 v73, v81, v85, v73
	;;#ASMEND
	s_nop 0
	;;#ASMSTART
	v_dot2_f32_f16 v73, v82, v86, v73
	;;#ASMEND
	s_nop 0
	;;#ASMSTART
	v_dot2_f32_f16 v73, v83, v87, v73
	;;#ASMEND
	;;#ASMSTART
	v_dot2_f32_f16 v71, v80, v88, v71
	;;#ASMEND
	s_nop 0
	;;#ASMSTART
	v_dot2_f32_f16 v71, v81, v89, v71
	;;#ASMEND
	s_nop 0
	;;#ASMSTART
	v_dot2_f32_f16 v71, v82, v90, v71
	;;#ASMEND
	;; [unrolled: 15-line block ×3, first 2 shown]
	s_nop 0
	;;#ASMSTART
	v_dot2_f32_f16 v29, v83, v95, v29
	;;#ASMEND
	s_and_saveexec_b64 s[10:11], s[4:5]
	s_xor_b64 s[4:5], exec, s[10:11]
	s_cbranch_execz .LBB87_10
; %bb.9:                                ;   in Loop: Header=BB87_8 Depth=1
	v_add_f32_e64 v12, |v74|, |v74|
	v_mul_f32_e32 v13, 0x3fb8aa3b, v12
	v_rndne_f32_e32 v14, v13
	v_sub_f32_e32 v15, v13, v14
	v_fma_f32 v13, v12, s40, -v13
	v_fmac_f32_e32 v13, 0x32a5705f, v12
	v_add_f32_e32 v13, v15, v13
	v_cvt_i32_f32_e32 v14, v14
	v_exp_f32_e32 v13, v13
	v_cmp_ngt_f32_e32 vcc, s41, v12
	v_ldexp_f32 v13, v13, v14
	s_nop 0
	v_cndmask_b32_e32 v13, 0, v13, vcc
	v_cmp_nlt_f32_e32 vcc, s42, v12
	s_nop 1
	v_cndmask_b32_e32 v12, v67, v13, vcc
	v_add_f32_e32 v12, 1.0, v12
	v_rcp_f32_e32 v12, v12
	s_nop 0
	v_fma_f32 v14, v12, -2.0, 1.0
.LBB87_10:                              ;   in Loop: Header=BB87_8 Depth=1
	s_andn2_saveexec_b64 s[4:5], s[4:5]
; %bb.11:                               ;   in Loop: Header=BB87_8 Depth=1
	v_mul_f32_e32 v12, v74, v74
	v_fmamk_f32 v13, v12, 0xbbbac73d, v66
	v_fmaak_f32 v13, v12, v13, 0xbd5c1c4e
	v_fmaak_f32 v13, v12, v13, 0x3e088382
	;; [unrolled: 1-line block ×3, first 2 shown]
	v_mul_f32_e64 v13, |v74|, v13
	v_fma_f32 v14, v12, v13, |v74|
; %bb.12:                               ;   in Loop: Header=BB87_8 Depth=1
	s_or_b64 exec, exec, s[4:5]
	v_add_u32_e32 v77, s18, v20
	v_add_u32_e32 v12, v77, v55
	v_cndmask_b32_e64 v13, 0, 1, s[6:7]
	v_cmp_ne_u32_e64 s[4:5], 1, v13
	s_andn2_b64 vcc, exec, s[6:7]
	v_ashrrev_i32_e32 v13, 31, v12
	s_cbranch_vccnz .LBB87_58
; %bb.13:                               ;   in Loop: Header=BB87_8 Depth=1
	v_lshl_add_u64 v[78:79], v[12:13], 1, s[36:37]
	global_load_ushort v15, v[78:79], off
	s_waitcnt vmcnt(0)
	v_cvt_f32_f16_e32 v15, v15
	v_mul_f32_e32 v15, v43, v15
	v_cmp_nlt_f32_e64 s[10:11], |v75|, s39
                                        ; implicit-def: $vgpr78
	s_and_saveexec_b64 s[46:47], s[10:11]
	s_xor_b64 s[10:11], exec, s[46:47]
	s_cbranch_execz .LBB87_15
.LBB87_14:                              ;   in Loop: Header=BB87_8 Depth=1
	v_add_f32_e64 v76, |v75|, |v75|
	v_mul_f32_e32 v78, 0x3fb8aa3b, v76
	v_rndne_f32_e32 v79, v78
	v_sub_f32_e32 v80, v78, v79
	v_fma_f32 v78, v76, s40, -v78
	v_fmac_f32_e32 v78, 0x32a5705f, v76
	v_add_f32_e32 v78, v80, v78
	v_cvt_i32_f32_e32 v79, v79
	v_exp_f32_e32 v78, v78
	v_cmp_ngt_f32_e32 vcc, s41, v76
	v_ldexp_f32 v78, v78, v79
	s_nop 0
	v_cndmask_b32_e32 v78, 0, v78, vcc
	v_cmp_nlt_f32_e32 vcc, s42, v76
	s_nop 1
	v_cndmask_b32_e32 v76, v67, v78, vcc
	v_add_f32_e32 v76, 1.0, v76
	v_rcp_f32_e32 v76, v76
	s_nop 0
	v_fma_f32 v78, v76, -2.0, 1.0
.LBB87_15:                              ;   in Loop: Header=BB87_8 Depth=1
	s_andn2_saveexec_b64 s[10:11], s[10:11]
	s_cbranch_execz .LBB87_18
; %bb.16:                               ;   in Loop: Header=BB87_8 Depth=1
	v_mul_f32_e32 v76, v75, v75
	v_fmamk_f32 v78, v76, 0xbbbac73d, v66
	v_fmaak_f32 v78, v76, v78, 0xbd5c1c4e
	v_fmaak_f32 v78, v76, v78, 0x3e088382
	;; [unrolled: 1-line block ×3, first 2 shown]
	v_mul_f32_e64 v78, |v75|, v78
	v_fma_f32 v78, v76, v78, |v75|
	s_or_b64 exec, exec, s[10:11]
	s_and_b64 vcc, exec, s[4:5]
	s_cbranch_vccz .LBB87_19
.LBB87_17:                              ;   in Loop: Header=BB87_8 Depth=1
	v_mov_b32_e32 v76, 0
	s_branch .LBB87_20
.LBB87_18:                              ;   in Loop: Header=BB87_8 Depth=1
	s_or_b64 exec, exec, s[10:11]
	s_and_b64 vcc, exec, s[4:5]
	s_cbranch_vccnz .LBB87_17
.LBB87_19:                              ;   in Loop: Header=BB87_8 Depth=1
	v_lshl_add_u64 v[12:13], v[12:13], 1, s[36:37]
	global_load_ushort v12, v[12:13], off offset:64
	s_waitcnt vmcnt(0)
	v_cvt_f32_f16_e32 v12, v12
	v_mul_f32_e32 v76, v43, v12
.LBB87_20:                              ;   in Loop: Header=BB87_8 Depth=1
	v_bfi_b32 v13, s43, v14, v74
	v_and_b32_e32 v14, 0x60, v68
	v_bfi_b32 v12, s43, v78, v75
	v_add_u32_e32 v74, 32, v14
	v_xor_b32_e32 v14, 16, v68
	v_fmac_f32_e32 v15, s15, v13
	v_cmp_lt_i32_e32 vcc, v14, v74
	v_fmac_f32_e32 v76, s15, v12
	v_add_f32_e32 v13, 0x40051340, v15
	v_cndmask_b32_e32 v14, v68, v14, vcc
	v_add_f32_e32 v12, 0x40051340, v76
	v_lshlrev_b32_e32 v14, 2, v14
	v_max3_f32 v12, v26, v13, v12
	ds_bpermute_b32 v13, v14, v12
	v_xor_b32_e32 v75, 8, v68
	v_cmp_lt_i32_e32 vcc, v75, v74
	v_xor_b32_e32 v78, 1, v68
	v_cmp_nlt_f32_e64 s[10:11], |v72|, s39
	v_cndmask_b32_e32 v75, v68, v75, vcc
	s_waitcnt lgkmcnt(0)
	v_max_f32_e32 v13, v13, v13
	v_lshlrev_b32_e32 v79, 2, v75
	v_max_f32_e32 v12, v12, v13
	ds_bpermute_b32 v13, v79, v12
	v_xor_b32_e32 v75, 4, v68
	v_cmp_lt_i32_e32 vcc, v75, v74
                                        ; implicit-def: $vgpr84
	s_waitcnt lgkmcnt(0)
	v_max_f32_e32 v13, v13, v13
	v_cndmask_b32_e32 v75, v68, v75, vcc
	v_lshlrev_b32_e32 v80, 2, v75
	v_max_f32_e32 v12, v12, v13
	ds_bpermute_b32 v13, v80, v12
	v_xor_b32_e32 v75, 2, v68
	v_cmp_lt_i32_e32 vcc, v75, v74
	s_waitcnt lgkmcnt(0)
	v_max_f32_e32 v13, v13, v13
	v_cndmask_b32_e32 v75, v68, v75, vcc
	v_lshlrev_b32_e32 v75, 2, v75
	v_max_f32_e32 v12, v12, v13
	ds_bpermute_b32 v13, v75, v12
	v_cmp_lt_i32_e32 vcc, v78, v74
	s_waitcnt lgkmcnt(0)
	v_max_f32_e32 v13, v13, v13
	v_cndmask_b32_e32 v74, v68, v78, vcc
	v_lshlrev_b32_e32 v74, 2, v74
	v_max_f32_e32 v81, v12, v13
	ds_bpermute_b32 v82, v74, v81
	s_and_saveexec_b64 s[46:47], s[10:11]
	s_xor_b64 s[10:11], exec, s[46:47]
	s_cbranch_execz .LBB87_22
; %bb.21:                               ;   in Loop: Header=BB87_8 Depth=1
	v_add_f32_e64 v12, |v72|, |v72|
	v_mul_f32_e32 v13, 0x3fb8aa3b, v12
	v_rndne_f32_e32 v78, v13
	v_sub_f32_e32 v83, v13, v78
	v_fma_f32 v13, v12, s40, -v13
	v_fmac_f32_e32 v13, 0x32a5705f, v12
	v_add_f32_e32 v13, v83, v13
	v_cvt_i32_f32_e32 v78, v78
	v_exp_f32_e32 v13, v13
	v_cmp_ngt_f32_e32 vcc, s41, v12
	v_ldexp_f32 v13, v13, v78
	s_nop 0
	v_cndmask_b32_e32 v13, 0, v13, vcc
	v_cmp_nlt_f32_e32 vcc, s42, v12
	s_nop 1
	v_cndmask_b32_e32 v12, v67, v13, vcc
	v_add_f32_e32 v12, 1.0, v12
	v_rcp_f32_e32 v12, v12
	s_nop 0
	v_fma_f32 v84, v12, -2.0, 1.0
.LBB87_22:                              ;   in Loop: Header=BB87_8 Depth=1
	s_andn2_saveexec_b64 s[10:11], s[10:11]
; %bb.23:                               ;   in Loop: Header=BB87_8 Depth=1
	v_mul_f32_e32 v12, v72, v72
	v_fmamk_f32 v13, v12, 0xbbbac73d, v66
	v_fmaak_f32 v13, v12, v13, 0xbd5c1c4e
	v_fmaak_f32 v13, v12, v13, 0x3e088382
	;; [unrolled: 1-line block ×3, first 2 shown]
	v_mul_f32_e64 v13, |v72|, v13
	v_fma_f32 v84, v12, v13, |v72|
; %bb.24:                               ;   in Loop: Header=BB87_8 Depth=1
	s_or_b64 exec, exec, s[10:11]
	v_add_u32_e32 v12, v77, v60
	s_and_b64 vcc, exec, s[4:5]
	v_ashrrev_i32_e32 v13, 31, v12
	s_cbranch_vccnz .LBB87_59
; %bb.25:                               ;   in Loop: Header=BB87_8 Depth=1
	v_lshl_add_u64 v[86:87], v[12:13], 1, s[36:37]
	global_load_ushort v78, v[86:87], off
	s_waitcnt vmcnt(0)
	v_cvt_f32_f16_e32 v78, v78
	v_mul_f32_e32 v78, v43, v78
	v_cmp_nlt_f32_e64 s[10:11], |v73|, s39
                                        ; implicit-def: $vgpr85
	s_and_saveexec_b64 s[46:47], s[10:11]
	s_xor_b64 s[10:11], exec, s[46:47]
	s_cbranch_execz .LBB87_27
.LBB87_26:                              ;   in Loop: Header=BB87_8 Depth=1
	v_add_f32_e64 v83, |v73|, |v73|
	v_mul_f32_e32 v85, 0x3fb8aa3b, v83
	v_rndne_f32_e32 v86, v85
	v_sub_f32_e32 v87, v85, v86
	v_fma_f32 v85, v83, s40, -v85
	v_fmac_f32_e32 v85, 0x32a5705f, v83
	v_add_f32_e32 v85, v87, v85
	v_cvt_i32_f32_e32 v86, v86
	v_exp_f32_e32 v85, v85
	v_cmp_ngt_f32_e32 vcc, s41, v83
	v_ldexp_f32 v85, v85, v86
	s_nop 0
	v_cndmask_b32_e32 v85, 0, v85, vcc
	v_cmp_nlt_f32_e32 vcc, s42, v83
	s_nop 1
	v_cndmask_b32_e32 v83, v67, v85, vcc
	v_add_f32_e32 v83, 1.0, v83
	v_rcp_f32_e32 v83, v83
	s_nop 0
	v_fma_f32 v85, v83, -2.0, 1.0
.LBB87_27:                              ;   in Loop: Header=BB87_8 Depth=1
	s_andn2_saveexec_b64 s[10:11], s[10:11]
	s_cbranch_execz .LBB87_30
; %bb.28:                               ;   in Loop: Header=BB87_8 Depth=1
	v_mul_f32_e32 v83, v73, v73
	v_fmamk_f32 v85, v83, 0xbbbac73d, v66
	v_fmaak_f32 v85, v83, v85, 0xbd5c1c4e
	v_fmaak_f32 v85, v83, v85, 0x3e088382
	;; [unrolled: 1-line block ×3, first 2 shown]
	v_mul_f32_e64 v85, |v73|, v85
	v_fma_f32 v85, v83, v85, |v73|
	s_or_b64 exec, exec, s[10:11]
	s_and_b64 vcc, exec, s[4:5]
	s_cbranch_vccz .LBB87_31
.LBB87_29:                              ;   in Loop: Header=BB87_8 Depth=1
	v_mov_b32_e32 v83, 0
	s_branch .LBB87_32
.LBB87_30:                              ;   in Loop: Header=BB87_8 Depth=1
	s_or_b64 exec, exec, s[10:11]
	s_and_b64 vcc, exec, s[4:5]
	s_cbranch_vccnz .LBB87_29
.LBB87_31:                              ;   in Loop: Header=BB87_8 Depth=1
	v_lshl_add_u64 v[12:13], v[12:13], 1, s[36:37]
	global_load_ushort v12, v[12:13], off offset:64
	s_waitcnt vmcnt(0)
	v_cvt_f32_f16_e32 v12, v12
	v_mul_f32_e32 v83, v43, v12
.LBB87_32:                              ;   in Loop: Header=BB87_8 Depth=1
	v_bfi_b32 v12, s43, v85, v73
	v_bfi_b32 v13, s43, v84, v72
	v_fmac_f32_e32 v78, s15, v13
	v_fmac_f32_e32 v83, s15, v12
	v_add_f32_e32 v13, 0x40051340, v78
	v_add_f32_e32 v12, 0x40051340, v83
	v_max3_f32 v12, v27, v13, v12
	ds_bpermute_b32 v13, v14, v12
	v_cmp_nlt_f32_e64 s[10:11], |v30|, s39
                                        ; implicit-def: $vgpr73
	s_waitcnt lgkmcnt(0)
	v_max_f32_e32 v13, v13, v13
	v_max_f32_e32 v12, v12, v13
	ds_bpermute_b32 v13, v79, v12
	s_waitcnt lgkmcnt(0)
	v_max_f32_e32 v13, v13, v13
	v_max_f32_e32 v12, v12, v13
	ds_bpermute_b32 v13, v80, v12
	;; [unrolled: 4-line block ×4, first 2 shown]
	s_and_saveexec_b64 s[46:47], s[10:11]
	s_xor_b64 s[10:11], exec, s[46:47]
	s_cbranch_execz .LBB87_34
; %bb.33:                               ;   in Loop: Header=BB87_8 Depth=1
	v_add_f32_e64 v12, |v30|, |v30|
	v_mul_f32_e32 v13, 0x3fb8aa3b, v12
	v_rndne_f32_e32 v72, v13
	v_sub_f32_e32 v73, v13, v72
	v_fma_f32 v13, v12, s40, -v13
	v_fmac_f32_e32 v13, 0x32a5705f, v12
	v_add_f32_e32 v13, v73, v13
	v_cvt_i32_f32_e32 v72, v72
	v_exp_f32_e32 v13, v13
	v_cmp_ngt_f32_e32 vcc, s41, v12
	v_ldexp_f32 v13, v13, v72
	s_nop 0
	v_cndmask_b32_e32 v13, 0, v13, vcc
	v_cmp_nlt_f32_e32 vcc, s42, v12
	s_nop 1
	v_cndmask_b32_e32 v12, v67, v13, vcc
	v_add_f32_e32 v12, 1.0, v12
	v_rcp_f32_e32 v12, v12
	s_nop 0
	v_fma_f32 v73, v12, -2.0, 1.0
.LBB87_34:                              ;   in Loop: Header=BB87_8 Depth=1
	s_andn2_saveexec_b64 s[10:11], s[10:11]
; %bb.35:                               ;   in Loop: Header=BB87_8 Depth=1
	v_mul_f32_e32 v12, v30, v30
	v_fmamk_f32 v13, v12, 0xbbbac73d, v66
	v_fmaak_f32 v13, v12, v13, 0xbd5c1c4e
	v_fmaak_f32 v13, v12, v13, 0x3e088382
	;; [unrolled: 1-line block ×3, first 2 shown]
	v_mul_f32_e64 v13, |v30|, v13
	v_fma_f32 v73, v12, v13, |v30|
; %bb.36:                               ;   in Loop: Header=BB87_8 Depth=1
	s_or_b64 exec, exec, s[10:11]
	v_add_u32_e32 v12, v77, v61
	s_and_b64 vcc, exec, s[4:5]
	v_ashrrev_i32_e32 v13, 31, v12
	s_cbranch_vccnz .LBB87_60
; %bb.37:                               ;   in Loop: Header=BB87_8 Depth=1
	v_lshl_add_u64 v[88:89], v[12:13], 1, s[36:37]
	global_load_ushort v72, v[88:89], off
	s_waitcnt vmcnt(0)
	v_cvt_f32_f16_e32 v72, v72
	v_mul_f32_e32 v72, v43, v72
	v_cmp_nlt_f32_e64 s[10:11], |v71|, s39
                                        ; implicit-def: $vgpr87
	s_and_saveexec_b64 s[46:47], s[10:11]
	s_xor_b64 s[10:11], exec, s[46:47]
	s_cbranch_execz .LBB87_39
.LBB87_38:                              ;   in Loop: Header=BB87_8 Depth=1
	v_add_f32_e64 v84, |v71|, |v71|
	v_mul_f32_e32 v87, 0x3fb8aa3b, v84
	v_rndne_f32_e32 v88, v87
	v_sub_f32_e32 v89, v87, v88
	v_fma_f32 v87, v84, s40, -v87
	v_fmac_f32_e32 v87, 0x32a5705f, v84
	v_add_f32_e32 v87, v89, v87
	v_cvt_i32_f32_e32 v88, v88
	v_exp_f32_e32 v87, v87
	v_cmp_ngt_f32_e32 vcc, s41, v84
	v_ldexp_f32 v87, v87, v88
	s_nop 0
	v_cndmask_b32_e32 v87, 0, v87, vcc
	v_cmp_nlt_f32_e32 vcc, s42, v84
	s_nop 1
	v_cndmask_b32_e32 v84, v67, v87, vcc
	v_add_f32_e32 v84, 1.0, v84
	v_rcp_f32_e32 v84, v84
	s_nop 0
	v_fma_f32 v87, v84, -2.0, 1.0
.LBB87_39:                              ;   in Loop: Header=BB87_8 Depth=1
	s_andn2_saveexec_b64 s[10:11], s[10:11]
	s_cbranch_execz .LBB87_42
; %bb.40:                               ;   in Loop: Header=BB87_8 Depth=1
	v_mul_f32_e32 v84, v71, v71
	v_fmamk_f32 v87, v84, 0xbbbac73d, v66
	v_fmaak_f32 v87, v84, v87, 0xbd5c1c4e
	v_fmaak_f32 v87, v84, v87, 0x3e088382
	;; [unrolled: 1-line block ×3, first 2 shown]
	v_mul_f32_e64 v87, |v71|, v87
	v_fma_f32 v87, v84, v87, |v71|
	s_or_b64 exec, exec, s[10:11]
	s_and_b64 vcc, exec, s[4:5]
	s_cbranch_vccz .LBB87_43
.LBB87_41:                              ;   in Loop: Header=BB87_8 Depth=1
	v_mov_b32_e32 v84, 0
	s_branch .LBB87_44
.LBB87_42:                              ;   in Loop: Header=BB87_8 Depth=1
	s_or_b64 exec, exec, s[10:11]
	s_and_b64 vcc, exec, s[4:5]
	s_cbranch_vccnz .LBB87_41
.LBB87_43:                              ;   in Loop: Header=BB87_8 Depth=1
	v_lshl_add_u64 v[12:13], v[12:13], 1, s[36:37]
	global_load_ushort v12, v[12:13], off offset:64
	s_waitcnt vmcnt(0)
	v_cvt_f32_f16_e32 v12, v12
	v_mul_f32_e32 v84, v43, v12
.LBB87_44:                              ;   in Loop: Header=BB87_8 Depth=1
	v_bfi_b32 v12, s43, v87, v71
	v_bfi_b32 v13, s43, v73, v30
	v_fmac_f32_e32 v72, s15, v13
	v_fmac_f32_e32 v84, s15, v12
	v_add_f32_e32 v13, 0x40051340, v72
	v_add_f32_e32 v12, 0x40051340, v84
	v_max3_f32 v12, v70, v13, v12
	ds_bpermute_b32 v13, v14, v12
	v_cmp_nlt_f32_e64 s[10:11], |v28|, s39
                                        ; implicit-def: $vgpr88
	s_waitcnt lgkmcnt(0)
	v_max_f32_e32 v13, v13, v13
	v_max_f32_e32 v12, v12, v13
	ds_bpermute_b32 v13, v79, v12
	s_waitcnt lgkmcnt(0)
	v_max_f32_e32 v13, v13, v13
	v_max_f32_e32 v12, v12, v13
	ds_bpermute_b32 v13, v80, v12
	;; [unrolled: 4-line block ×4, first 2 shown]
	s_and_saveexec_b64 s[46:47], s[10:11]
	s_xor_b64 s[10:11], exec, s[46:47]
	s_cbranch_execz .LBB87_46
; %bb.45:                               ;   in Loop: Header=BB87_8 Depth=1
	v_add_f32_e64 v12, |v28|, |v28|
	v_mul_f32_e32 v13, 0x3fb8aa3b, v12
	v_rndne_f32_e32 v71, v13
	v_sub_f32_e32 v73, v13, v71
	v_fma_f32 v13, v12, s40, -v13
	v_fmac_f32_e32 v13, 0x32a5705f, v12
	v_add_f32_e32 v13, v73, v13
	v_cvt_i32_f32_e32 v71, v71
	v_exp_f32_e32 v13, v13
	v_cmp_ngt_f32_e32 vcc, s41, v12
	v_ldexp_f32 v13, v13, v71
	s_nop 0
	v_cndmask_b32_e32 v13, 0, v13, vcc
	v_cmp_nlt_f32_e32 vcc, s42, v12
	s_nop 1
	v_cndmask_b32_e32 v12, v67, v13, vcc
	v_add_f32_e32 v12, 1.0, v12
	v_rcp_f32_e32 v12, v12
	s_nop 0
	v_fma_f32 v88, v12, -2.0, 1.0
.LBB87_46:                              ;   in Loop: Header=BB87_8 Depth=1
	s_andn2_saveexec_b64 s[10:11], s[10:11]
; %bb.47:                               ;   in Loop: Header=BB87_8 Depth=1
	v_mul_f32_e32 v12, v28, v28
	v_fmamk_f32 v13, v12, 0xbbbac73d, v66
	v_fmaak_f32 v13, v12, v13, 0xbd5c1c4e
	v_fmaak_f32 v13, v12, v13, 0x3e088382
	;; [unrolled: 1-line block ×3, first 2 shown]
	v_mul_f32_e64 v13, |v28|, v13
	v_fma_f32 v88, v12, v13, |v28|
; %bb.48:                               ;   in Loop: Header=BB87_8 Depth=1
	s_or_b64 exec, exec, s[10:11]
	v_add_u32_e32 v12, v77, v62
	s_and_b64 vcc, exec, s[4:5]
	v_ashrrev_i32_e32 v13, 31, v12
	s_cbranch_vccnz .LBB87_61
; %bb.49:                               ;   in Loop: Header=BB87_8 Depth=1
	v_lshl_add_u64 v[90:91], v[12:13], 1, s[36:37]
	global_load_ushort v71, v[90:91], off
	s_waitcnt vmcnt(0)
	v_cvt_f32_f16_e32 v71, v71
	v_mul_f32_e32 v71, v43, v71
	v_cmp_nlt_f32_e64 s[10:11], |v29|, s39
                                        ; implicit-def: $vgpr77
	s_and_saveexec_b64 s[46:47], s[10:11]
	s_xor_b64 s[10:11], exec, s[46:47]
	s_cbranch_execz .LBB87_51
.LBB87_50:                              ;   in Loop: Header=BB87_8 Depth=1
	v_add_f32_e64 v73, |v29|, |v29|
	v_mul_f32_e32 v77, 0x3fb8aa3b, v73
	v_rndne_f32_e32 v89, v77
	v_sub_f32_e32 v90, v77, v89
	v_fma_f32 v77, v73, s40, -v77
	v_fmac_f32_e32 v77, 0x32a5705f, v73
	v_add_f32_e32 v77, v90, v77
	v_cvt_i32_f32_e32 v89, v89
	v_exp_f32_e32 v77, v77
	v_cmp_ngt_f32_e32 vcc, s41, v73
	v_ldexp_f32 v77, v77, v89
	s_nop 0
	v_cndmask_b32_e32 v77, 0, v77, vcc
	v_cmp_nlt_f32_e32 vcc, s42, v73
	s_nop 1
	v_cndmask_b32_e32 v73, v67, v77, vcc
	v_add_f32_e32 v73, 1.0, v73
	v_rcp_f32_e32 v73, v73
	s_nop 0
	v_fma_f32 v77, v73, -2.0, 1.0
.LBB87_51:                              ;   in Loop: Header=BB87_8 Depth=1
	s_andn2_saveexec_b64 s[10:11], s[10:11]
	s_cbranch_execz .LBB87_54
; %bb.52:                               ;   in Loop: Header=BB87_8 Depth=1
	v_mul_f32_e32 v73, v29, v29
	v_fmamk_f32 v77, v73, 0xbbbac73d, v66
	v_fmaak_f32 v77, v73, v77, 0xbd5c1c4e
	v_fmaak_f32 v77, v73, v77, 0x3e088382
	;; [unrolled: 1-line block ×3, first 2 shown]
	v_mul_f32_e64 v77, |v29|, v77
	v_fma_f32 v77, v73, v77, |v29|
	s_or_b64 exec, exec, s[10:11]
	s_and_b64 vcc, exec, s[4:5]
	s_cbranch_vccz .LBB87_55
.LBB87_53:                              ;   in Loop: Header=BB87_8 Depth=1
	v_mov_b32_e32 v73, 0
	s_branch .LBB87_56
.LBB87_54:                              ;   in Loop: Header=BB87_8 Depth=1
	s_or_b64 exec, exec, s[10:11]
	s_and_b64 vcc, exec, s[4:5]
	s_cbranch_vccnz .LBB87_53
.LBB87_55:                              ;   in Loop: Header=BB87_8 Depth=1
	v_lshl_add_u64 v[12:13], v[12:13], 1, s[36:37]
	global_load_ushort v12, v[12:13], off offset:64
	s_waitcnt vmcnt(0)
	v_cvt_f32_f16_e32 v12, v12
	v_mul_f32_e32 v73, v43, v12
.LBB87_56:                              ;   in Loop: Header=BB87_8 Depth=1
	v_bfi_b32 v12, s43, v77, v29
	v_bfi_b32 v13, s43, v88, v28
	v_fmac_f32_e32 v71, s15, v13
	v_fmac_f32_e32 v73, s15, v12
	v_add_f32_e32 v13, 0x40051340, v71
	v_add_f32_e32 v12, 0x40051340, v73
	v_max3_f32 v12, v69, v13, v12
	ds_bpermute_b32 v13, v14, v12
	s_waitcnt lgkmcnt(1)
	v_max_f32_e32 v14, v87, v87
	v_max_f32_e32 v28, v30, v30
	;; [unrolled: 1-line block ×4, first 2 shown]
	s_waitcnt lgkmcnt(0)
	v_max_f32_e32 v13, v13, v13
	v_max_f32_e32 v12, v12, v13
	ds_bpermute_b32 v13, v79, v12
	v_max_f32_e32 v30, v85, v85
	v_max_f32_e32 v77, v82, v82
	v_sub_f32_e32 v72, v72, v14
	v_sub_f32_e32 v87, v84, v14
	s_waitcnt lgkmcnt(0)
	v_max_f32_e32 v13, v13, v13
	v_max_f32_e32 v12, v12, v13
	ds_bpermute_b32 v79, v80, v12
	v_max_f32_e32 v13, v30, v29
	v_max_f32_e32 v80, v81, v81
	s_mul_hi_i32 s5, s18, s2
	s_mul_i32 s4, s18, s2
	s_waitcnt lgkmcnt(0)
	v_max_f32_e32 v28, v79, v79
	v_max_f32_e32 v28, v12, v28
	ds_bpermute_b32 v29, v75, v28
	v_max_f32_e32 v12, v80, v77
	v_sub_f32_e32 v30, v15, v12
	v_mul_f32_e32 v15, 0x3fb8aa3b, v30
	v_fma_f32 v75, v30, s40, -v15
	s_waitcnt lgkmcnt(0)
	v_max_f32_e32 v29, v29, v29
	v_max_f32_e32 v28, v28, v29
	ds_bpermute_b32 v29, v74, v28
	v_rndne_f32_e32 v74, v15
	v_fmac_f32_e32 v75, 0x32a5705f, v30
	v_sub_f32_e32 v15, v15, v74
	v_add_f32_e32 v75, v15, v75
	s_waitcnt lgkmcnt(0)
	v_max_f32_e32 v15, v29, v29
	v_max_f32_e32 v15, v28, v15
	v_exp_f32_e32 v28, v75
	v_cvt_i32_f32_e32 v29, v74
	v_sub_f32_e32 v74, v26, v12
	v_cmp_ngt_f32_e32 vcc, s41, v30
	v_sub_f32_e32 v86, v70, v14
	v_ldexp_f32 v26, v28, v29
	v_sub_f32_e32 v28, v76, v12
	v_mul_f32_e32 v29, 0x3fb8aa3b, v28
	v_fma_f32 v75, v28, s40, -v29
	v_rndne_f32_e32 v76, v29
	v_fmac_f32_e32 v75, 0x32a5705f, v28
	v_sub_f32_e32 v29, v29, v76
	v_add_f32_e32 v29, v29, v75
	v_exp_f32_e32 v29, v29
	v_cvt_i32_f32_e32 v75, v76
	v_cndmask_b32_e32 v26, 0, v26, vcc
	v_cmp_nlt_f32_e32 vcc, s42, v30
	v_mul_f32_e32 v30, 0x3fb8aa3b, v74
	v_ldexp_f32 v29, v29, v75
	v_fma_f32 v75, v74, s40, -v30
	v_rndne_f32_e32 v76, v30
	v_fmac_f32_e32 v75, 0x32a5705f, v74
	v_sub_f32_e32 v30, v30, v76
	v_add_f32_e32 v30, v30, v75
	v_exp_f32_e32 v30, v30
	v_cvt_i32_f32_e32 v75, v76
	v_cndmask_b32_e32 v26, v67, v26, vcc
	v_cmp_ngt_f32_e32 vcc, s41, v28
	s_lshl_b64 s[4:5], s[4:5], 2
	s_add_u32 s4, s12, s4
	v_cndmask_b32_e32 v29, 0, v29, vcc
	v_cmp_nlt_f32_e32 vcc, s42, v28
	s_addc_u32 s5, s13, s5
	s_nop 0
	v_cndmask_b32_e32 v28, v67, v29, vcc
	v_ldexp_f32 v29, v30, v75
	v_cmp_ngt_f32_e32 vcc, s41, v74
	s_barrier
	s_nop 0
	v_cndmask_b32_e32 v29, 0, v29, vcc
	v_cmp_nlt_f32_e32 vcc, s42, v74
	v_sub_f32_e32 v74, v78, v13
	v_mul_f32_e32 v75, 0x3fb8aa3b, v74
	v_fma_f32 v76, v74, s40, -v75
	v_rndne_f32_e32 v77, v75
	v_cndmask_b32_e32 v30, v67, v29, vcc
	v_fmac_f32_e32 v76, 0x32a5705f, v74
	v_sub_f32_e32 v75, v75, v77
	v_cvt_f16_f32_e32 v29, v30
	v_add_f32_e32 v75, v75, v76
	v_exp_f32_e32 v75, v75
	v_cvt_i32_f32_e32 v76, v77
	v_mul_u32_u24_e32 v88, 0x10001, v29
	v_sub_f32_e32 v29, v83, v13
	v_pk_mul_f16 v89, v31, v88
	v_sub_f32_e32 v31, v27, v13
	v_ldexp_f32 v27, v75, v76
	v_mul_f32_e32 v75, 0x3fb8aa3b, v29
	v_fma_f32 v76, v29, s40, -v75
	v_rndne_f32_e32 v77, v75
	v_fmac_f32_e32 v76, 0x32a5705f, v29
	v_sub_f32_e32 v75, v75, v77
	v_add_f32_e32 v75, v75, v76
	v_exp_f32_e32 v75, v75
	v_cvt_i32_f32_e32 v76, v77
	v_cmp_ngt_f32_e32 vcc, s41, v74
	v_sub_f32_e32 v71, v71, v15
	v_sub_f32_e32 v73, v73, v15
	v_cndmask_b32_e32 v27, 0, v27, vcc
	v_cmp_nlt_f32_e32 vcc, s42, v74
	v_ldexp_f32 v74, v75, v76
	v_mul_f32_e32 v75, 0x3fb8aa3b, v31
	v_fma_f32 v76, v31, s40, -v75
	v_rndne_f32_e32 v77, v75
	v_fmac_f32_e32 v76, 0x32a5705f, v31
	v_sub_f32_e32 v75, v75, v77
	v_add_f32_e32 v75, v75, v76
	v_exp_f32_e32 v75, v75
	v_cvt_i32_f32_e32 v76, v77
	v_cndmask_b32_e32 v27, v67, v27, vcc
	v_cmp_ngt_f32_e32 vcc, s41, v29
	v_sub_f32_e32 v69, v69, v15
	s_nop 0
	v_cndmask_b32_e32 v74, 0, v74, vcc
	v_cmp_nlt_f32_e32 vcc, s42, v29
	s_nop 1
	v_cndmask_b32_e32 v29, v67, v74, vcc
	v_ldexp_f32 v74, v75, v76
	v_cmp_ngt_f32_e32 vcc, s41, v31
	v_mul_f32_e32 v75, 0x3fb8aa3b, v72
	v_fma_f32 v76, v72, s40, -v75
	v_cndmask_b32_e32 v74, 0, v74, vcc
	v_cmp_nlt_f32_e32 vcc, s42, v31
	v_rndne_f32_e32 v77, v75
	v_fmac_f32_e32 v76, 0x32a5705f, v72
	v_cndmask_b32_e32 v31, v67, v74, vcc
	v_sub_f32_e32 v75, v75, v77
	v_cvt_f16_f32_e32 v74, v31
	v_add_f32_e32 v75, v75, v76
	v_exp_f32_e32 v75, v75
	v_cvt_i32_f32_e32 v76, v77
	v_mul_u32_u24_e32 v90, 0x10001, v74
	v_mul_f32_e32 v74, 0x3fb8aa3b, v87
	v_cmp_ngt_f32_e32 vcc, s41, v72
	v_ldexp_f32 v70, v75, v76
	v_fma_f32 v75, v87, s40, -v74
	v_rndne_f32_e32 v76, v74
	v_fmac_f32_e32 v75, 0x32a5705f, v87
	v_sub_f32_e32 v74, v74, v76
	v_add_f32_e32 v74, v74, v75
	v_exp_f32_e32 v91, v74
	v_lshl_add_u64 v[74:75], s[4:5], 0, v[18:19]
	v_lshl_add_u64 v[82:83], v[74:75], 0, v[2:3]
	;; [unrolled: 1-line block ×3, first 2 shown]
	v_cvt_i32_f32_e32 v92, v76
	v_lshl_add_u64 v[84:85], v[74:75], 0, v[2:3]
	global_load_dwordx4 v[74:77], v[82:83], off
	global_load_dwordx4 v[78:81], v[84:85], off
	v_mul_f32_e32 v82, 0x3fb8aa3b, v86
	v_fma_f32 v83, v86, s40, -v82
	v_rndne_f32_e32 v84, v82
	v_fmac_f32_e32 v83, 0x32a5705f, v86
	v_sub_f32_e32 v82, v82, v84
	v_add_f32_e32 v82, v82, v83
	v_exp_f32_e32 v82, v82
	v_cvt_i32_f32_e32 v83, v84
	v_cndmask_b32_e32 v70, 0, v70, vcc
	v_cmp_nlt_f32_e32 vcc, s42, v72
	v_ldexp_f32 v72, v91, v92
	v_ldexp_f32 v82, v82, v83
	v_cndmask_b32_e32 v70, v67, v70, vcc
	v_cmp_ngt_f32_e32 vcc, s41, v87
	v_mul_f32_e32 v84, 0x3fb8aa3b, v71
	v_fma_f32 v85, v71, s40, -v84
	v_cndmask_b32_e32 v72, 0, v72, vcc
	v_cmp_nlt_f32_e32 vcc, s42, v87
	v_fmac_f32_e32 v85, 0x32a5705f, v71
	v_pk_mul_f16 v52, v52, v90
	v_cndmask_b32_e32 v72, v67, v72, vcc
	v_cmp_ngt_f32_e32 vcc, s41, v86
	s_or_b32 s4, s18, 32
	s_mul_hi_i32 s5, s4, s2
	v_cndmask_b32_e32 v82, 0, v82, vcc
	v_cmp_nlt_f32_e32 vcc, s42, v86
	v_rndne_f32_e32 v86, v84
	v_sub_f32_e32 v84, v84, v86
	v_cndmask_b32_e32 v82, v67, v82, vcc
	v_add_f32_e32 v84, v84, v85
	v_cvt_f16_f32_e32 v83, v82
	v_exp_f32_e32 v84, v84
	v_cvt_i32_f32_e32 v85, v86
	v_cmp_ngt_f32_e32 vcc, s41, v71
	v_mul_u32_u24_e32 v91, 0x10001, v83
	v_pk_mul_f16 v49, v49, v91
	v_ldexp_f32 v83, v84, v85
	v_mul_f32_e32 v84, 0x3fb8aa3b, v73
	v_fma_f32 v85, v73, s40, -v84
	v_rndne_f32_e32 v86, v84
	v_fmac_f32_e32 v85, 0x32a5705f, v73
	v_sub_f32_e32 v84, v84, v86
	v_add_f32_e32 v84, v84, v85
	v_exp_f32_e32 v84, v84
	v_cvt_i32_f32_e32 v85, v86
	v_cndmask_b32_e32 v83, 0, v83, vcc
	v_cmp_nlt_f32_e32 vcc, s42, v71
	s_mul_i32 s4, s4, s2
	s_lshl_b64 s[4:5], s[4:5], 2
	v_cndmask_b32_e32 v71, v67, v83, vcc
	v_ldexp_f32 v83, v84, v85
	v_mul_f32_e32 v84, 0x3fb8aa3b, v69
	v_fma_f32 v85, v69, s40, -v84
	v_rndne_f32_e32 v86, v84
	v_fmac_f32_e32 v85, 0x32a5705f, v69
	v_sub_f32_e32 v84, v84, v86
	v_add_f32_e32 v84, v84, v85
	v_exp_f32_e32 v84, v84
	v_cvt_i32_f32_e32 v85, v86
	v_cmp_ngt_f32_e32 vcc, s41, v73
	s_add_u32 s4, s12, s4
	s_addc_u32 s5, s13, s5
	v_cndmask_b32_e32 v83, 0, v83, vcc
	v_cmp_nlt_f32_e32 vcc, s42, v73
	s_nop 1
	v_cndmask_b32_e32 v73, v67, v83, vcc
	v_ldexp_f32 v83, v84, v85
	v_cmp_ngt_f32_e32 vcc, s41, v69
	v_pk_add_f32 v[84:85], v[26:27], v[28:29]
	v_pk_add_f32 v[86:87], v[70:71], v[72:73]
	v_cndmask_b32_e32 v83, 0, v83, vcc
	v_cmp_nlt_f32_e32 vcc, s42, v69
	v_pk_fma_f32 v[8:9], v[8:9], v[30:31], v[84:85]
	v_cvt_pk_f16_f32 v31, v70, v71
	v_cndmask_b32_e32 v83, v67, v83, vcc
	v_cvt_f16_f32_e32 v69, v83
	v_pk_fma_f32 v[10:11], v[10:11], v[82:83], v[86:87]
	v_mul_u32_u24_e32 v30, 0x10001, v69
	v_pk_mul_f16 v45, v45, v30
	v_pk_mul_f16 v46, v46, v30
	v_add_u32_e32 v69, v63, v41
	v_cvt_pk_f16_f32 v30, v26, v27
	v_cvt_pk_f16_f32 v27, v72, v73
	;; [unrolled: 1-line block ×3, first 2 shown]
	ds_write2_b64 v69, v[30:31], v[26:27] offset1:32
	s_waitcnt vmcnt(1)
	ds_write_b128 v64, v[74:77]
	s_waitcnt vmcnt(0)
	ds_write_b128 v65, v[78:81]
	s_waitcnt lgkmcnt(0)
	s_barrier
	ds_read_b128 v[26:29], v63
	ds_read2_b64 v[70:73], v41 offset1:32
	ds_read_b128 v[74:77], v63 offset:16
	ds_read_b128 v[78:81], v63 offset:32
	;; [unrolled: 1-line block ×3, first 2 shown]
	s_waitcnt lgkmcnt(4)
	v_mul_u32_u24_sdwa v30, v26, s44 dst_sel:DWORD dst_unused:UNUSED_PAD src0_sel:WORD_0 src1_sel:DWORD
	v_mul_u32_u24_sdwa v26, v26, s44 dst_sel:DWORD dst_unused:UNUSED_PAD src0_sel:WORD_1 src1_sel:DWORD
	s_waitcnt lgkmcnt(3)
	v_pk_mul_f16 v69, v70, v30
	v_mul_u32_u24_sdwa v31, v27, s44 dst_sel:DWORD dst_unused:UNUSED_PAD src0_sel:WORD_0 src1_sel:DWORD
	v_pk_fma_f16 v50, v50, v88, v69
	v_pk_mul_f16 v69, v70, v26
	v_mul_u32_u24_sdwa v27, v27, s44 dst_sel:DWORD dst_unused:UNUSED_PAD src0_sel:WORD_1 src1_sel:DWORD
	v_pk_fma_f16 v48, v48, v90, v69
	v_pk_mul_f16 v69, v70, v31
	v_pk_fma_f16 v45, v70, v27, v45
	v_pk_fma_f16 v47, v47, v91, v69
	;; [unrolled: 1-line block ×6, first 2 shown]
	v_mul_u32_u24_sdwa v46, v28, s44 dst_sel:DWORD dst_unused:UNUSED_PAD src0_sel:WORD_0 src1_sel:DWORD
	v_mul_u32_u24_sdwa v28, v28, s44 dst_sel:DWORD dst_unused:UNUSED_PAD src0_sel:WORD_1 src1_sel:DWORD
	v_mul_u32_u24_sdwa v49, v29, s44 dst_sel:DWORD dst_unused:UNUSED_PAD src0_sel:WORD_0 src1_sel:DWORD
	v_mul_u32_u24_sdwa v29, v29, s44 dst_sel:DWORD dst_unused:UNUSED_PAD src0_sel:WORD_1 src1_sel:DWORD
	v_pk_fma_f16 v50, v72, v46, v50
	v_pk_fma_f16 v48, v72, v28, v48
	;; [unrolled: 1-line block ×8, first 2 shown]
	ds_read2_b64 v[26:29], v41 offset0:64 offset1:96
	s_waitcnt lgkmcnt(3)
	v_mul_u32_u24_sdwa v52, v74, s44 dst_sel:DWORD dst_unused:UNUSED_PAD src0_sel:WORD_0 src1_sel:DWORD
	v_mul_u32_u24_sdwa v69, v74, s44 dst_sel:DWORD dst_unused:UNUSED_PAD src0_sel:WORD_1 src1_sel:DWORD
	v_mul_u32_u24_sdwa v70, v75, s44 dst_sel:DWORD dst_unused:UNUSED_PAD src0_sel:WORD_0 src1_sel:DWORD
	v_mul_u32_u24_sdwa v71, v75, s44 dst_sel:DWORD dst_unused:UNUSED_PAD src0_sel:WORD_1 src1_sel:DWORD
	s_waitcnt lgkmcnt(0)
	v_pk_fma_f16 v50, v26, v52, v50
	v_pk_fma_f16 v48, v26, v69, v48
	;; [unrolled: 1-line block ×8, first 2 shown]
	v_mul_u32_u24_sdwa v46, v76, s44 dst_sel:DWORD dst_unused:UNUSED_PAD src0_sel:WORD_0 src1_sel:DWORD
	v_mul_u32_u24_sdwa v49, v76, s44 dst_sel:DWORD dst_unused:UNUSED_PAD src0_sel:WORD_1 src1_sel:DWORD
	v_mul_u32_u24_sdwa v52, v77, s44 dst_sel:DWORD dst_unused:UNUSED_PAD src0_sel:WORD_0 src1_sel:DWORD
	v_mul_u32_u24_sdwa v69, v77, s44 dst_sel:DWORD dst_unused:UNUSED_PAD src0_sel:WORD_1 src1_sel:DWORD
	v_pk_fma_f16 v50, v28, v46, v50
	v_pk_fma_f16 v48, v28, v49, v48
	;; [unrolled: 1-line block ×8, first 2 shown]
	ds_read2_b64 v[26:29], v41 offset0:128 offset1:160
	v_mul_u32_u24_sdwa v49, v78, s44 dst_sel:DWORD dst_unused:UNUSED_PAD src0_sel:WORD_0 src1_sel:DWORD
	v_mul_u32_u24_sdwa v52, v78, s44 dst_sel:DWORD dst_unused:UNUSED_PAD src0_sel:WORD_1 src1_sel:DWORD
	v_mul_u32_u24_sdwa v69, v79, s44 dst_sel:DWORD dst_unused:UNUSED_PAD src0_sel:WORD_0 src1_sel:DWORD
	v_mul_u32_u24_sdwa v71, v79, s44 dst_sel:DWORD dst_unused:UNUSED_PAD src0_sel:WORD_1 src1_sel:DWORD
	s_waitcnt lgkmcnt(0)
	v_pk_fma_f16 v50, v26, v49, v50
	v_pk_fma_f16 v48, v26, v52, v48
	;; [unrolled: 1-line block ×8, first 2 shown]
	v_mul_u32_u24_sdwa v46, v80, s44 dst_sel:DWORD dst_unused:UNUSED_PAD src0_sel:WORD_0 src1_sel:DWORD
	v_mul_u32_u24_sdwa v49, v80, s44 dst_sel:DWORD dst_unused:UNUSED_PAD src0_sel:WORD_1 src1_sel:DWORD
	v_mul_u32_u24_sdwa v52, v81, s44 dst_sel:DWORD dst_unused:UNUSED_PAD src0_sel:WORD_0 src1_sel:DWORD
	v_mul_u32_u24_sdwa v69, v81, s44 dst_sel:DWORD dst_unused:UNUSED_PAD src0_sel:WORD_1 src1_sel:DWORD
	v_pk_fma_f16 v50, v28, v46, v50
	v_pk_fma_f16 v48, v28, v49, v48
	;; [unrolled: 1-line block ×8, first 2 shown]
	ds_read2_b64 v[26:29], v41 offset0:192 offset1:224
	v_mul_u32_u24_sdwa v49, v82, s44 dst_sel:DWORD dst_unused:UNUSED_PAD src0_sel:WORD_0 src1_sel:DWORD
	v_mul_u32_u24_sdwa v52, v82, s44 dst_sel:DWORD dst_unused:UNUSED_PAD src0_sel:WORD_1 src1_sel:DWORD
	v_mul_u32_u24_sdwa v69, v83, s44 dst_sel:DWORD dst_unused:UNUSED_PAD src0_sel:WORD_0 src1_sel:DWORD
	v_mul_u32_u24_sdwa v71, v83, s44 dst_sel:DWORD dst_unused:UNUSED_PAD src0_sel:WORD_1 src1_sel:DWORD
	s_waitcnt lgkmcnt(0)
	v_pk_fma_f16 v50, v26, v49, v50
	v_pk_fma_f16 v48, v26, v52, v48
	;; [unrolled: 1-line block ×7, first 2 shown]
	v_mul_u32_u24_sdwa v46, v84, s44 dst_sel:DWORD dst_unused:UNUSED_PAD src0_sel:WORD_0 src1_sel:DWORD
	v_mul_u32_u24_sdwa v49, v84, s44 dst_sel:DWORD dst_unused:UNUSED_PAD src0_sel:WORD_1 src1_sel:DWORD
	v_mul_u32_u24_sdwa v52, v85, s44 dst_sel:DWORD dst_unused:UNUSED_PAD src0_sel:WORD_0 src1_sel:DWORD
	v_pk_fma_f16 v26, v26, v71, v70
	v_mul_u32_u24_sdwa v69, v85, s44 dst_sel:DWORD dst_unused:UNUSED_PAD src0_sel:WORD_1 src1_sel:DWORD
	v_pk_fma_f16 v50, v28, v46, v50
	v_pk_fma_f16 v74, v28, v49, v48
	;; [unrolled: 1-line block ×5, first 2 shown]
	ds_read_b128 v[46:49], v63 offset:64
	v_pk_fma_f16 v76, v28, v69, v26
	v_add_u32_e32 v26, 0x800, v41
	v_pk_fma_f16 v52, v29, v52, v31
	v_pk_fma_f16 v27, v29, v69, v27
	ds_read2_b64 v[28:31], v26 offset1:32
	ds_read_b128 v[70:73], v63 offset:80
	s_waitcnt lgkmcnt(2)
	v_mul_u32_u24_sdwa v69, v46, s44 dst_sel:DWORD dst_unused:UNUSED_PAD src0_sel:WORD_0 src1_sel:DWORD
	v_mul_u32_u24_sdwa v46, v46, s44 dst_sel:DWORD dst_unused:UNUSED_PAD src0_sel:WORD_1 src1_sel:DWORD
	v_mul_u32_u24_sdwa v78, v47, s44 dst_sel:DWORD dst_unused:UNUSED_PAD src0_sel:WORD_0 src1_sel:DWORD
	v_mul_u32_u24_sdwa v47, v47, s44 dst_sel:DWORD dst_unused:UNUSED_PAD src0_sel:WORD_1 src1_sel:DWORD
	s_waitcnt lgkmcnt(1)
	v_pk_fma_f16 v50, v28, v69, v50
	v_pk_fma_f16 v74, v28, v46, v74
	;; [unrolled: 1-line block ×8, first 2 shown]
	v_mul_u32_u24_sdwa v29, v48, s44 dst_sel:DWORD dst_unused:UNUSED_PAD src0_sel:WORD_0 src1_sel:DWORD
	v_mul_u32_u24_sdwa v47, v48, s44 dst_sel:DWORD dst_unused:UNUSED_PAD src0_sel:WORD_1 src1_sel:DWORD
	v_mul_u32_u24_sdwa v48, v49, s44 dst_sel:DWORD dst_unused:UNUSED_PAD src0_sel:WORD_0 src1_sel:DWORD
	v_mul_u32_u24_sdwa v49, v49, s44 dst_sel:DWORD dst_unused:UNUSED_PAD src0_sel:WORD_1 src1_sel:DWORD
	v_pk_fma_f16 v50, v30, v29, v50
	v_pk_fma_f16 v52, v30, v47, v74
	;; [unrolled: 1-line block ×8, first 2 shown]
	ds_read2_b64 v[28:31], v26 offset0:64 offset1:96
	s_waitcnt lgkmcnt(1)
	v_mul_u32_u24_sdwa v47, v70, s44 dst_sel:DWORD dst_unused:UNUSED_PAD src0_sel:WORD_0 src1_sel:DWORD
	v_mul_u32_u24_sdwa v48, v70, s44 dst_sel:DWORD dst_unused:UNUSED_PAD src0_sel:WORD_1 src1_sel:DWORD
	v_mul_u32_u24_sdwa v49, v71, s44 dst_sel:DWORD dst_unused:UNUSED_PAD src0_sel:WORD_0 src1_sel:DWORD
	v_mul_u32_u24_sdwa v70, v71, s44 dst_sel:DWORD dst_unused:UNUSED_PAD src0_sel:WORD_1 src1_sel:DWORD
	s_waitcnt lgkmcnt(0)
	v_pk_fma_f16 v50, v28, v47, v50
	v_pk_fma_f16 v52, v28, v48, v52
	;; [unrolled: 1-line block ×6, first 2 shown]
	v_mul_u32_u24_sdwa v29, v72, s44 dst_sel:DWORD dst_unused:UNUSED_PAD src0_sel:WORD_0 src1_sel:DWORD
	v_mul_u32_u24_sdwa v46, v72, s44 dst_sel:DWORD dst_unused:UNUSED_PAD src0_sel:WORD_1 src1_sel:DWORD
	v_pk_fma_f16 v71, v28, v49, v74
	v_pk_fma_f16 v52, v30, v46, v52
	;; [unrolled: 1-line block ×4, first 2 shown]
	ds_read_b128 v[46:49], v63 offset:96
	v_pk_fma_f16 v28, v28, v70, v75
	v_mul_u32_u24_sdwa v70, v73, s44 dst_sel:DWORD dst_unused:UNUSED_PAD src0_sel:WORD_0 src1_sel:DWORD
	v_mul_u32_u24_sdwa v72, v73, s44 dst_sel:DWORD dst_unused:UNUSED_PAD src0_sel:WORD_1 src1_sel:DWORD
	v_pk_fma_f16 v50, v30, v29, v50
	v_pk_fma_f16 v74, v30, v70, v71
	;; [unrolled: 1-line block ×5, first 2 shown]
	ds_read2_b64 v[28:31], v26 offset0:128 offset1:160
	ds_read_b128 v[70:73], v63 offset:112
	s_waitcnt lgkmcnt(2)
	v_mul_u32_u24_sdwa v77, v46, s44 dst_sel:DWORD dst_unused:UNUSED_PAD src0_sel:WORD_0 src1_sel:DWORD
	v_mul_u32_u24_sdwa v46, v46, s44 dst_sel:DWORD dst_unused:UNUSED_PAD src0_sel:WORD_1 src1_sel:DWORD
	v_mul_u32_u24_sdwa v78, v47, s44 dst_sel:DWORD dst_unused:UNUSED_PAD src0_sel:WORD_0 src1_sel:DWORD
	v_mul_u32_u24_sdwa v47, v47, s44 dst_sel:DWORD dst_unused:UNUSED_PAD src0_sel:WORD_1 src1_sel:DWORD
	s_waitcnt lgkmcnt(1)
	v_pk_fma_f16 v50, v28, v77, v50
	v_pk_fma_f16 v52, v28, v46, v52
	;; [unrolled: 1-line block ×8, first 2 shown]
	v_mul_u32_u24_sdwa v29, v48, s44 dst_sel:DWORD dst_unused:UNUSED_PAD src0_sel:WORD_0 src1_sel:DWORD
	v_mul_u32_u24_sdwa v47, v48, s44 dst_sel:DWORD dst_unused:UNUSED_PAD src0_sel:WORD_1 src1_sel:DWORD
	v_mul_u32_u24_sdwa v48, v49, s44 dst_sel:DWORD dst_unused:UNUSED_PAD src0_sel:WORD_0 src1_sel:DWORD
	v_mul_u32_u24_sdwa v49, v49, s44 dst_sel:DWORD dst_unused:UNUSED_PAD src0_sel:WORD_1 src1_sel:DWORD
	v_pk_fma_f16 v50, v30, v29, v50
	v_pk_fma_f16 v52, v30, v47, v52
	;; [unrolled: 1-line block ×8, first 2 shown]
	ds_read2_b64 v[28:31], v26 offset0:192 offset1:224
	s_waitcnt lgkmcnt(1)
	v_mul_u32_u24_sdwa v47, v70, s44 dst_sel:DWORD dst_unused:UNUSED_PAD src0_sel:WORD_0 src1_sel:DWORD
	v_mul_u32_u24_sdwa v48, v70, s44 dst_sel:DWORD dst_unused:UNUSED_PAD src0_sel:WORD_1 src1_sel:DWORD
	v_mul_u32_u24_sdwa v49, v71, s44 dst_sel:DWORD dst_unused:UNUSED_PAD src0_sel:WORD_0 src1_sel:DWORD
	v_mul_u32_u24_sdwa v70, v71, s44 dst_sel:DWORD dst_unused:UNUSED_PAD src0_sel:WORD_1 src1_sel:DWORD
	s_waitcnt lgkmcnt(0)
	v_pk_fma_f16 v50, v28, v47, v50
	v_pk_fma_f16 v52, v28, v48, v52
	;; [unrolled: 1-line block ×7, first 2 shown]
	v_mul_u32_u24_sdwa v29, v72, s44 dst_sel:DWORD dst_unused:UNUSED_PAD src0_sel:WORD_0 src1_sel:DWORD
	v_mul_u32_u24_sdwa v48, v72, s44 dst_sel:DWORD dst_unused:UNUSED_PAD src0_sel:WORD_1 src1_sel:DWORD
	v_mul_u32_u24_sdwa v49, v73, s44 dst_sel:DWORD dst_unused:UNUSED_PAD src0_sel:WORD_0 src1_sel:DWORD
	v_pk_fma_f16 v28, v28, v70, v74
	v_mul_u32_u24_sdwa v70, v73, s44 dst_sel:DWORD dst_unused:UNUSED_PAD src0_sel:WORD_1 src1_sel:DWORD
	v_pk_fma_f16 v52, v30, v48, v52
	v_pk_fma_f16 v69, v30, v49, v69
	;; [unrolled: 1-line block ×5, first 2 shown]
	ds_read_b128 v[46:49], v63 offset:128
	v_pk_fma_f16 v77, v31, v70, v27
	v_add_u32_e32 v27, 0x1000, v41
	v_pk_fma_f16 v50, v30, v29, v50
	v_pk_fma_f16 v74, v30, v70, v28
	ds_read2_b64 v[28:31], v27 offset1:32
	ds_read_b128 v[70:73], v63 offset:144
	s_waitcnt lgkmcnt(2)
	v_mul_u32_u24_sdwa v78, v46, s44 dst_sel:DWORD dst_unused:UNUSED_PAD src0_sel:WORD_0 src1_sel:DWORD
	v_mul_u32_u24_sdwa v46, v46, s44 dst_sel:DWORD dst_unused:UNUSED_PAD src0_sel:WORD_1 src1_sel:DWORD
	v_mul_u32_u24_sdwa v79, v47, s44 dst_sel:DWORD dst_unused:UNUSED_PAD src0_sel:WORD_0 src1_sel:DWORD
	v_mul_u32_u24_sdwa v47, v47, s44 dst_sel:DWORD dst_unused:UNUSED_PAD src0_sel:WORD_1 src1_sel:DWORD
	s_waitcnt lgkmcnt(1)
	v_pk_fma_f16 v50, v28, v78, v50
	v_pk_fma_f16 v52, v28, v46, v52
	;; [unrolled: 1-line block ×8, first 2 shown]
	v_mul_u32_u24_sdwa v47, v48, s44 dst_sel:DWORD dst_unused:UNUSED_PAD src0_sel:WORD_0 src1_sel:DWORD
	v_mul_u32_u24_sdwa v48, v48, s44 dst_sel:DWORD dst_unused:UNUSED_PAD src0_sel:WORD_1 src1_sel:DWORD
	v_mul_u32_u24_sdwa v75, v49, s44 dst_sel:DWORD dst_unused:UNUSED_PAD src0_sel:WORD_0 src1_sel:DWORD
	v_mul_u32_u24_sdwa v49, v49, s44 dst_sel:DWORD dst_unused:UNUSED_PAD src0_sel:WORD_1 src1_sel:DWORD
	v_pk_fma_f16 v50, v30, v47, v50
	v_pk_fma_f16 v52, v30, v48, v52
	;; [unrolled: 1-line block ×8, first 2 shown]
	ds_read2_b64 v[28:31], v27 offset0:64 offset1:96
	s_waitcnt lgkmcnt(1)
	v_mul_u32_u24_sdwa v49, v70, s44 dst_sel:DWORD dst_unused:UNUSED_PAD src0_sel:WORD_0 src1_sel:DWORD
	v_mul_u32_u24_sdwa v70, v70, s44 dst_sel:DWORD dst_unused:UNUSED_PAD src0_sel:WORD_1 src1_sel:DWORD
	v_mul_u32_u24_sdwa v74, v71, s44 dst_sel:DWORD dst_unused:UNUSED_PAD src0_sel:WORD_0 src1_sel:DWORD
	v_mul_u32_u24_sdwa v71, v71, s44 dst_sel:DWORD dst_unused:UNUSED_PAD src0_sel:WORD_1 src1_sel:DWORD
	s_waitcnt lgkmcnt(0)
	v_pk_fma_f16 v50, v28, v49, v50
	v_pk_fma_f16 v52, v28, v70, v52
	;; [unrolled: 1-line block ×6, first 2 shown]
	v_mul_u32_u24_sdwa v46, v72, s44 dst_sel:DWORD dst_unused:UNUSED_PAD src0_sel:WORD_0 src1_sel:DWORD
	v_mul_u32_u24_sdwa v48, v72, s44 dst_sel:DWORD dst_unused:UNUSED_PAD src0_sel:WORD_1 src1_sel:DWORD
	v_pk_fma_f16 v50, v30, v46, v50
	v_pk_fma_f16 v52, v30, v48, v52
	;; [unrolled: 1-line block ×4, first 2 shown]
	ds_read_b128 v[46:49], v63 offset:160
	v_pk_fma_f16 v69, v28, v74, v69
	v_pk_fma_f16 v28, v28, v71, v76
	v_mul_u32_u24_sdwa v71, v73, s44 dst_sel:DWORD dst_unused:UNUSED_PAD src0_sel:WORD_0 src1_sel:DWORD
	v_mul_u32_u24_sdwa v72, v73, s44 dst_sel:DWORD dst_unused:UNUSED_PAD src0_sel:WORD_1 src1_sel:DWORD
	v_pk_fma_f16 v69, v30, v71, v69
	v_pk_fma_f16 v74, v30, v72, v28
	v_pk_fma_f16 v76, v31, v71, v70
	v_pk_fma_f16 v77, v31, v72, v29
	ds_read2_b64 v[28:31], v27 offset0:128 offset1:160
	ds_read_b128 v[70:73], v63 offset:176
	s_waitcnt lgkmcnt(2)
	v_mul_u32_u24_sdwa v78, v46, s44 dst_sel:DWORD dst_unused:UNUSED_PAD src0_sel:WORD_0 src1_sel:DWORD
	v_mul_u32_u24_sdwa v46, v46, s44 dst_sel:DWORD dst_unused:UNUSED_PAD src0_sel:WORD_1 src1_sel:DWORD
	v_mul_u32_u24_sdwa v79, v47, s44 dst_sel:DWORD dst_unused:UNUSED_PAD src0_sel:WORD_0 src1_sel:DWORD
	v_mul_u32_u24_sdwa v47, v47, s44 dst_sel:DWORD dst_unused:UNUSED_PAD src0_sel:WORD_1 src1_sel:DWORD
	s_waitcnt lgkmcnt(1)
	v_pk_fma_f16 v50, v28, v78, v50
	v_pk_fma_f16 v52, v28, v46, v52
	;; [unrolled: 1-line block ×8, first 2 shown]
	v_mul_u32_u24_sdwa v47, v48, s44 dst_sel:DWORD dst_unused:UNUSED_PAD src0_sel:WORD_0 src1_sel:DWORD
	v_mul_u32_u24_sdwa v48, v48, s44 dst_sel:DWORD dst_unused:UNUSED_PAD src0_sel:WORD_1 src1_sel:DWORD
	v_mul_u32_u24_sdwa v75, v49, s44 dst_sel:DWORD dst_unused:UNUSED_PAD src0_sel:WORD_0 src1_sel:DWORD
	v_mul_u32_u24_sdwa v49, v49, s44 dst_sel:DWORD dst_unused:UNUSED_PAD src0_sel:WORD_1 src1_sel:DWORD
	v_pk_fma_f16 v50, v30, v47, v50
	v_pk_fma_f16 v52, v30, v48, v52
	;; [unrolled: 1-line block ×8, first 2 shown]
	ds_read2_b64 v[28:31], v27 offset0:192 offset1:224
	s_waitcnt lgkmcnt(1)
	v_mul_u32_u24_sdwa v49, v70, s44 dst_sel:DWORD dst_unused:UNUSED_PAD src0_sel:WORD_0 src1_sel:DWORD
	v_mul_u32_u24_sdwa v70, v70, s44 dst_sel:DWORD dst_unused:UNUSED_PAD src0_sel:WORD_1 src1_sel:DWORD
	v_mul_u32_u24_sdwa v74, v71, s44 dst_sel:DWORD dst_unused:UNUSED_PAD src0_sel:WORD_0 src1_sel:DWORD
	v_mul_u32_u24_sdwa v71, v71, s44 dst_sel:DWORD dst_unused:UNUSED_PAD src0_sel:WORD_1 src1_sel:DWORD
	s_waitcnt lgkmcnt(0)
	v_pk_fma_f16 v50, v28, v49, v50
	v_pk_fma_f16 v52, v28, v70, v52
	;; [unrolled: 1-line block ×6, first 2 shown]
	v_mul_u32_u24_sdwa v48, v72, s44 dst_sel:DWORD dst_unused:UNUSED_PAD src0_sel:WORD_0 src1_sel:DWORD
	v_mul_u32_u24_sdwa v49, v72, s44 dst_sel:DWORD dst_unused:UNUSED_PAD src0_sel:WORD_1 src1_sel:DWORD
	v_mul_u32_u24_sdwa v70, v73, s44 dst_sel:DWORD dst_unused:UNUSED_PAD src0_sel:WORD_0 src1_sel:DWORD
	v_pk_fma_f16 v69, v28, v74, v69
	v_pk_fma_f16 v28, v28, v71, v76
	v_mul_u32_u24_sdwa v71, v73, s44 dst_sel:DWORD dst_unused:UNUSED_PAD src0_sel:WORD_1 src1_sel:DWORD
	v_pk_fma_f16 v50, v30, v48, v50
	v_pk_fma_f16 v52, v30, v49, v52
	;; [unrolled: 1-line block ×5, first 2 shown]
	ds_read_b128 v[46:49], v63 offset:192
	v_pk_fma_f16 v69, v30, v70, v69
	v_pk_fma_f16 v30, v30, v71, v28
	v_add_u32_e32 v28, 0x1800, v41
	v_pk_fma_f16 v29, v31, v71, v29
	ds_read2_b64 v[70:73], v28 offset1:32
	ds_read_b128 v[74:77], v63 offset:208
	s_waitcnt lgkmcnt(2)
	v_mul_u32_u24_sdwa v31, v46, s44 dst_sel:DWORD dst_unused:UNUSED_PAD src0_sel:WORD_0 src1_sel:DWORD
	v_mul_u32_u24_sdwa v80, v47, s44 dst_sel:DWORD dst_unused:UNUSED_PAD src0_sel:WORD_0 src1_sel:DWORD
	v_mul_u32_u24_sdwa v47, v47, s44 dst_sel:DWORD dst_unused:UNUSED_PAD src0_sel:WORD_1 src1_sel:DWORD
	v_mul_u32_u24_sdwa v46, v46, s44 dst_sel:DWORD dst_unused:UNUSED_PAD src0_sel:WORD_1 src1_sel:DWORD
	s_waitcnt lgkmcnt(1)
	v_pk_fma_f16 v50, v70, v31, v50
	v_pk_fma_f16 v102, v70, v47, v30
	;; [unrolled: 1-line block ×3, first 2 shown]
	v_lshl_add_u64 v[30:31], s[4:5], 0, v[18:19]
	v_pk_fma_f16 v52, v70, v46, v52
	v_pk_fma_f16 v69, v70, v80, v69
	;; [unrolled: 1-line block ×5, first 2 shown]
	v_lshl_add_u64 v[30:31], v[30:31], 0, v[2:3]
	v_lshl_add_u64 v[70:71], s[4:5], 0, v[24:25]
	v_mul_u32_u24_sdwa v105, v48, s44 dst_sel:DWORD dst_unused:UNUSED_PAD src0_sel:WORD_0 src1_sel:DWORD
	v_mul_u32_u24_sdwa v106, v48, s44 dst_sel:DWORD dst_unused:UNUSED_PAD src0_sel:WORD_1 src1_sel:DWORD
	v_mul_u32_u24_sdwa v107, v49, s44 dst_sel:DWORD dst_unused:UNUSED_PAD src0_sel:WORD_0 src1_sel:DWORD
	v_mul_u32_u24_sdwa v108, v49, s44 dst_sel:DWORD dst_unused:UNUSED_PAD src0_sel:WORD_1 src1_sel:DWORD
	ds_read2_b64 v[46:49], v28 offset0:64 offset1:96
	ds_read2_b64 v[78:81], v28 offset0:128 offset1:160
	;; [unrolled: 1-line block ×3, first 2 shown]
	ds_read_b128 v[86:89], v63 offset:224
	ds_read_b128 v[90:93], v63 offset:240
	s_waitcnt lgkmcnt(0)
	s_barrier
	v_lshl_add_u64 v[70:71], v[70:71], 0, v[2:3]
	global_load_dwordx4 v[94:97], v[30:31], off
	global_load_dwordx4 v[98:101], v[70:71], off
	v_pk_fma_f16 v50, v72, v105, v50
	v_pk_fma_f16 v52, v72, v106, v52
	v_pk_fma_f16 v30, v72, v107, v69
	v_pk_fma_f16 v31, v72, v108, v102
	v_pk_fma_f16 v69, v73, v105, v103
	v_pk_fma_f16 v45, v73, v106, v45
	v_pk_fma_f16 v70, v73, v107, v104
	v_pk_fma_f16 v29, v73, v108, v29
	v_mul_u32_u24_sdwa v71, v74, s44 dst_sel:DWORD dst_unused:UNUSED_PAD src0_sel:WORD_0 src1_sel:DWORD
	v_mul_u32_u24_sdwa v72, v74, s44 dst_sel:DWORD dst_unused:UNUSED_PAD src0_sel:WORD_1 src1_sel:DWORD
	v_mul_u32_u24_sdwa v73, v75, s44 dst_sel:DWORD dst_unused:UNUSED_PAD src0_sel:WORD_0 src1_sel:DWORD
	v_mul_u32_u24_sdwa v74, v75, s44 dst_sel:DWORD dst_unused:UNUSED_PAD src0_sel:WORD_1 src1_sel:DWORD
	v_pk_fma_f16 v50, v46, v71, v50
	v_pk_fma_f16 v52, v46, v72, v52
	v_pk_fma_f16 v30, v46, v73, v30
	v_pk_fma_f16 v31, v46, v74, v31
	v_pk_fma_f16 v46, v47, v71, v69
	v_pk_fma_f16 v45, v47, v72, v45
	v_pk_fma_f16 v69, v47, v73, v70
	v_pk_fma_f16 v29, v47, v74, v29
	v_mul_u32_u24_sdwa v47, v76, s44 dst_sel:DWORD dst_unused:UNUSED_PAD src0_sel:WORD_0 src1_sel:DWORD
	v_mul_u32_u24_sdwa v70, v76, s44 dst_sel:DWORD dst_unused:UNUSED_PAD src0_sel:WORD_1 src1_sel:DWORD
	v_mul_u32_u24_sdwa v71, v77, s44 dst_sel:DWORD dst_unused:UNUSED_PAD src0_sel:WORD_0 src1_sel:DWORD
	v_mul_u32_u24_sdwa v72, v77, s44 dst_sel:DWORD dst_unused:UNUSED_PAD src0_sel:WORD_1 src1_sel:DWORD
	;; [unrolled: 12-line block ×6, first 2 shown]
	v_pk_fma_f16 v50, v84, v48, v50
	v_pk_fma_f16 v52, v84, v49, v52
	;; [unrolled: 1-line block ×8, first 2 shown]
	s_waitcnt vmcnt(1)
	ds_write_b128 v64, v[94:97]
	s_waitcnt vmcnt(0)
	ds_write_b128 v65, v[98:101]
	s_waitcnt lgkmcnt(0)
	s_barrier
	ds_read_b128 v[46:49], v63 offset:256
	ds_read2_b64 v[70:73], v41 offset1:32
	ds_read_b128 v[74:77], v63 offset:272
	ds_read_b128 v[78:81], v63 offset:288
	;; [unrolled: 1-line block ×3, first 2 shown]
	s_waitcnt lgkmcnt(4)
	v_mul_u32_u24_sdwa v87, v46, s44 dst_sel:DWORD dst_unused:UNUSED_PAD src0_sel:WORD_0 src1_sel:DWORD
	v_mul_u32_u24_sdwa v46, v46, s44 dst_sel:DWORD dst_unused:UNUSED_PAD src0_sel:WORD_1 src1_sel:DWORD
	v_mul_u32_u24_sdwa v88, v47, s44 dst_sel:DWORD dst_unused:UNUSED_PAD src0_sel:WORD_0 src1_sel:DWORD
	v_mul_u32_u24_sdwa v47, v47, s44 dst_sel:DWORD dst_unused:UNUSED_PAD src0_sel:WORD_1 src1_sel:DWORD
	s_waitcnt lgkmcnt(3)
	v_pk_fma_f16 v50, v70, v87, v50
	v_pk_fma_f16 v52, v70, v46, v52
	;; [unrolled: 1-line block ×8, first 2 shown]
	v_mul_u32_u24_sdwa v47, v48, s44 dst_sel:DWORD dst_unused:UNUSED_PAD src0_sel:WORD_0 src1_sel:DWORD
	v_mul_u32_u24_sdwa v48, v48, s44 dst_sel:DWORD dst_unused:UNUSED_PAD src0_sel:WORD_1 src1_sel:DWORD
	v_mul_u32_u24_sdwa v69, v49, s44 dst_sel:DWORD dst_unused:UNUSED_PAD src0_sel:WORD_0 src1_sel:DWORD
	v_mul_u32_u24_sdwa v49, v49, s44 dst_sel:DWORD dst_unused:UNUSED_PAD src0_sel:WORD_1 src1_sel:DWORD
	v_pk_fma_f16 v50, v72, v47, v50
	v_pk_fma_f16 v52, v72, v48, v52
	;; [unrolled: 1-line block ×8, first 2 shown]
	ds_read2_b64 v[46:49], v41 offset0:64 offset1:96
	s_waitcnt lgkmcnt(3)
	v_mul_u32_u24_sdwa v71, v74, s44 dst_sel:DWORD dst_unused:UNUSED_PAD src0_sel:WORD_0 src1_sel:DWORD
	v_mul_u32_u24_sdwa v72, v74, s44 dst_sel:DWORD dst_unused:UNUSED_PAD src0_sel:WORD_1 src1_sel:DWORD
	v_mul_u32_u24_sdwa v73, v75, s44 dst_sel:DWORD dst_unused:UNUSED_PAD src0_sel:WORD_0 src1_sel:DWORD
	v_mul_u32_u24_sdwa v74, v75, s44 dst_sel:DWORD dst_unused:UNUSED_PAD src0_sel:WORD_1 src1_sel:DWORD
	s_waitcnt lgkmcnt(0)
	v_pk_fma_f16 v50, v46, v71, v50
	v_pk_fma_f16 v52, v46, v72, v52
	;; [unrolled: 1-line block ×8, first 2 shown]
	v_mul_u32_u24_sdwa v47, v76, s44 dst_sel:DWORD dst_unused:UNUSED_PAD src0_sel:WORD_0 src1_sel:DWORD
	v_mul_u32_u24_sdwa v70, v76, s44 dst_sel:DWORD dst_unused:UNUSED_PAD src0_sel:WORD_1 src1_sel:DWORD
	v_mul_u32_u24_sdwa v71, v77, s44 dst_sel:DWORD dst_unused:UNUSED_PAD src0_sel:WORD_0 src1_sel:DWORD
	v_mul_u32_u24_sdwa v72, v77, s44 dst_sel:DWORD dst_unused:UNUSED_PAD src0_sel:WORD_1 src1_sel:DWORD
	v_pk_fma_f16 v50, v48, v47, v50
	v_pk_fma_f16 v52, v48, v70, v52
	;; [unrolled: 1-line block ×8, first 2 shown]
	ds_read2_b64 v[46:49], v41 offset0:128 offset1:160
	v_mul_u32_u24_sdwa v70, v78, s44 dst_sel:DWORD dst_unused:UNUSED_PAD src0_sel:WORD_0 src1_sel:DWORD
	v_mul_u32_u24_sdwa v71, v78, s44 dst_sel:DWORD dst_unused:UNUSED_PAD src0_sel:WORD_1 src1_sel:DWORD
	v_mul_u32_u24_sdwa v72, v79, s44 dst_sel:DWORD dst_unused:UNUSED_PAD src0_sel:WORD_0 src1_sel:DWORD
	v_mul_u32_u24_sdwa v74, v79, s44 dst_sel:DWORD dst_unused:UNUSED_PAD src0_sel:WORD_1 src1_sel:DWORD
	s_waitcnt lgkmcnt(0)
	v_pk_fma_f16 v50, v46, v70, v50
	v_pk_fma_f16 v52, v46, v71, v52
	;; [unrolled: 1-line block ×8, first 2 shown]
	v_mul_u32_u24_sdwa v47, v80, s44 dst_sel:DWORD dst_unused:UNUSED_PAD src0_sel:WORD_0 src1_sel:DWORD
	v_mul_u32_u24_sdwa v70, v80, s44 dst_sel:DWORD dst_unused:UNUSED_PAD src0_sel:WORD_1 src1_sel:DWORD
	v_mul_u32_u24_sdwa v71, v81, s44 dst_sel:DWORD dst_unused:UNUSED_PAD src0_sel:WORD_0 src1_sel:DWORD
	v_mul_u32_u24_sdwa v72, v81, s44 dst_sel:DWORD dst_unused:UNUSED_PAD src0_sel:WORD_1 src1_sel:DWORD
	v_pk_fma_f16 v50, v48, v47, v50
	v_pk_fma_f16 v52, v48, v70, v52
	;; [unrolled: 1-line block ×8, first 2 shown]
	ds_read2_b64 v[46:49], v41 offset0:192 offset1:224
	v_mul_u32_u24_sdwa v70, v82, s44 dst_sel:DWORD dst_unused:UNUSED_PAD src0_sel:WORD_0 src1_sel:DWORD
	v_mul_u32_u24_sdwa v71, v82, s44 dst_sel:DWORD dst_unused:UNUSED_PAD src0_sel:WORD_1 src1_sel:DWORD
	v_mul_u32_u24_sdwa v72, v83, s44 dst_sel:DWORD dst_unused:UNUSED_PAD src0_sel:WORD_0 src1_sel:DWORD
	v_mul_u32_u24_sdwa v74, v83, s44 dst_sel:DWORD dst_unused:UNUSED_PAD src0_sel:WORD_1 src1_sel:DWORD
	s_waitcnt lgkmcnt(0)
	v_pk_fma_f16 v50, v46, v70, v50
	v_pk_fma_f16 v52, v46, v71, v52
	v_pk_fma_f16 v30, v46, v72, v30
	v_pk_fma_f16 v31, v46, v74, v31
	v_pk_fma_f16 v46, v47, v70, v73
	v_pk_fma_f16 v45, v47, v71, v45
	v_mul_u32_u24_sdwa v70, v84, s44 dst_sel:DWORD dst_unused:UNUSED_PAD src0_sel:WORD_1 src1_sel:DWORD
	v_pk_fma_f16 v69, v47, v72, v69
	v_pk_fma_f16 v52, v48, v70, v52
	v_pk_fma_f16 v45, v49, v70, v45
	ds_read_b128 v[70:73], v63 offset:320
	v_pk_fma_f16 v29, v47, v74, v29
	v_mul_u32_u24_sdwa v47, v84, s44 dst_sel:DWORD dst_unused:UNUSED_PAD src0_sel:WORD_0 src1_sel:DWORD
	v_mul_u32_u24_sdwa v74, v85, s44 dst_sel:DWORD dst_unused:UNUSED_PAD src0_sel:WORD_0 src1_sel:DWORD
	v_mul_u32_u24_sdwa v75, v85, s44 dst_sel:DWORD dst_unused:UNUSED_PAD src0_sel:WORD_1 src1_sel:DWORD
	v_pk_fma_f16 v50, v48, v47, v50
	v_pk_fma_f16 v30, v48, v74, v30
	;; [unrolled: 1-line block ×6, first 2 shown]
	ds_read2_b64 v[46:49], v26 offset1:32
	ds_read_b128 v[74:77], v63 offset:336
	s_waitcnt lgkmcnt(2)
	v_mul_u32_u24_sdwa v79, v70, s44 dst_sel:DWORD dst_unused:UNUSED_PAD src0_sel:WORD_0 src1_sel:DWORD
	v_mul_u32_u24_sdwa v70, v70, s44 dst_sel:DWORD dst_unused:UNUSED_PAD src0_sel:WORD_1 src1_sel:DWORD
	v_mul_u32_u24_sdwa v80, v71, s44 dst_sel:DWORD dst_unused:UNUSED_PAD src0_sel:WORD_0 src1_sel:DWORD
	v_mul_u32_u24_sdwa v71, v71, s44 dst_sel:DWORD dst_unused:UNUSED_PAD src0_sel:WORD_1 src1_sel:DWORD
	s_waitcnt lgkmcnt(1)
	v_pk_fma_f16 v50, v46, v79, v50
	v_pk_fma_f16 v52, v46, v70, v52
	v_pk_fma_f16 v30, v46, v80, v30
	v_pk_fma_f16 v31, v46, v71, v31
	v_pk_fma_f16 v46, v47, v79, v78
	v_pk_fma_f16 v45, v47, v70, v45
	v_pk_fma_f16 v69, v47, v80, v69
	v_pk_fma_f16 v29, v47, v71, v29
	v_mul_u32_u24_sdwa v47, v72, s44 dst_sel:DWORD dst_unused:UNUSED_PAD src0_sel:WORD_0 src1_sel:DWORD
	v_mul_u32_u24_sdwa v70, v72, s44 dst_sel:DWORD dst_unused:UNUSED_PAD src0_sel:WORD_1 src1_sel:DWORD
	v_mul_u32_u24_sdwa v71, v73, s44 dst_sel:DWORD dst_unused:UNUSED_PAD src0_sel:WORD_0 src1_sel:DWORD
	v_mul_u32_u24_sdwa v72, v73, s44 dst_sel:DWORD dst_unused:UNUSED_PAD src0_sel:WORD_1 src1_sel:DWORD
	v_pk_fma_f16 v50, v48, v47, v50
	v_pk_fma_f16 v52, v48, v70, v52
	;; [unrolled: 1-line block ×8, first 2 shown]
	ds_read2_b64 v[46:49], v26 offset0:64 offset1:96
	s_waitcnt lgkmcnt(1)
	v_mul_u32_u24_sdwa v70, v74, s44 dst_sel:DWORD dst_unused:UNUSED_PAD src0_sel:WORD_0 src1_sel:DWORD
	v_mul_u32_u24_sdwa v71, v74, s44 dst_sel:DWORD dst_unused:UNUSED_PAD src0_sel:WORD_1 src1_sel:DWORD
	v_mul_u32_u24_sdwa v72, v75, s44 dst_sel:DWORD dst_unused:UNUSED_PAD src0_sel:WORD_0 src1_sel:DWORD
	v_mul_u32_u24_sdwa v74, v75, s44 dst_sel:DWORD dst_unused:UNUSED_PAD src0_sel:WORD_1 src1_sel:DWORD
	s_waitcnt lgkmcnt(0)
	v_pk_fma_f16 v50, v46, v70, v50
	v_pk_fma_f16 v52, v46, v71, v52
	v_pk_fma_f16 v30, v46, v72, v30
	v_pk_fma_f16 v31, v46, v74, v31
	v_pk_fma_f16 v46, v47, v70, v73
	v_pk_fma_f16 v45, v47, v71, v45
	v_mul_u32_u24_sdwa v70, v76, s44 dst_sel:DWORD dst_unused:UNUSED_PAD src0_sel:WORD_1 src1_sel:DWORD
	v_pk_fma_f16 v69, v47, v72, v69
	v_pk_fma_f16 v52, v48, v70, v52
	;; [unrolled: 1-line block ×3, first 2 shown]
	ds_read_b128 v[70:73], v63 offset:352
	v_pk_fma_f16 v29, v47, v74, v29
	v_mul_u32_u24_sdwa v47, v76, s44 dst_sel:DWORD dst_unused:UNUSED_PAD src0_sel:WORD_0 src1_sel:DWORD
	v_mul_u32_u24_sdwa v74, v77, s44 dst_sel:DWORD dst_unused:UNUSED_PAD src0_sel:WORD_0 src1_sel:DWORD
	v_mul_u32_u24_sdwa v75, v77, s44 dst_sel:DWORD dst_unused:UNUSED_PAD src0_sel:WORD_1 src1_sel:DWORD
	v_pk_fma_f16 v50, v48, v47, v50
	v_pk_fma_f16 v30, v48, v74, v30
	;; [unrolled: 1-line block ×6, first 2 shown]
	ds_read2_b64 v[46:49], v26 offset0:128 offset1:160
	ds_read_b128 v[74:77], v63 offset:368
	s_waitcnt lgkmcnt(2)
	v_mul_u32_u24_sdwa v79, v70, s44 dst_sel:DWORD dst_unused:UNUSED_PAD src0_sel:WORD_0 src1_sel:DWORD
	v_mul_u32_u24_sdwa v70, v70, s44 dst_sel:DWORD dst_unused:UNUSED_PAD src0_sel:WORD_1 src1_sel:DWORD
	v_mul_u32_u24_sdwa v80, v71, s44 dst_sel:DWORD dst_unused:UNUSED_PAD src0_sel:WORD_0 src1_sel:DWORD
	v_mul_u32_u24_sdwa v71, v71, s44 dst_sel:DWORD dst_unused:UNUSED_PAD src0_sel:WORD_1 src1_sel:DWORD
	s_waitcnt lgkmcnt(1)
	v_pk_fma_f16 v50, v46, v79, v50
	v_pk_fma_f16 v52, v46, v70, v52
	;; [unrolled: 1-line block ×8, first 2 shown]
	v_mul_u32_u24_sdwa v47, v72, s44 dst_sel:DWORD dst_unused:UNUSED_PAD src0_sel:WORD_0 src1_sel:DWORD
	v_mul_u32_u24_sdwa v70, v72, s44 dst_sel:DWORD dst_unused:UNUSED_PAD src0_sel:WORD_1 src1_sel:DWORD
	v_mul_u32_u24_sdwa v71, v73, s44 dst_sel:DWORD dst_unused:UNUSED_PAD src0_sel:WORD_0 src1_sel:DWORD
	v_mul_u32_u24_sdwa v72, v73, s44 dst_sel:DWORD dst_unused:UNUSED_PAD src0_sel:WORD_1 src1_sel:DWORD
	v_pk_fma_f16 v50, v48, v47, v50
	v_pk_fma_f16 v52, v48, v70, v52
	;; [unrolled: 1-line block ×8, first 2 shown]
	ds_read2_b64 v[46:49], v26 offset0:192 offset1:224
	s_waitcnt lgkmcnt(1)
	v_mul_u32_u24_sdwa v26, v74, s44 dst_sel:DWORD dst_unused:UNUSED_PAD src0_sel:WORD_0 src1_sel:DWORD
	v_mul_u32_u24_sdwa v70, v74, s44 dst_sel:DWORD dst_unused:UNUSED_PAD src0_sel:WORD_1 src1_sel:DWORD
	v_mul_u32_u24_sdwa v71, v75, s44 dst_sel:DWORD dst_unused:UNUSED_PAD src0_sel:WORD_0 src1_sel:DWORD
	v_mul_u32_u24_sdwa v72, v75, s44 dst_sel:DWORD dst_unused:UNUSED_PAD src0_sel:WORD_1 src1_sel:DWORD
	s_waitcnt lgkmcnt(0)
	v_pk_fma_f16 v50, v46, v26, v50
	v_pk_fma_f16 v52, v46, v70, v52
	;; [unrolled: 1-line block ×8, first 2 shown]
	ds_read_b128 v[70:73], v63 offset:384
	v_mul_u32_u24_sdwa v47, v76, s44 dst_sel:DWORD dst_unused:UNUSED_PAD src0_sel:WORD_0 src1_sel:DWORD
	v_mul_u32_u24_sdwa v69, v76, s44 dst_sel:DWORD dst_unused:UNUSED_PAD src0_sel:WORD_1 src1_sel:DWORD
	v_mul_u32_u24_sdwa v74, v77, s44 dst_sel:DWORD dst_unused:UNUSED_PAD src0_sel:WORD_0 src1_sel:DWORD
	v_mul_u32_u24_sdwa v75, v77, s44 dst_sel:DWORD dst_unused:UNUSED_PAD src0_sel:WORD_1 src1_sel:DWORD
	v_pk_fma_f16 v50, v48, v47, v50
	v_pk_fma_f16 v52, v48, v69, v52
	;; [unrolled: 1-line block ×8, first 2 shown]
	ds_read2_b64 v[46:49], v27 offset1:32
	ds_read_b128 v[74:77], v63 offset:400
	s_waitcnt lgkmcnt(2)
	v_mul_u32_u24_sdwa v78, v70, s44 dst_sel:DWORD dst_unused:UNUSED_PAD src0_sel:WORD_0 src1_sel:DWORD
	v_mul_u32_u24_sdwa v70, v70, s44 dst_sel:DWORD dst_unused:UNUSED_PAD src0_sel:WORD_1 src1_sel:DWORD
	v_mul_u32_u24_sdwa v79, v71, s44 dst_sel:DWORD dst_unused:UNUSED_PAD src0_sel:WORD_0 src1_sel:DWORD
	v_mul_u32_u24_sdwa v71, v71, s44 dst_sel:DWORD dst_unused:UNUSED_PAD src0_sel:WORD_1 src1_sel:DWORD
	s_waitcnt lgkmcnt(1)
	v_pk_fma_f16 v50, v46, v78, v50
	v_pk_fma_f16 v52, v46, v70, v52
	;; [unrolled: 1-line block ×8, first 2 shown]
	v_mul_u32_u24_sdwa v47, v72, s44 dst_sel:DWORD dst_unused:UNUSED_PAD src0_sel:WORD_0 src1_sel:DWORD
	v_mul_u32_u24_sdwa v69, v72, s44 dst_sel:DWORD dst_unused:UNUSED_PAD src0_sel:WORD_1 src1_sel:DWORD
	v_mul_u32_u24_sdwa v70, v73, s44 dst_sel:DWORD dst_unused:UNUSED_PAD src0_sel:WORD_0 src1_sel:DWORD
	v_mul_u32_u24_sdwa v71, v73, s44 dst_sel:DWORD dst_unused:UNUSED_PAD src0_sel:WORD_1 src1_sel:DWORD
	v_pk_fma_f16 v50, v48, v47, v50
	v_pk_fma_f16 v52, v48, v69, v52
	;; [unrolled: 1-line block ×8, first 2 shown]
	ds_read2_b64 v[46:49], v27 offset0:64 offset1:96
	s_waitcnt lgkmcnt(1)
	v_mul_u32_u24_sdwa v70, v74, s44 dst_sel:DWORD dst_unused:UNUSED_PAD src0_sel:WORD_0 src1_sel:DWORD
	v_mul_u32_u24_sdwa v71, v74, s44 dst_sel:DWORD dst_unused:UNUSED_PAD src0_sel:WORD_1 src1_sel:DWORD
	v_mul_u32_u24_sdwa v72, v75, s44 dst_sel:DWORD dst_unused:UNUSED_PAD src0_sel:WORD_0 src1_sel:DWORD
	v_mul_u32_u24_sdwa v73, v75, s44 dst_sel:DWORD dst_unused:UNUSED_PAD src0_sel:WORD_1 src1_sel:DWORD
	s_waitcnt lgkmcnt(0)
	v_pk_fma_f16 v50, v46, v70, v50
	v_pk_fma_f16 v52, v46, v71, v52
	;; [unrolled: 1-line block ×8, first 2 shown]
	ds_read_b128 v[70:73], v63 offset:416
	v_mul_u32_u24_sdwa v47, v76, s44 dst_sel:DWORD dst_unused:UNUSED_PAD src0_sel:WORD_0 src1_sel:DWORD
	v_mul_u32_u24_sdwa v69, v76, s44 dst_sel:DWORD dst_unused:UNUSED_PAD src0_sel:WORD_1 src1_sel:DWORD
	v_mul_u32_u24_sdwa v74, v77, s44 dst_sel:DWORD dst_unused:UNUSED_PAD src0_sel:WORD_0 src1_sel:DWORD
	v_mul_u32_u24_sdwa v75, v77, s44 dst_sel:DWORD dst_unused:UNUSED_PAD src0_sel:WORD_1 src1_sel:DWORD
	v_pk_fma_f16 v50, v48, v47, v50
	v_pk_fma_f16 v52, v48, v69, v52
	;; [unrolled: 1-line block ×8, first 2 shown]
	ds_read2_b64 v[46:49], v27 offset0:128 offset1:160
	ds_read_b128 v[74:77], v63 offset:432
	s_waitcnt lgkmcnt(2)
	v_mul_u32_u24_sdwa v78, v70, s44 dst_sel:DWORD dst_unused:UNUSED_PAD src0_sel:WORD_0 src1_sel:DWORD
	v_mul_u32_u24_sdwa v70, v70, s44 dst_sel:DWORD dst_unused:UNUSED_PAD src0_sel:WORD_1 src1_sel:DWORD
	v_mul_u32_u24_sdwa v79, v71, s44 dst_sel:DWORD dst_unused:UNUSED_PAD src0_sel:WORD_0 src1_sel:DWORD
	v_mul_u32_u24_sdwa v71, v71, s44 dst_sel:DWORD dst_unused:UNUSED_PAD src0_sel:WORD_1 src1_sel:DWORD
	s_waitcnt lgkmcnt(1)
	v_pk_fma_f16 v50, v46, v78, v50
	v_pk_fma_f16 v52, v46, v70, v52
	;; [unrolled: 1-line block ×8, first 2 shown]
	v_mul_u32_u24_sdwa v47, v72, s44 dst_sel:DWORD dst_unused:UNUSED_PAD src0_sel:WORD_0 src1_sel:DWORD
	v_mul_u32_u24_sdwa v69, v72, s44 dst_sel:DWORD dst_unused:UNUSED_PAD src0_sel:WORD_1 src1_sel:DWORD
	v_mul_u32_u24_sdwa v70, v73, s44 dst_sel:DWORD dst_unused:UNUSED_PAD src0_sel:WORD_0 src1_sel:DWORD
	v_mul_u32_u24_sdwa v71, v73, s44 dst_sel:DWORD dst_unused:UNUSED_PAD src0_sel:WORD_1 src1_sel:DWORD
	v_pk_fma_f16 v50, v48, v47, v50
	v_pk_fma_f16 v52, v48, v69, v52
	v_pk_fma_f16 v30, v48, v70, v30
	v_pk_fma_f16 v31, v48, v71, v31
	v_pk_fma_f16 v26, v49, v47, v26
	v_pk_fma_f16 v45, v49, v69, v45
	v_pk_fma_f16 v69, v49, v70, v46
	v_pk_fma_f16 v29, v49, v71, v29
	ds_read2_b64 v[46:49], v27 offset0:192 offset1:224
	s_waitcnt lgkmcnt(1)
	v_mul_u32_u24_sdwa v27, v74, s44 dst_sel:DWORD dst_unused:UNUSED_PAD src0_sel:WORD_0 src1_sel:DWORD
	v_mul_u32_u24_sdwa v70, v74, s44 dst_sel:DWORD dst_unused:UNUSED_PAD src0_sel:WORD_1 src1_sel:DWORD
	v_mul_u32_u24_sdwa v71, v75, s44 dst_sel:DWORD dst_unused:UNUSED_PAD src0_sel:WORD_0 src1_sel:DWORD
	v_mul_u32_u24_sdwa v72, v75, s44 dst_sel:DWORD dst_unused:UNUSED_PAD src0_sel:WORD_1 src1_sel:DWORD
	s_waitcnt lgkmcnt(0)
	v_pk_fma_f16 v50, v46, v27, v50
	v_pk_fma_f16 v52, v46, v70, v52
	;; [unrolled: 1-line block ×8, first 2 shown]
	ds_read_b128 v[70:73], v63 offset:448
	v_mul_u32_u24_sdwa v46, v76, s44 dst_sel:DWORD dst_unused:UNUSED_PAD src0_sel:WORD_0 src1_sel:DWORD
	v_mul_u32_u24_sdwa v47, v76, s44 dst_sel:DWORD dst_unused:UNUSED_PAD src0_sel:WORD_1 src1_sel:DWORD
	v_mul_u32_u24_sdwa v69, v77, s44 dst_sel:DWORD dst_unused:UNUSED_PAD src0_sel:WORD_0 src1_sel:DWORD
	v_mul_u32_u24_sdwa v74, v77, s44 dst_sel:DWORD dst_unused:UNUSED_PAD src0_sel:WORD_1 src1_sel:DWORD
	v_pk_fma_f16 v50, v48, v46, v50
	v_pk_fma_f16 v52, v48, v47, v52
	;; [unrolled: 1-line block ×8, first 2 shown]
	ds_read2_b64 v[46:49], v28 offset1:32
	ds_read_b128 v[74:77], v63 offset:464
	s_waitcnt lgkmcnt(2)
	v_mul_u32_u24_sdwa v69, v70, s44 dst_sel:DWORD dst_unused:UNUSED_PAD src0_sel:WORD_0 src1_sel:DWORD
	v_mul_u32_u24_sdwa v70, v70, s44 dst_sel:DWORD dst_unused:UNUSED_PAD src0_sel:WORD_1 src1_sel:DWORD
	v_mul_u32_u24_sdwa v78, v71, s44 dst_sel:DWORD dst_unused:UNUSED_PAD src0_sel:WORD_0 src1_sel:DWORD
	v_mul_u32_u24_sdwa v71, v71, s44 dst_sel:DWORD dst_unused:UNUSED_PAD src0_sel:WORD_1 src1_sel:DWORD
	s_waitcnt lgkmcnt(1)
	v_pk_fma_f16 v50, v46, v69, v50
	v_pk_fma_f16 v52, v46, v70, v52
	;; [unrolled: 1-line block ×8, first 2 shown]
	v_mul_u32_u24_sdwa v46, v72, s44 dst_sel:DWORD dst_unused:UNUSED_PAD src0_sel:WORD_0 src1_sel:DWORD
	v_mul_u32_u24_sdwa v47, v72, s44 dst_sel:DWORD dst_unused:UNUSED_PAD src0_sel:WORD_1 src1_sel:DWORD
	v_mul_u32_u24_sdwa v69, v73, s44 dst_sel:DWORD dst_unused:UNUSED_PAD src0_sel:WORD_0 src1_sel:DWORD
	v_mul_u32_u24_sdwa v70, v73, s44 dst_sel:DWORD dst_unused:UNUSED_PAD src0_sel:WORD_1 src1_sel:DWORD
	v_pk_fma_f16 v50, v48, v46, v50
	v_pk_fma_f16 v52, v48, v47, v52
	;; [unrolled: 1-line block ×8, first 2 shown]
	ds_read2_b64 v[46:49], v28 offset0:64 offset1:96
	s_waitcnt lgkmcnt(1)
	v_mul_u32_u24_sdwa v70, v74, s44 dst_sel:DWORD dst_unused:UNUSED_PAD src0_sel:WORD_1 src1_sel:DWORD
	v_mul_u32_u24_sdwa v71, v75, s44 dst_sel:DWORD dst_unused:UNUSED_PAD src0_sel:WORD_0 src1_sel:DWORD
	v_mul_u32_u24_sdwa v72, v75, s44 dst_sel:DWORD dst_unused:UNUSED_PAD src0_sel:WORD_1 src1_sel:DWORD
	v_mul_u32_u24_sdwa v69, v74, s44 dst_sel:DWORD dst_unused:UNUSED_PAD src0_sel:WORD_0 src1_sel:DWORD
	s_waitcnt lgkmcnt(0)
	v_pk_fma_f16 v52, v46, v70, v52
	v_pk_fma_f16 v30, v46, v71, v30
	;; [unrolled: 1-line block ×6, first 2 shown]
	ds_read_b128 v[70:73], v63 offset:480
	v_pk_fma_f16 v50, v46, v69, v50
	v_pk_fma_f16 v26, v47, v69, v26
	v_mul_u32_u24_sdwa v46, v76, s44 dst_sel:DWORD dst_unused:UNUSED_PAD src0_sel:WORD_0 src1_sel:DWORD
	v_mul_u32_u24_sdwa v47, v76, s44 dst_sel:DWORD dst_unused:UNUSED_PAD src0_sel:WORD_1 src1_sel:DWORD
	v_mul_u32_u24_sdwa v69, v77, s44 dst_sel:DWORD dst_unused:UNUSED_PAD src0_sel:WORD_0 src1_sel:DWORD
	v_mul_u32_u24_sdwa v74, v77, s44 dst_sel:DWORD dst_unused:UNUSED_PAD src0_sel:WORD_1 src1_sel:DWORD
	v_pk_fma_f16 v50, v48, v46, v50
	v_pk_fma_f16 v52, v48, v47, v52
	;; [unrolled: 1-line block ×8, first 2 shown]
	ds_read2_b64 v[46:49], v28 offset0:128 offset1:160
	ds_read_b128 v[74:77], v63 offset:496
	s_waitcnt lgkmcnt(2)
	v_mul_u32_u24_sdwa v69, v70, s44 dst_sel:DWORD dst_unused:UNUSED_PAD src0_sel:WORD_0 src1_sel:DWORD
	v_mul_u32_u24_sdwa v70, v70, s44 dst_sel:DWORD dst_unused:UNUSED_PAD src0_sel:WORD_1 src1_sel:DWORD
	v_mul_u32_u24_sdwa v78, v71, s44 dst_sel:DWORD dst_unused:UNUSED_PAD src0_sel:WORD_0 src1_sel:DWORD
	v_mul_u32_u24_sdwa v71, v71, s44 dst_sel:DWORD dst_unused:UNUSED_PAD src0_sel:WORD_1 src1_sel:DWORD
	s_waitcnt lgkmcnt(1)
	v_pk_fma_f16 v50, v46, v69, v50
	v_pk_fma_f16 v52, v46, v70, v52
	;; [unrolled: 1-line block ×8, first 2 shown]
	v_mul_u32_u24_sdwa v46, v72, s44 dst_sel:DWORD dst_unused:UNUSED_PAD src0_sel:WORD_0 src1_sel:DWORD
	v_mul_u32_u24_sdwa v47, v72, s44 dst_sel:DWORD dst_unused:UNUSED_PAD src0_sel:WORD_1 src1_sel:DWORD
	v_mul_u32_u24_sdwa v69, v73, s44 dst_sel:DWORD dst_unused:UNUSED_PAD src0_sel:WORD_0 src1_sel:DWORD
	v_mul_u32_u24_sdwa v70, v73, s44 dst_sel:DWORD dst_unused:UNUSED_PAD src0_sel:WORD_1 src1_sel:DWORD
	v_pk_fma_f16 v50, v48, v46, v50
	v_pk_fma_f16 v52, v48, v47, v52
	;; [unrolled: 1-line block ×7, first 2 shown]
	ds_read2_b64 v[26:29], v28 offset0:192 offset1:224
	s_waitcnt lgkmcnt(0)
	s_barrier
	s_load_dword s4, s[8:9], 0x4
	v_pk_fma_f16 v45, v49, v69, v45
	v_mul_u32_u24_sdwa v49, v74, s44 dst_sel:DWORD dst_unused:UNUSED_PAD src0_sel:WORD_0 src1_sel:DWORD
	v_mul_u32_u24_sdwa v69, v74, s44 dst_sel:DWORD dst_unused:UNUSED_PAD src0_sel:WORD_1 src1_sel:DWORD
	v_mul_u32_u24_sdwa v70, v75, s44 dst_sel:DWORD dst_unused:UNUSED_PAD src0_sel:WORD_0 src1_sel:DWORD
	v_mul_u32_u24_sdwa v71, v75, s44 dst_sel:DWORD dst_unused:UNUSED_PAD src0_sel:WORD_1 src1_sel:DWORD
	s_waitcnt lgkmcnt(0)
	s_lshl_b32 s4, s4, 6
	v_pk_fma_f16 v50, v26, v49, v50
	v_pk_fma_f16 v52, v26, v69, v52
	;; [unrolled: 1-line block ×8, first 2 shown]
	v_mul_u32_u24_sdwa v69, v76, s44 dst_sel:DWORD dst_unused:UNUSED_PAD src0_sel:WORD_0 src1_sel:DWORD
	v_mul_u32_u24_sdwa v70, v76, s44 dst_sel:DWORD dst_unused:UNUSED_PAD src0_sel:WORD_1 src1_sel:DWORD
	v_mul_u32_u24_sdwa v71, v77, s44 dst_sel:DWORD dst_unused:UNUSED_PAD src0_sel:WORD_0 src1_sel:DWORD
	v_mul_u32_u24_sdwa v72, v77, s44 dst_sel:DWORD dst_unused:UNUSED_PAD src0_sel:WORD_1 src1_sel:DWORD
	s_add_i32 s18, s4, s18
	v_pk_fma_f16 v50, v28, v69, v50
	v_pk_fma_f16 v48, v28, v70, v52
	;; [unrolled: 1-line block ×7, first 2 shown]
	s_cmp_lt_i32 s18, s31
	v_pk_fma_f16 v46, v29, v72, v27
	s_cbranch_scc0 .LBB87_63
; %bb.57:                               ;   in Loop: Header=BB87_8 Depth=1
	v_mov_b32_e32 v26, v12
	v_mov_b32_e32 v27, v13
	;; [unrolled: 1-line block ×4, first 2 shown]
	s_branch .LBB87_8
.LBB87_58:                              ;   in Loop: Header=BB87_8 Depth=1
	v_mov_b32_e32 v15, 0
	v_cmp_nlt_f32_e64 s[10:11], |v75|, s39
                                        ; implicit-def: $vgpr78
	s_and_saveexec_b64 s[46:47], s[10:11]
	s_xor_b64 s[10:11], exec, s[46:47]
	s_cbranch_execz .LBB87_15
	s_branch .LBB87_14
.LBB87_59:                              ;   in Loop: Header=BB87_8 Depth=1
	v_mov_b32_e32 v78, 0
	v_cmp_nlt_f32_e64 s[10:11], |v73|, s39
                                        ; implicit-def: $vgpr85
	s_and_saveexec_b64 s[46:47], s[10:11]
	s_xor_b64 s[10:11], exec, s[46:47]
	s_cbranch_execz .LBB87_27
	s_branch .LBB87_26
.LBB87_60:                              ;   in Loop: Header=BB87_8 Depth=1
	v_mov_b32_e32 v72, 0
	v_cmp_nlt_f32_e64 s[10:11], |v71|, s39
                                        ; implicit-def: $vgpr87
	s_and_saveexec_b64 s[46:47], s[10:11]
	s_xor_b64 s[10:11], exec, s[46:47]
	s_cbranch_execz .LBB87_39
	s_branch .LBB87_38
.LBB87_61:                              ;   in Loop: Header=BB87_8 Depth=1
	v_mov_b32_e32 v71, 0
	v_cmp_nlt_f32_e64 s[10:11], |v29|, s39
                                        ; implicit-def: $vgpr77
	s_and_saveexec_b64 s[46:47], s[10:11]
	s_xor_b64 s[10:11], exec, s[46:47]
	s_cbranch_execz .LBB87_51
	s_branch .LBB87_50
.LBB87_62:
	v_mov_b32_e32 v12, 0xfeffffff
	v_mov_b32_e32 v13, v12
	;; [unrolled: 1-line block ×15, first 2 shown]
.LBB87_63:
	s_cmp_gt_i32 s38, s18
	s_cbranch_scc1 .LBB87_65
; %bb.64:
	v_mbcnt_hi_u32_b32 v26, -1, v54
	v_and_b32_e32 v2, 0x60, v26
	v_add_u32_e32 v27, 32, v2
	v_xor_b32_e32 v29, 16, v26
	v_xor_b32_e32 v56, 8, v26
	;; [unrolled: 1-line block ×5, first 2 shown]
	s_cbranch_execz .LBB87_66
	s_branch .LBB87_139
.LBB87_65:
                                        ; implicit-def: $vgpr26
                                        ; implicit-def: $vgpr27
                                        ; implicit-def: $vgpr29
                                        ; implicit-def: $vgpr56
                                        ; implicit-def: $vgpr57
                                        ; implicit-def: $vgpr30
                                        ; implicit-def: $vgpr28
.LBB87_66:
	s_mul_hi_i32 s5, s18, s28
	s_mul_i32 s4, s18, s28
	s_sub_i32 s31, s38, s18
	s_lshl_b64 s[4:5], s[4:5], 2
	v_add_u32_e32 v5, v1, v38
	s_mov_b64 s[6:7], src_private_base
	s_add_u32 s8, s29, s4
	v_mul_lo_u32 v6, s28, v5
	s_mov_b32 s4, 0
	s_addc_u32 s9, s30, s5
	v_ashrrev_i32_e32 v7, 31, v6
	s_mov_b32 s6, s4
	v_lshlrev_b32_e32 v24, 2, v0
	v_mov_b32_e32 v25, 0
	s_mov_b32 s5, s4
	v_mov_b32_e32 v62, s6
	v_lshl_add_u64 v[0:1], v[6:7], 2, s[8:9]
	v_mov_b32_e32 v61, s5
	v_mov_b32_e32 v60, s4
	v_lshl_add_u64 v[28:29], v[0:1], 0, v[24:25]
	v_mov_b32_e32 v57, s7
	v_cmp_gt_i32_e64 s[4:5], s31, v5
	v_mov_b32_e32 v58, 0
	scratch_store_dword off, v25, off
	scratch_store_dwordx3 off, v[60:62], off offset:4
	v_cndmask_b32_e64 v1, v57, v29, s[4:5]
	v_cndmask_b32_e64 v0, v58, v28, s[4:5]
	flat_load_dwordx4 v[0:3], v[0:1]
	v_lshl_add_u32 v6, s28, 5, v6
	s_movk_i32 s6, 0x90
	v_ashrrev_i32_e32 v7, 31, v6
	v_mad_u32_u24 v4, v5, s6, v24
	v_add_u32_e32 v5, 32, v5
	v_lshl_add_u64 v[6:7], v[6:7], 2, s[8:9]
	v_lshl_add_u64 v[26:27], v[6:7], 0, v[24:25]
	v_cmp_gt_i32_e32 vcc, s31, v5
	scratch_store_dword off, v25, off
	scratch_store_dwordx3 off, v[60:62], off offset:4
	v_cndmask_b32_e32 v7, v57, v27, vcc
	v_cndmask_b32_e32 v6, v58, v26, vcc
	v_mov_b32_e32 v56, v25
	v_mov_b32_e32 v30, v25
	;; [unrolled: 1-line block ×3, first 2 shown]
	s_mov_b64 s[6:7], 0x80
	v_lshl_add_u64 v[28:29], v[28:29], 0, s[6:7]
	v_cndmask_b32_e64 v29, v57, v29, s[4:5]
	v_cndmask_b32_e64 v28, v58, v28, s[4:5]
	v_lshl_add_u64 v[26:27], v[26:27], 0, s[6:7]
	v_cndmask_b32_e32 v27, v57, v27, vcc
	v_cndmask_b32_e32 v26, v58, v26, vcc
	s_mov_b32 s4, 0x3f200000
	s_waitcnt vmcnt(0) lgkmcnt(0)
	ds_write_b128 v4, v[0:3]
	flat_load_dwordx4 v[16:19], v[6:7]
	v_mul_u32_u24_e32 v0, 0x90, v20
	v_mov_b32_e32 v1, v25
	v_mov_b32_e32 v2, v25
	v_mov_b32_e32 v3, v25
	v_mov_b32_e32 v6, v25
	v_mov_b32_e32 v7, v25
	s_waitcnt vmcnt(0) lgkmcnt(0)
	ds_write_b128 v4, v[16:19] offset:4608
	s_waitcnt lgkmcnt(0)
	s_barrier
	ds_read_b128 v[16:19], v21 offset:9216
	ds_read_b128 v[64:67], v0
	ds_read_b128 v[68:71], v0 offset:4608
	ds_read_b128 v[72:75], v21 offset:9472
	;; [unrolled: 1-line block ×4, first 2 shown]
	s_waitcnt lgkmcnt(4)
	;;#ASMSTART
	v_dot2_f32_f16 v56, v64, v16, v56
	;;#ASMEND
	s_nop 0
	;;#ASMSTART
	v_dot2_f32_f16 v56, v65, v17, v56
	;;#ASMEND
	s_nop 0
	;;#ASMSTART
	v_dot2_f32_f16 v56, v66, v18, v56
	;;#ASMEND
	s_nop 0
	;;#ASMSTART
	v_dot2_f32_f16 v56, v67, v19, v56
	;;#ASMEND
	s_waitcnt lgkmcnt(2)
	;;#ASMSTART
	v_dot2_f32_f16 v1, v64, v72, v1
	;;#ASMEND
	s_nop 0
	;;#ASMSTART
	v_dot2_f32_f16 v1, v65, v73, v1
	;;#ASMEND
	s_nop 0
	;;#ASMSTART
	v_dot2_f32_f16 v1, v66, v74, v1
	;;#ASMEND
	s_nop 0
	;;#ASMSTART
	v_dot2_f32_f16 v1, v67, v75, v1
	;;#ASMEND
	s_waitcnt lgkmcnt(1)
	;;#ASMSTART
	v_dot2_f32_f16 v2, v64, v76, v2
	;;#ASMEND
	s_nop 0
	;;#ASMSTART
	v_dot2_f32_f16 v2, v65, v77, v2
	;;#ASMEND
	s_nop 0
	;;#ASMSTART
	v_dot2_f32_f16 v2, v66, v78, v2
	;;#ASMEND
	s_nop 0
	;;#ASMSTART
	v_dot2_f32_f16 v2, v67, v79, v2
	;;#ASMEND
	s_waitcnt lgkmcnt(0)
	;;#ASMSTART
	v_dot2_f32_f16 v3, v64, v80, v3
	;;#ASMEND
	s_nop 0
	;;#ASMSTART
	v_dot2_f32_f16 v3, v65, v81, v3
	;;#ASMEND
	s_nop 0
	;;#ASMSTART
	v_dot2_f32_f16 v3, v66, v82, v3
	;;#ASMEND
	s_nop 0
	;;#ASMSTART
	v_dot2_f32_f16 v3, v67, v83, v3
	;;#ASMEND
	;;#ASMSTART
	v_dot2_f32_f16 v30, v68, v16, v30
	;;#ASMEND
	s_nop 0
	;;#ASMSTART
	v_dot2_f32_f16 v30, v69, v17, v30
	;;#ASMEND
	s_nop 0
	;;#ASMSTART
	v_dot2_f32_f16 v30, v70, v18, v30
	;;#ASMEND
	s_nop 0
	;;#ASMSTART
	v_dot2_f32_f16 v30, v71, v19, v30
	;;#ASMEND
	;;#ASMSTART
	v_dot2_f32_f16 v5, v68, v72, v5
	;;#ASMEND
	s_nop 0
	;;#ASMSTART
	v_dot2_f32_f16 v5, v69, v73, v5
	;;#ASMEND
	s_nop 0
	;;#ASMSTART
	v_dot2_f32_f16 v5, v70, v74, v5
	;;#ASMEND
	s_nop 0
	;;#ASMSTART
	v_dot2_f32_f16 v5, v71, v75, v5
	;;#ASMEND
	;; [unrolled: 15-line block ×4, first 2 shown]
	ds_read_b128 v[16:19], v21 offset:9232
	ds_read_b128 v[64:67], v0 offset:16
	;; [unrolled: 1-line block ×6, first 2 shown]
	s_waitcnt lgkmcnt(4)
	;;#ASMSTART
	v_dot2_f32_f16 v56, v64, v16, v56
	;;#ASMEND
	s_nop 0
	;;#ASMSTART
	v_dot2_f32_f16 v56, v65, v17, v56
	;;#ASMEND
	s_nop 0
	;;#ASMSTART
	v_dot2_f32_f16 v56, v66, v18, v56
	;;#ASMEND
	s_nop 0
	;;#ASMSTART
	v_dot2_f32_f16 v56, v67, v19, v56
	;;#ASMEND
	s_waitcnt lgkmcnt(2)
	;;#ASMSTART
	v_dot2_f32_f16 v1, v64, v72, v1
	;;#ASMEND
	s_nop 0
	;;#ASMSTART
	v_dot2_f32_f16 v1, v65, v73, v1
	;;#ASMEND
	s_nop 0
	;;#ASMSTART
	v_dot2_f32_f16 v1, v66, v74, v1
	;;#ASMEND
	s_nop 0
	;;#ASMSTART
	v_dot2_f32_f16 v1, v67, v75, v1
	;;#ASMEND
	;; [unrolled: 16-line block ×4, first 2 shown]
	;;#ASMSTART
	v_dot2_f32_f16 v30, v68, v16, v30
	;;#ASMEND
	s_nop 0
	;;#ASMSTART
	v_dot2_f32_f16 v30, v69, v17, v30
	;;#ASMEND
	s_nop 0
	;;#ASMSTART
	v_dot2_f32_f16 v30, v70, v18, v30
	;;#ASMEND
	s_nop 0
	;;#ASMSTART
	v_dot2_f32_f16 v30, v71, v19, v30
	;;#ASMEND
	;;#ASMSTART
	v_dot2_f32_f16 v5, v68, v72, v5
	;;#ASMEND
	s_nop 0
	;;#ASMSTART
	v_dot2_f32_f16 v5, v69, v73, v5
	;;#ASMEND
	s_nop 0
	;;#ASMSTART
	v_dot2_f32_f16 v5, v70, v74, v5
	;;#ASMEND
	s_nop 0
	;;#ASMSTART
	v_dot2_f32_f16 v5, v71, v75, v5
	;;#ASMEND
	;; [unrolled: 15-line block ×4, first 2 shown]
	ds_read_b128 v[16:19], v21 offset:9248
	ds_read_b128 v[64:67], v0 offset:32
	;; [unrolled: 1-line block ×6, first 2 shown]
	s_waitcnt lgkmcnt(4)
	;;#ASMSTART
	v_dot2_f32_f16 v56, v64, v16, v56
	;;#ASMEND
	s_nop 0
	;;#ASMSTART
	v_dot2_f32_f16 v56, v65, v17, v56
	;;#ASMEND
	s_nop 0
	;;#ASMSTART
	v_dot2_f32_f16 v56, v66, v18, v56
	;;#ASMEND
	s_nop 0
	;;#ASMSTART
	v_dot2_f32_f16 v56, v67, v19, v56
	;;#ASMEND
	s_waitcnt lgkmcnt(2)
	;;#ASMSTART
	v_dot2_f32_f16 v1, v64, v72, v1
	;;#ASMEND
	s_nop 0
	;;#ASMSTART
	v_dot2_f32_f16 v1, v65, v73, v1
	;;#ASMEND
	s_nop 0
	;;#ASMSTART
	v_dot2_f32_f16 v1, v66, v74, v1
	;;#ASMEND
	s_nop 0
	;;#ASMSTART
	v_dot2_f32_f16 v1, v67, v75, v1
	;;#ASMEND
	;; [unrolled: 16-line block ×4, first 2 shown]
	;;#ASMSTART
	v_dot2_f32_f16 v30, v68, v16, v30
	;;#ASMEND
	s_nop 0
	;;#ASMSTART
	v_dot2_f32_f16 v30, v69, v17, v30
	;;#ASMEND
	s_nop 0
	;;#ASMSTART
	v_dot2_f32_f16 v30, v70, v18, v30
	;;#ASMEND
	s_nop 0
	;;#ASMSTART
	v_dot2_f32_f16 v30, v71, v19, v30
	;;#ASMEND
	;;#ASMSTART
	v_dot2_f32_f16 v5, v68, v72, v5
	;;#ASMEND
	s_nop 0
	;;#ASMSTART
	v_dot2_f32_f16 v5, v69, v73, v5
	;;#ASMEND
	s_nop 0
	;;#ASMSTART
	v_dot2_f32_f16 v5, v70, v74, v5
	;;#ASMEND
	s_nop 0
	;;#ASMSTART
	v_dot2_f32_f16 v5, v71, v75, v5
	;;#ASMEND
	;; [unrolled: 15-line block ×4, first 2 shown]
	ds_read_b128 v[16:19], v21 offset:9264
	ds_read_b128 v[64:67], v0 offset:48
	;; [unrolled: 1-line block ×6, first 2 shown]
	s_waitcnt lgkmcnt(4)
	;;#ASMSTART
	v_dot2_f32_f16 v56, v64, v16, v56
	;;#ASMEND
	s_nop 0
	;;#ASMSTART
	v_dot2_f32_f16 v56, v65, v17, v56
	;;#ASMEND
	s_nop 0
	;;#ASMSTART
	v_dot2_f32_f16 v56, v66, v18, v56
	;;#ASMEND
	s_nop 0
	;;#ASMSTART
	v_dot2_f32_f16 v56, v67, v19, v56
	;;#ASMEND
	s_waitcnt lgkmcnt(2)
	;;#ASMSTART
	v_dot2_f32_f16 v1, v64, v72, v1
	;;#ASMEND
	s_nop 0
	;;#ASMSTART
	v_dot2_f32_f16 v1, v65, v73, v1
	;;#ASMEND
	s_nop 0
	;;#ASMSTART
	v_dot2_f32_f16 v1, v66, v74, v1
	;;#ASMEND
	s_nop 0
	;;#ASMSTART
	v_dot2_f32_f16 v1, v67, v75, v1
	;;#ASMEND
	;; [unrolled: 16-line block ×4, first 2 shown]
	;;#ASMSTART
	v_dot2_f32_f16 v30, v68, v16, v30
	;;#ASMEND
	s_nop 0
	;;#ASMSTART
	v_dot2_f32_f16 v30, v69, v17, v30
	;;#ASMEND
	s_nop 0
	;;#ASMSTART
	v_dot2_f32_f16 v30, v70, v18, v30
	;;#ASMEND
	s_nop 0
	;;#ASMSTART
	v_dot2_f32_f16 v30, v71, v19, v30
	;;#ASMEND
	;;#ASMSTART
	v_dot2_f32_f16 v5, v68, v72, v5
	;;#ASMEND
	s_nop 0
	;;#ASMSTART
	v_dot2_f32_f16 v5, v69, v73, v5
	;;#ASMEND
	s_nop 0
	;;#ASMSTART
	v_dot2_f32_f16 v5, v70, v74, v5
	;;#ASMEND
	s_nop 0
	;;#ASMSTART
	v_dot2_f32_f16 v5, v71, v75, v5
	;;#ASMEND
	;; [unrolled: 15-line block ×4, first 2 shown]
	ds_read_b128 v[16:19], v21 offset:9280
	ds_read_b128 v[64:67], v0 offset:64
	;; [unrolled: 1-line block ×6, first 2 shown]
	s_waitcnt lgkmcnt(4)
	;;#ASMSTART
	v_dot2_f32_f16 v56, v64, v16, v56
	;;#ASMEND
	s_nop 0
	;;#ASMSTART
	v_dot2_f32_f16 v56, v65, v17, v56
	;;#ASMEND
	s_nop 0
	;;#ASMSTART
	v_dot2_f32_f16 v56, v66, v18, v56
	;;#ASMEND
	s_nop 0
	;;#ASMSTART
	v_dot2_f32_f16 v56, v67, v19, v56
	;;#ASMEND
	s_waitcnt lgkmcnt(2)
	;;#ASMSTART
	v_dot2_f32_f16 v1, v64, v72, v1
	;;#ASMEND
	s_nop 0
	;;#ASMSTART
	v_dot2_f32_f16 v1, v65, v73, v1
	;;#ASMEND
	s_nop 0
	;;#ASMSTART
	v_dot2_f32_f16 v1, v66, v74, v1
	;;#ASMEND
	s_nop 0
	;;#ASMSTART
	v_dot2_f32_f16 v1, v67, v75, v1
	;;#ASMEND
	;; [unrolled: 16-line block ×4, first 2 shown]
	;;#ASMSTART
	v_dot2_f32_f16 v30, v68, v16, v30
	;;#ASMEND
	s_nop 0
	;;#ASMSTART
	v_dot2_f32_f16 v30, v69, v17, v30
	;;#ASMEND
	s_nop 0
	;;#ASMSTART
	v_dot2_f32_f16 v30, v70, v18, v30
	;;#ASMEND
	s_nop 0
	;;#ASMSTART
	v_dot2_f32_f16 v30, v71, v19, v30
	;;#ASMEND
	;;#ASMSTART
	v_dot2_f32_f16 v5, v68, v72, v5
	;;#ASMEND
	s_nop 0
	;;#ASMSTART
	v_dot2_f32_f16 v5, v69, v73, v5
	;;#ASMEND
	s_nop 0
	;;#ASMSTART
	v_dot2_f32_f16 v5, v70, v74, v5
	;;#ASMEND
	s_nop 0
	;;#ASMSTART
	v_dot2_f32_f16 v5, v71, v75, v5
	;;#ASMEND
	;;#ASMSTART
	v_dot2_f32_f16 v6, v68, v76, v6
	;;#ASMEND
	s_nop 0
	;;#ASMSTART
	v_dot2_f32_f16 v6, v69, v77, v6
	;;#ASMEND
	s_nop 0
	;;#ASMSTART
	v_dot2_f32_f16 v6, v70, v78, v6
	;;#ASMEND
	s_nop 0
	;;#ASMSTART
	v_dot2_f32_f16 v6, v71, v79, v6
	;;#ASMEND
	;;#ASMSTART
	v_dot2_f32_f16 v7, v68, v80, v7
	;;#ASMEND
	s_nop 0
	;;#ASMSTART
	v_dot2_f32_f16 v7, v69, v81, v7
	;;#ASMEND
	s_nop 0
	;;#ASMSTART
	v_dot2_f32_f16 v7, v70, v82, v7
	;;#ASMEND
	s_nop 0
	;;#ASMSTART
	v_dot2_f32_f16 v7, v71, v83, v7
	;;#ASMEND
	ds_read_b128 v[16:19], v21 offset:9296
	ds_read_b128 v[64:67], v0 offset:80
	;; [unrolled: 1-line block ×6, first 2 shown]
	s_waitcnt lgkmcnt(4)
	;;#ASMSTART
	v_dot2_f32_f16 v56, v64, v16, v56
	;;#ASMEND
	s_nop 0
	;;#ASMSTART
	v_dot2_f32_f16 v56, v65, v17, v56
	;;#ASMEND
	s_nop 0
	;;#ASMSTART
	v_dot2_f32_f16 v56, v66, v18, v56
	;;#ASMEND
	s_nop 0
	;;#ASMSTART
	v_dot2_f32_f16 v56, v67, v19, v56
	;;#ASMEND
	s_waitcnt lgkmcnt(2)
	;;#ASMSTART
	v_dot2_f32_f16 v1, v64, v72, v1
	;;#ASMEND
	s_nop 0
	;;#ASMSTART
	v_dot2_f32_f16 v1, v65, v73, v1
	;;#ASMEND
	s_nop 0
	;;#ASMSTART
	v_dot2_f32_f16 v1, v66, v74, v1
	;;#ASMEND
	s_nop 0
	;;#ASMSTART
	v_dot2_f32_f16 v1, v67, v75, v1
	;;#ASMEND
	;; [unrolled: 16-line block ×4, first 2 shown]
	;;#ASMSTART
	v_dot2_f32_f16 v30, v68, v16, v30
	;;#ASMEND
	s_nop 0
	;;#ASMSTART
	v_dot2_f32_f16 v30, v69, v17, v30
	;;#ASMEND
	s_nop 0
	;;#ASMSTART
	v_dot2_f32_f16 v30, v70, v18, v30
	;;#ASMEND
	s_nop 0
	;;#ASMSTART
	v_dot2_f32_f16 v30, v71, v19, v30
	;;#ASMEND
	;;#ASMSTART
	v_dot2_f32_f16 v5, v68, v72, v5
	;;#ASMEND
	s_nop 0
	;;#ASMSTART
	v_dot2_f32_f16 v5, v69, v73, v5
	;;#ASMEND
	s_nop 0
	;;#ASMSTART
	v_dot2_f32_f16 v5, v70, v74, v5
	;;#ASMEND
	s_nop 0
	;;#ASMSTART
	v_dot2_f32_f16 v5, v71, v75, v5
	;;#ASMEND
	;; [unrolled: 15-line block ×4, first 2 shown]
	ds_read_b128 v[16:19], v21 offset:9312
	ds_read_b128 v[64:67], v0 offset:96
	;; [unrolled: 1-line block ×6, first 2 shown]
	s_waitcnt lgkmcnt(4)
	;;#ASMSTART
	v_dot2_f32_f16 v56, v64, v16, v56
	;;#ASMEND
	s_nop 0
	;;#ASMSTART
	v_dot2_f32_f16 v56, v65, v17, v56
	;;#ASMEND
	s_nop 0
	;;#ASMSTART
	v_dot2_f32_f16 v56, v66, v18, v56
	;;#ASMEND
	s_nop 0
	;;#ASMSTART
	v_dot2_f32_f16 v56, v67, v19, v56
	;;#ASMEND
	s_waitcnt lgkmcnt(2)
	;;#ASMSTART
	v_dot2_f32_f16 v1, v64, v72, v1
	;;#ASMEND
	s_nop 0
	;;#ASMSTART
	v_dot2_f32_f16 v1, v65, v73, v1
	;;#ASMEND
	s_nop 0
	;;#ASMSTART
	v_dot2_f32_f16 v1, v66, v74, v1
	;;#ASMEND
	s_nop 0
	;;#ASMSTART
	v_dot2_f32_f16 v1, v67, v75, v1
	;;#ASMEND
	;; [unrolled: 16-line block ×4, first 2 shown]
	;;#ASMSTART
	v_dot2_f32_f16 v30, v68, v16, v30
	;;#ASMEND
	s_nop 0
	;;#ASMSTART
	v_dot2_f32_f16 v30, v69, v17, v30
	;;#ASMEND
	s_nop 0
	;;#ASMSTART
	v_dot2_f32_f16 v30, v70, v18, v30
	;;#ASMEND
	s_nop 0
	;;#ASMSTART
	v_dot2_f32_f16 v30, v71, v19, v30
	;;#ASMEND
	;;#ASMSTART
	v_dot2_f32_f16 v5, v68, v72, v5
	;;#ASMEND
	s_nop 0
	;;#ASMSTART
	v_dot2_f32_f16 v5, v69, v73, v5
	;;#ASMEND
	s_nop 0
	;;#ASMSTART
	v_dot2_f32_f16 v5, v70, v74, v5
	;;#ASMEND
	s_nop 0
	;;#ASMSTART
	v_dot2_f32_f16 v5, v71, v75, v5
	;;#ASMEND
	;; [unrolled: 15-line block ×4, first 2 shown]
	ds_read_b128 v[16:19], v21 offset:9328
	ds_read_b128 v[64:67], v0 offset:112
	;; [unrolled: 1-line block ×6, first 2 shown]
	s_waitcnt lgkmcnt(4)
	;;#ASMSTART
	v_dot2_f32_f16 v56, v64, v16, v56
	;;#ASMEND
	s_nop 0
	;;#ASMSTART
	v_dot2_f32_f16 v56, v65, v17, v56
	;;#ASMEND
	s_nop 0
	;;#ASMSTART
	v_dot2_f32_f16 v56, v66, v18, v56
	;;#ASMEND
	s_nop 0
	;;#ASMSTART
	v_dot2_f32_f16 v56, v67, v19, v56
	;;#ASMEND
	s_waitcnt lgkmcnt(2)
	;;#ASMSTART
	v_dot2_f32_f16 v1, v64, v72, v1
	;;#ASMEND
	s_nop 0
	;;#ASMSTART
	v_dot2_f32_f16 v1, v65, v73, v1
	;;#ASMEND
	s_nop 0
	;;#ASMSTART
	v_dot2_f32_f16 v1, v66, v74, v1
	;;#ASMEND
	s_nop 0
	;;#ASMSTART
	v_dot2_f32_f16 v1, v67, v75, v1
	;;#ASMEND
	;; [unrolled: 16-line block ×4, first 2 shown]
	;;#ASMSTART
	v_dot2_f32_f16 v30, v68, v16, v30
	;;#ASMEND
	s_nop 0
	;;#ASMSTART
	v_dot2_f32_f16 v30, v69, v17, v30
	;;#ASMEND
	s_nop 0
	;;#ASMSTART
	v_dot2_f32_f16 v30, v70, v18, v30
	;;#ASMEND
	s_nop 0
	;;#ASMSTART
	v_dot2_f32_f16 v30, v71, v19, v30
	;;#ASMEND
	;;#ASMSTART
	v_dot2_f32_f16 v5, v68, v72, v5
	;;#ASMEND
	s_nop 0
	;;#ASMSTART
	v_dot2_f32_f16 v5, v69, v73, v5
	;;#ASMEND
	s_nop 0
	;;#ASMSTART
	v_dot2_f32_f16 v5, v70, v74, v5
	;;#ASMEND
	s_nop 0
	;;#ASMSTART
	v_dot2_f32_f16 v5, v71, v75, v5
	;;#ASMEND
	;; [unrolled: 15-line block ×4, first 2 shown]
	s_barrier
	scratch_store_dword off, v25, off
	scratch_store_dwordx3 off, v[60:62], off offset:4
	flat_load_dwordx4 v[16:19], v[28:29]
	s_nop 0
	scratch_store_dword off, v25, off
	scratch_store_dwordx3 off, v[60:62], off offset:4
	s_waitcnt vmcnt(0) lgkmcnt(0)
	ds_write_b128 v4, v[16:19]
	flat_load_dwordx4 v[16:19], v[26:27]
	s_waitcnt vmcnt(0) lgkmcnt(0)
	ds_write_b128 v4, v[16:19] offset:4608
	s_waitcnt lgkmcnt(0)
	s_barrier
	ds_read_b128 v[16:19], v21 offset:9344
	ds_read_b128 v[24:27], v0
	ds_read_b128 v[58:61], v0 offset:4608
	ds_read_b128 v[62:65], v21 offset:9600
	;; [unrolled: 1-line block ×4, first 2 shown]
	s_waitcnt lgkmcnt(4)
	;;#ASMSTART
	v_dot2_f32_f16 v56, v24, v16, v56
	;;#ASMEND
	s_nop 0
	;;#ASMSTART
	v_dot2_f32_f16 v56, v25, v17, v56
	;;#ASMEND
	s_nop 0
	;;#ASMSTART
	v_dot2_f32_f16 v56, v26, v18, v56
	;;#ASMEND
	s_nop 0
	;;#ASMSTART
	v_dot2_f32_f16 v56, v27, v19, v56
	;;#ASMEND
	s_waitcnt lgkmcnt(2)
	;;#ASMSTART
	v_dot2_f32_f16 v1, v24, v62, v1
	;;#ASMEND
	s_nop 0
	;;#ASMSTART
	v_dot2_f32_f16 v1, v25, v63, v1
	;;#ASMEND
	s_nop 0
	;;#ASMSTART
	v_dot2_f32_f16 v1, v26, v64, v1
	;;#ASMEND
	s_nop 0
	;;#ASMSTART
	v_dot2_f32_f16 v1, v27, v65, v1
	;;#ASMEND
	s_waitcnt lgkmcnt(1)
	;;#ASMSTART
	v_dot2_f32_f16 v2, v24, v66, v2
	;;#ASMEND
	s_nop 0
	;;#ASMSTART
	v_dot2_f32_f16 v2, v25, v67, v2
	;;#ASMEND
	s_nop 0
	;;#ASMSTART
	v_dot2_f32_f16 v2, v26, v68, v2
	;;#ASMEND
	s_nop 0
	;;#ASMSTART
	v_dot2_f32_f16 v2, v27, v69, v2
	;;#ASMEND
	s_waitcnt lgkmcnt(0)
	;;#ASMSTART
	v_dot2_f32_f16 v3, v24, v70, v3
	;;#ASMEND
	s_nop 0
	;;#ASMSTART
	v_dot2_f32_f16 v3, v25, v71, v3
	;;#ASMEND
	s_nop 0
	;;#ASMSTART
	v_dot2_f32_f16 v3, v26, v72, v3
	;;#ASMEND
	s_nop 0
	;;#ASMSTART
	v_dot2_f32_f16 v3, v27, v73, v3
	;;#ASMEND
	;;#ASMSTART
	v_dot2_f32_f16 v30, v58, v16, v30
	;;#ASMEND
	s_nop 0
	;;#ASMSTART
	v_dot2_f32_f16 v30, v59, v17, v30
	;;#ASMEND
	s_nop 0
	;;#ASMSTART
	v_dot2_f32_f16 v30, v60, v18, v30
	;;#ASMEND
	s_nop 0
	;;#ASMSTART
	v_dot2_f32_f16 v30, v61, v19, v30
	;;#ASMEND
	;;#ASMSTART
	v_dot2_f32_f16 v5, v58, v62, v5
	;;#ASMEND
	s_nop 0
	;;#ASMSTART
	v_dot2_f32_f16 v5, v59, v63, v5
	;;#ASMEND
	s_nop 0
	;;#ASMSTART
	v_dot2_f32_f16 v5, v60, v64, v5
	;;#ASMEND
	s_nop 0
	;;#ASMSTART
	v_dot2_f32_f16 v5, v61, v65, v5
	;;#ASMEND
	;; [unrolled: 15-line block ×4, first 2 shown]
	ds_read_b128 v[16:19], v21 offset:9360
	ds_read_b128 v[24:27], v0 offset:16
	;; [unrolled: 1-line block ×6, first 2 shown]
	s_waitcnt lgkmcnt(4)
	;;#ASMSTART
	v_dot2_f32_f16 v56, v24, v16, v56
	;;#ASMEND
	s_nop 0
	;;#ASMSTART
	v_dot2_f32_f16 v56, v25, v17, v56
	;;#ASMEND
	s_nop 0
	;;#ASMSTART
	v_dot2_f32_f16 v56, v26, v18, v56
	;;#ASMEND
	s_nop 0
	;;#ASMSTART
	v_dot2_f32_f16 v56, v27, v19, v56
	;;#ASMEND
	s_waitcnt lgkmcnt(2)
	;;#ASMSTART
	v_dot2_f32_f16 v1, v24, v62, v1
	;;#ASMEND
	s_nop 0
	;;#ASMSTART
	v_dot2_f32_f16 v1, v25, v63, v1
	;;#ASMEND
	s_nop 0
	;;#ASMSTART
	v_dot2_f32_f16 v1, v26, v64, v1
	;;#ASMEND
	s_nop 0
	;;#ASMSTART
	v_dot2_f32_f16 v1, v27, v65, v1
	;;#ASMEND
	s_waitcnt lgkmcnt(1)
	;;#ASMSTART
	v_dot2_f32_f16 v2, v24, v66, v2
	;;#ASMEND
	s_nop 0
	;;#ASMSTART
	v_dot2_f32_f16 v2, v25, v67, v2
	;;#ASMEND
	s_nop 0
	;;#ASMSTART
	v_dot2_f32_f16 v2, v26, v68, v2
	;;#ASMEND
	s_nop 0
	;;#ASMSTART
	v_dot2_f32_f16 v2, v27, v69, v2
	;;#ASMEND
	s_waitcnt lgkmcnt(0)
	;;#ASMSTART
	v_dot2_f32_f16 v3, v24, v70, v3
	;;#ASMEND
	s_nop 0
	;;#ASMSTART
	v_dot2_f32_f16 v3, v25, v71, v3
	;;#ASMEND
	s_nop 0
	;;#ASMSTART
	v_dot2_f32_f16 v3, v26, v72, v3
	;;#ASMEND
	s_nop 0
	;;#ASMSTART
	v_dot2_f32_f16 v3, v27, v73, v3
	;;#ASMEND
	;;#ASMSTART
	v_dot2_f32_f16 v30, v58, v16, v30
	;;#ASMEND
	s_nop 0
	;;#ASMSTART
	v_dot2_f32_f16 v30, v59, v17, v30
	;;#ASMEND
	s_nop 0
	;;#ASMSTART
	v_dot2_f32_f16 v30, v60, v18, v30
	;;#ASMEND
	s_nop 0
	;;#ASMSTART
	v_dot2_f32_f16 v30, v61, v19, v30
	;;#ASMEND
	;;#ASMSTART
	v_dot2_f32_f16 v5, v58, v62, v5
	;;#ASMEND
	s_nop 0
	;;#ASMSTART
	v_dot2_f32_f16 v5, v59, v63, v5
	;;#ASMEND
	s_nop 0
	;;#ASMSTART
	v_dot2_f32_f16 v5, v60, v64, v5
	;;#ASMEND
	s_nop 0
	;;#ASMSTART
	v_dot2_f32_f16 v5, v61, v65, v5
	;;#ASMEND
	;; [unrolled: 15-line block ×4, first 2 shown]
	ds_read_b128 v[16:19], v21 offset:9376
	ds_read_b128 v[24:27], v0 offset:32
	;; [unrolled: 1-line block ×6, first 2 shown]
	s_waitcnt lgkmcnt(4)
	;;#ASMSTART
	v_dot2_f32_f16 v56, v24, v16, v56
	;;#ASMEND
	s_nop 0
	;;#ASMSTART
	v_dot2_f32_f16 v56, v25, v17, v56
	;;#ASMEND
	s_nop 0
	;;#ASMSTART
	v_dot2_f32_f16 v56, v26, v18, v56
	;;#ASMEND
	s_nop 0
	;;#ASMSTART
	v_dot2_f32_f16 v56, v27, v19, v56
	;;#ASMEND
	s_waitcnt lgkmcnt(2)
	;;#ASMSTART
	v_dot2_f32_f16 v1, v24, v62, v1
	;;#ASMEND
	s_nop 0
	;;#ASMSTART
	v_dot2_f32_f16 v1, v25, v63, v1
	;;#ASMEND
	s_nop 0
	;;#ASMSTART
	v_dot2_f32_f16 v1, v26, v64, v1
	;;#ASMEND
	s_nop 0
	;;#ASMSTART
	v_dot2_f32_f16 v1, v27, v65, v1
	;;#ASMEND
	;; [unrolled: 16-line block ×4, first 2 shown]
	;;#ASMSTART
	v_dot2_f32_f16 v30, v58, v16, v30
	;;#ASMEND
	s_nop 0
	;;#ASMSTART
	v_dot2_f32_f16 v30, v59, v17, v30
	;;#ASMEND
	s_nop 0
	;;#ASMSTART
	v_dot2_f32_f16 v30, v60, v18, v30
	;;#ASMEND
	s_nop 0
	;;#ASMSTART
	v_dot2_f32_f16 v30, v61, v19, v30
	;;#ASMEND
	;;#ASMSTART
	v_dot2_f32_f16 v5, v58, v62, v5
	;;#ASMEND
	s_nop 0
	;;#ASMSTART
	v_dot2_f32_f16 v5, v59, v63, v5
	;;#ASMEND
	s_nop 0
	;;#ASMSTART
	v_dot2_f32_f16 v5, v60, v64, v5
	;;#ASMEND
	s_nop 0
	;;#ASMSTART
	v_dot2_f32_f16 v5, v61, v65, v5
	;;#ASMEND
	;;#ASMSTART
	v_dot2_f32_f16 v6, v58, v66, v6
	;;#ASMEND
	s_nop 0
	;;#ASMSTART
	v_dot2_f32_f16 v6, v59, v67, v6
	;;#ASMEND
	s_nop 0
	;;#ASMSTART
	v_dot2_f32_f16 v6, v60, v68, v6
	;;#ASMEND
	s_nop 0
	;;#ASMSTART
	v_dot2_f32_f16 v6, v61, v69, v6
	;;#ASMEND
	;;#ASMSTART
	v_dot2_f32_f16 v7, v58, v70, v7
	;;#ASMEND
	s_nop 0
	;;#ASMSTART
	v_dot2_f32_f16 v7, v59, v71, v7
	;;#ASMEND
	s_nop 0
	;;#ASMSTART
	v_dot2_f32_f16 v7, v60, v72, v7
	;;#ASMEND
	s_nop 0
	;;#ASMSTART
	v_dot2_f32_f16 v7, v61, v73, v7
	;;#ASMEND
	ds_read_b128 v[16:19], v21 offset:9392
	ds_read_b128 v[24:27], v0 offset:48
	;; [unrolled: 1-line block ×6, first 2 shown]
	s_waitcnt lgkmcnt(4)
	;;#ASMSTART
	v_dot2_f32_f16 v56, v24, v16, v56
	;;#ASMEND
	s_nop 0
	;;#ASMSTART
	v_dot2_f32_f16 v56, v25, v17, v56
	;;#ASMEND
	s_nop 0
	;;#ASMSTART
	v_dot2_f32_f16 v56, v26, v18, v56
	;;#ASMEND
	s_nop 0
	;;#ASMSTART
	v_dot2_f32_f16 v56, v27, v19, v56
	;;#ASMEND
	s_waitcnt lgkmcnt(2)
	;;#ASMSTART
	v_dot2_f32_f16 v1, v24, v62, v1
	;;#ASMEND
	s_nop 0
	;;#ASMSTART
	v_dot2_f32_f16 v1, v25, v63, v1
	;;#ASMEND
	s_nop 0
	;;#ASMSTART
	v_dot2_f32_f16 v1, v26, v64, v1
	;;#ASMEND
	s_nop 0
	;;#ASMSTART
	v_dot2_f32_f16 v1, v27, v65, v1
	;;#ASMEND
	;; [unrolled: 16-line block ×4, first 2 shown]
	;;#ASMSTART
	v_dot2_f32_f16 v30, v58, v16, v30
	;;#ASMEND
	s_nop 0
	;;#ASMSTART
	v_dot2_f32_f16 v30, v59, v17, v30
	;;#ASMEND
	s_nop 0
	;;#ASMSTART
	v_dot2_f32_f16 v30, v60, v18, v30
	;;#ASMEND
	s_nop 0
	;;#ASMSTART
	v_dot2_f32_f16 v30, v61, v19, v30
	;;#ASMEND
	;;#ASMSTART
	v_dot2_f32_f16 v5, v58, v62, v5
	;;#ASMEND
	s_nop 0
	;;#ASMSTART
	v_dot2_f32_f16 v5, v59, v63, v5
	;;#ASMEND
	s_nop 0
	;;#ASMSTART
	v_dot2_f32_f16 v5, v60, v64, v5
	;;#ASMEND
	s_nop 0
	;;#ASMSTART
	v_dot2_f32_f16 v5, v61, v65, v5
	;;#ASMEND
	;; [unrolled: 15-line block ×4, first 2 shown]
	ds_read_b128 v[16:19], v21 offset:9408
	ds_read_b128 v[24:27], v0 offset:64
	;; [unrolled: 1-line block ×6, first 2 shown]
	s_waitcnt lgkmcnt(4)
	;;#ASMSTART
	v_dot2_f32_f16 v56, v24, v16, v56
	;;#ASMEND
	s_nop 0
	;;#ASMSTART
	v_dot2_f32_f16 v56, v25, v17, v56
	;;#ASMEND
	s_nop 0
	;;#ASMSTART
	v_dot2_f32_f16 v56, v26, v18, v56
	;;#ASMEND
	s_nop 0
	;;#ASMSTART
	v_dot2_f32_f16 v56, v27, v19, v56
	;;#ASMEND
	s_waitcnt lgkmcnt(2)
	;;#ASMSTART
	v_dot2_f32_f16 v1, v24, v62, v1
	;;#ASMEND
	s_nop 0
	;;#ASMSTART
	v_dot2_f32_f16 v1, v25, v63, v1
	;;#ASMEND
	s_nop 0
	;;#ASMSTART
	v_dot2_f32_f16 v1, v26, v64, v1
	;;#ASMEND
	s_nop 0
	;;#ASMSTART
	v_dot2_f32_f16 v1, v27, v65, v1
	;;#ASMEND
	;; [unrolled: 16-line block ×4, first 2 shown]
	;;#ASMSTART
	v_dot2_f32_f16 v30, v58, v16, v30
	;;#ASMEND
	s_nop 0
	;;#ASMSTART
	v_dot2_f32_f16 v30, v59, v17, v30
	;;#ASMEND
	s_nop 0
	;;#ASMSTART
	v_dot2_f32_f16 v30, v60, v18, v30
	;;#ASMEND
	s_nop 0
	;;#ASMSTART
	v_dot2_f32_f16 v30, v61, v19, v30
	;;#ASMEND
	;;#ASMSTART
	v_dot2_f32_f16 v5, v58, v62, v5
	;;#ASMEND
	s_nop 0
	;;#ASMSTART
	v_dot2_f32_f16 v5, v59, v63, v5
	;;#ASMEND
	s_nop 0
	;;#ASMSTART
	v_dot2_f32_f16 v5, v60, v64, v5
	;;#ASMEND
	s_nop 0
	;;#ASMSTART
	v_dot2_f32_f16 v5, v61, v65, v5
	;;#ASMEND
	;; [unrolled: 15-line block ×4, first 2 shown]
	ds_read_b128 v[16:19], v21 offset:9424
	ds_read_b128 v[24:27], v0 offset:80
	;; [unrolled: 1-line block ×6, first 2 shown]
	s_waitcnt lgkmcnt(4)
	;;#ASMSTART
	v_dot2_f32_f16 v56, v24, v16, v56
	;;#ASMEND
	s_nop 0
	;;#ASMSTART
	v_dot2_f32_f16 v56, v25, v17, v56
	;;#ASMEND
	s_nop 0
	;;#ASMSTART
	v_dot2_f32_f16 v56, v26, v18, v56
	;;#ASMEND
	s_nop 0
	;;#ASMSTART
	v_dot2_f32_f16 v56, v27, v19, v56
	;;#ASMEND
	s_waitcnt lgkmcnt(2)
	;;#ASMSTART
	v_dot2_f32_f16 v1, v24, v62, v1
	;;#ASMEND
	s_nop 0
	;;#ASMSTART
	v_dot2_f32_f16 v1, v25, v63, v1
	;;#ASMEND
	s_nop 0
	;;#ASMSTART
	v_dot2_f32_f16 v1, v26, v64, v1
	;;#ASMEND
	s_nop 0
	;;#ASMSTART
	v_dot2_f32_f16 v1, v27, v65, v1
	;;#ASMEND
	;; [unrolled: 16-line block ×4, first 2 shown]
	;;#ASMSTART
	v_dot2_f32_f16 v30, v58, v16, v30
	;;#ASMEND
	s_nop 0
	;;#ASMSTART
	v_dot2_f32_f16 v30, v59, v17, v30
	;;#ASMEND
	s_nop 0
	;;#ASMSTART
	v_dot2_f32_f16 v30, v60, v18, v30
	;;#ASMEND
	s_nop 0
	;;#ASMSTART
	v_dot2_f32_f16 v30, v61, v19, v30
	;;#ASMEND
	;;#ASMSTART
	v_dot2_f32_f16 v5, v58, v62, v5
	;;#ASMEND
	s_nop 0
	;;#ASMSTART
	v_dot2_f32_f16 v5, v59, v63, v5
	;;#ASMEND
	s_nop 0
	;;#ASMSTART
	v_dot2_f32_f16 v5, v60, v64, v5
	;;#ASMEND
	s_nop 0
	;;#ASMSTART
	v_dot2_f32_f16 v5, v61, v65, v5
	;;#ASMEND
	;; [unrolled: 15-line block ×4, first 2 shown]
	ds_read_b128 v[16:19], v21 offset:9440
	ds_read_b128 v[24:27], v0 offset:96
	;; [unrolled: 1-line block ×6, first 2 shown]
	s_waitcnt lgkmcnt(4)
	;;#ASMSTART
	v_dot2_f32_f16 v56, v24, v16, v56
	;;#ASMEND
	s_nop 0
	;;#ASMSTART
	v_dot2_f32_f16 v56, v25, v17, v56
	;;#ASMEND
	s_nop 0
	;;#ASMSTART
	v_dot2_f32_f16 v56, v26, v18, v56
	;;#ASMEND
	s_nop 0
	;;#ASMSTART
	v_dot2_f32_f16 v56, v27, v19, v56
	;;#ASMEND
	s_waitcnt lgkmcnt(2)
	;;#ASMSTART
	v_dot2_f32_f16 v1, v24, v62, v1
	;;#ASMEND
	s_nop 0
	;;#ASMSTART
	v_dot2_f32_f16 v1, v25, v63, v1
	;;#ASMEND
	s_nop 0
	;;#ASMSTART
	v_dot2_f32_f16 v1, v26, v64, v1
	;;#ASMEND
	s_nop 0
	;;#ASMSTART
	v_dot2_f32_f16 v1, v27, v65, v1
	;;#ASMEND
	;; [unrolled: 16-line block ×4, first 2 shown]
	;;#ASMSTART
	v_dot2_f32_f16 v30, v58, v16, v30
	;;#ASMEND
	s_nop 0
	;;#ASMSTART
	v_dot2_f32_f16 v30, v59, v17, v30
	;;#ASMEND
	s_nop 0
	;;#ASMSTART
	v_dot2_f32_f16 v30, v60, v18, v30
	;;#ASMEND
	s_nop 0
	;;#ASMSTART
	v_dot2_f32_f16 v30, v61, v19, v30
	;;#ASMEND
	;;#ASMSTART
	v_dot2_f32_f16 v5, v58, v62, v5
	;;#ASMEND
	s_nop 0
	;;#ASMSTART
	v_dot2_f32_f16 v5, v59, v63, v5
	;;#ASMEND
	s_nop 0
	;;#ASMSTART
	v_dot2_f32_f16 v5, v60, v64, v5
	;;#ASMEND
	s_nop 0
	;;#ASMSTART
	v_dot2_f32_f16 v5, v61, v65, v5
	;;#ASMEND
	;; [unrolled: 15-line block ×4, first 2 shown]
	ds_read_b128 v[16:19], v21 offset:9456
	ds_read_b128 v[24:27], v0 offset:112
	;; [unrolled: 1-line block ×6, first 2 shown]
	s_waitcnt lgkmcnt(4)
	;;#ASMSTART
	v_dot2_f32_f16 v56, v24, v16, v56
	;;#ASMEND
                                        ; implicit-def: $vgpr0
	s_nop 0
	;;#ASMSTART
	v_dot2_f32_f16 v56, v25, v17, v56
	;;#ASMEND
	s_nop 0
	;;#ASMSTART
	v_dot2_f32_f16 v56, v26, v18, v56
	;;#ASMEND
	;; [unrolled: 4-line block ×3, first 2 shown]
	s_waitcnt lgkmcnt(2)
	;;#ASMSTART
	v_dot2_f32_f16 v1, v24, v62, v1
	;;#ASMEND
	s_nop 0
	;;#ASMSTART
	v_dot2_f32_f16 v1, v25, v63, v1
	;;#ASMEND
	v_cmp_nlt_f32_e64 s[4:5], |v56|, s4
	;;#ASMSTART
	v_dot2_f32_f16 v1, v26, v64, v1
	;;#ASMEND
	s_nop 0
	;;#ASMSTART
	v_dot2_f32_f16 v1, v27, v65, v1
	;;#ASMEND
	s_waitcnt lgkmcnt(1)
	;;#ASMSTART
	v_dot2_f32_f16 v2, v24, v66, v2
	;;#ASMEND
	s_nop 0
	;;#ASMSTART
	v_dot2_f32_f16 v2, v25, v67, v2
	;;#ASMEND
	s_nop 0
	;; [unrolled: 4-line block ×3, first 2 shown]
	;;#ASMSTART
	v_dot2_f32_f16 v2, v27, v69, v2
	;;#ASMEND
	s_waitcnt lgkmcnt(0)
	;;#ASMSTART
	v_dot2_f32_f16 v3, v24, v70, v3
	;;#ASMEND
	s_nop 0
	;;#ASMSTART
	v_dot2_f32_f16 v3, v25, v71, v3
	;;#ASMEND
	s_nop 0
	;;#ASMSTART
	v_dot2_f32_f16 v3, v26, v72, v3
	;;#ASMEND
	s_nop 0
	;;#ASMSTART
	v_dot2_f32_f16 v3, v27, v73, v3
	;;#ASMEND
	;;#ASMSTART
	v_dot2_f32_f16 v30, v58, v16, v30
	;;#ASMEND
	s_nop 0
	;;#ASMSTART
	v_dot2_f32_f16 v30, v59, v17, v30
	;;#ASMEND
	s_nop 0
	;;#ASMSTART
	v_dot2_f32_f16 v30, v60, v18, v30
	;;#ASMEND
	s_nop 0
	;;#ASMSTART
	v_dot2_f32_f16 v30, v61, v19, v30
	;;#ASMEND
	;; [unrolled: 15-line block ×5, first 2 shown]
	s_and_saveexec_b64 s[6:7], s[4:5]
	s_xor_b64 s[4:5], exec, s[6:7]
	s_cbranch_execz .LBB87_68
; %bb.67:
	v_add_f32_e64 v0, |v56|, |v56|
	v_mul_f32_e32 v4, 0x3fb8aa3b, v0
	s_mov_b32 s6, 0x3fb8aa3b
	v_rndne_f32_e32 v16, v4
	v_sub_f32_e32 v17, v4, v16
	v_fma_f32 v4, v0, s6, -v4
	v_fmamk_f32 v4, v0, 0x32a5705f, v4
	v_add_f32_e32 v4, v17, v4
	v_exp_f32_e32 v4, v4
	v_cvt_i32_f32_e32 v16, v16
	s_mov_b32 s6, 0xc2ce8ed0
	v_cmp_ngt_f32_e32 vcc, s6, v0
	s_mov_b32 s6, 0x42b17218
	v_ldexp_f32 v4, v4, v16
	v_cndmask_b32_e32 v4, 0, v4, vcc
	v_mov_b32_e32 v16, 0x7f800000
	v_cmp_nlt_f32_e32 vcc, s6, v0
	s_nop 1
	v_cndmask_b32_e32 v0, v16, v4, vcc
	v_add_f32_e32 v0, 1.0, v0
	v_rcp_f32_e32 v0, v0
	s_nop 0
	v_fma_f32 v0, v0, -2.0, 1.0
.LBB87_68:
	s_andn2_saveexec_b64 s[4:5], s[4:5]
; %bb.69:
	v_mul_f32_e32 v0, v56, v56
	v_mov_b32_e32 v4, 0x3ca908c9
	v_fmac_f32_e32 v4, 0xbbbac73d, v0
	v_fmaak_f32 v4, v0, v4, 0xbd5c1c4e
	v_fmaak_f32 v4, v0, v4, 0x3e088382
	;; [unrolled: 1-line block ×3, first 2 shown]
	v_mul_f32_e64 v4, |v56|, v4
	v_fma_f32 v0, v0, v4, |v56|
; %bb.70:
	s_or_b64 exec, exec, s[4:5]
	s_cmp_lg_u64 s[36:37], 0
	s_brev_b32 s4, -2
	s_cselect_b64 s[6:7], -1, 0
	v_bfi_b32 v0, s4, v0, v56
	v_cndmask_b32_e64 v4, 0, 1, s[6:7]
	v_mov_b64_e32 v[18:19], v[14:15]
	v_add_u32_e32 v24, s18, v55
	v_mul_f32_e32 v0, s15, v0
	v_cmp_gt_i32_e64 s[4:5], s31, v20
	v_cmp_ne_u32_e64 s[8:9], 1, v4
	v_mov_b64_e32 v[16:17], v[12:13]
	s_and_saveexec_b64 s[6:7], s[4:5]
	s_cbranch_execz .LBB87_75
; %bb.71:
	s_and_b64 vcc, exec, s[8:9]
	s_cbranch_vccnz .LBB87_73
; %bb.72:
	v_add_u32_e32 v16, v24, v20
	v_ashrrev_i32_e32 v17, 31, v16
	v_lshl_add_u64 v[16:17], v[16:17], 1, s[36:37]
	global_load_ushort v4, v[16:17], off
	s_waitcnt vmcnt(0)
	v_cvt_f32_f16_e32 v4, v4
	v_mul_f32_e32 v4, v43, v4
	s_branch .LBB87_74
.LBB87_73:
	v_mov_b32_e32 v4, 0
.LBB87_74:
	v_add_f32_e32 v0, v0, v4
	v_add_f32_e32 v4, 0x40051340, v0
	v_max_f32_e32 v16, v12, v12
	v_max_f32_e32 v4, v16, v4
	v_mov_b64_e32 v[18:19], v[14:15]
	v_mov_b64_e32 v[16:17], v[12:13]
	v_mov_b32_e32 v16, v4
.LBB87_75:
	s_or_b64 exec, exec, s[6:7]
	s_mov_b32 s6, 0x3f200000
	v_cmp_nlt_f32_e64 s[6:7], |v30|, s6
                                        ; implicit-def: $vgpr4
	s_and_saveexec_b64 s[10:11], s[6:7]
	s_xor_b64 s[6:7], exec, s[10:11]
	s_cbranch_execz .LBB87_77
; %bb.76:
	v_add_f32_e64 v4, |v30|, |v30|
	v_mul_f32_e32 v21, 0x3fb8aa3b, v4
	s_mov_b32 s10, 0x3fb8aa3b
	v_rndne_f32_e32 v25, v21
	v_sub_f32_e32 v26, v21, v25
	v_fma_f32 v21, v4, s10, -v21
	v_fmamk_f32 v21, v4, 0x32a5705f, v21
	v_add_f32_e32 v21, v26, v21
	v_exp_f32_e32 v21, v21
	v_cvt_i32_f32_e32 v25, v25
	s_mov_b32 s10, 0xc2ce8ed0
	v_cmp_ngt_f32_e32 vcc, s10, v4
	s_mov_b32 s10, 0x42b17218
	v_ldexp_f32 v21, v21, v25
	v_cndmask_b32_e32 v21, 0, v21, vcc
	v_mov_b32_e32 v25, 0x7f800000
	v_cmp_nlt_f32_e32 vcc, s10, v4
	s_nop 1
	v_cndmask_b32_e32 v4, v25, v21, vcc
	v_add_f32_e32 v4, 1.0, v4
	v_rcp_f32_e32 v4, v4
	s_nop 0
	v_fma_f32 v4, v4, -2.0, 1.0
.LBB87_77:
	s_andn2_saveexec_b64 s[6:7], s[6:7]
; %bb.78:
	v_mul_f32_e32 v4, v30, v30
	v_mov_b32_e32 v21, 0x3ca908c9
	v_fmac_f32_e32 v21, 0xbbbac73d, v4
	v_fmaak_f32 v21, v4, v21, 0xbd5c1c4e
	v_fmaak_f32 v21, v4, v21, 0x3e088382
	;; [unrolled: 1-line block ×3, first 2 shown]
	v_mul_f32_e64 v21, |v30|, v21
	v_fma_f32 v4, v4, v21, |v30|
; %bb.79:
	s_or_b64 exec, exec, s[6:7]
	s_brev_b32 s6, -2
	v_add_u32_e32 v55, 32, v20
	v_bfi_b32 v4, s6, v4, v30
	v_mul_f32_e32 v4, s15, v4
	v_cmp_gt_i32_e64 s[6:7], s31, v55
	s_and_saveexec_b64 s[10:11], s[6:7]
	s_cbranch_execz .LBB87_84
; %bb.80:
	s_and_b64 vcc, exec, s[8:9]
	s_cbranch_vccnz .LBB87_82
; %bb.81:
	v_ashrrev_i32_e32 v25, 31, v24
	v_mov_b32_e32 v21, 0
	v_lshl_add_u64 v[24:25], v[24:25], 0, v[20:21]
	v_lshl_add_u64 v[24:25], v[24:25], 1, s[36:37]
	global_load_ushort v21, v[24:25], off offset:64
	s_waitcnt vmcnt(0)
	v_cvt_f32_f16_e32 v21, v21
	v_mul_f32_e32 v21, v43, v21
	s_branch .LBB87_83
.LBB87_82:
	v_mov_b32_e32 v21, 0
.LBB87_83:
	v_add_f32_e32 v4, v4, v21
	v_add_f32_e32 v21, 0x40051340, v4
	v_max_f32_e32 v16, v16, v16
	v_max_f32_e32 v16, v16, v21
.LBB87_84:
	s_or_b64 exec, exec, s[10:11]
	v_mbcnt_hi_u32_b32 v26, -1, v54
	v_and_b32_e32 v21, 0x60, v26
	v_add_u32_e32 v27, 32, v21
	v_xor_b32_e32 v29, 16, v26
	v_cmp_lt_i32_e32 vcc, v29, v27
	v_xor_b32_e32 v56, 8, v26
	v_xor_b32_e32 v57, 4, v26
	v_cndmask_b32_e32 v21, v26, v29, vcc
	v_lshlrev_b32_e32 v59, 2, v21
	ds_bpermute_b32 v21, v59, v16
	v_cmp_lt_i32_e32 vcc, v56, v27
	v_max_f32_e32 v16, v16, v16
	v_xor_b32_e32 v30, 2, v26
	v_cndmask_b32_e32 v24, v26, v56, vcc
	s_waitcnt lgkmcnt(0)
	v_max_f32_e32 v21, v21, v21
	v_lshlrev_b32_e32 v61, 2, v24
	v_max_f32_e32 v16, v16, v21
	ds_bpermute_b32 v21, v61, v16
	v_cmp_lt_i32_e32 vcc, v57, v27
	v_xor_b32_e32 v28, 1, v26
	s_mov_b32 s10, 0x3f200000
	v_cndmask_b32_e32 v24, v26, v57, vcc
	s_waitcnt lgkmcnt(0)
	v_max_f32_e32 v21, v21, v21
	v_lshlrev_b32_e32 v60, 2, v24
	v_max_f32_e32 v16, v16, v21
	ds_bpermute_b32 v21, v60, v16
	v_cmp_lt_i32_e32 vcc, v30, v27
	v_cmp_nlt_f32_e64 s[10:11], |v1|, s10
                                        ; implicit-def: $vgpr25
	s_waitcnt lgkmcnt(0)
	v_max_f32_e32 v21, v21, v21
	v_cndmask_b32_e32 v24, v26, v30, vcc
	v_lshlrev_b32_e32 v58, 2, v24
	v_max_f32_e32 v16, v16, v21
	ds_bpermute_b32 v21, v58, v16
	v_cmp_lt_i32_e32 vcc, v28, v27
	s_waitcnt lgkmcnt(0)
	v_max_f32_e32 v21, v21, v21
	v_cndmask_b32_e32 v24, v26, v28, vcc
	v_lshlrev_b32_e32 v54, 2, v24
	v_max_f32_e32 v16, v16, v21
	ds_bpermute_b32 v21, v54, v16
	s_and_saveexec_b64 s[28:29], s[10:11]
	s_xor_b64 s[10:11], exec, s[28:29]
	s_cbranch_execz .LBB87_86
; %bb.85:
	v_add_f32_e64 v24, |v1|, |v1|
	v_mul_f32_e32 v25, 0x3fb8aa3b, v24
	s_mov_b32 s28, 0x3fb8aa3b
	v_rndne_f32_e32 v62, v25
	v_sub_f32_e32 v63, v25, v62
	v_fma_f32 v25, v24, s28, -v25
	v_fmamk_f32 v25, v24, 0x32a5705f, v25
	v_add_f32_e32 v25, v63, v25
	v_exp_f32_e32 v25, v25
	v_cvt_i32_f32_e32 v62, v62
	s_mov_b32 s28, 0xc2ce8ed0
	v_cmp_ngt_f32_e32 vcc, s28, v24
	s_mov_b32 s28, 0x42b17218
	v_ldexp_f32 v25, v25, v62
	v_cndmask_b32_e32 v25, 0, v25, vcc
	v_mov_b32_e32 v62, 0x7f800000
	v_cmp_nlt_f32_e32 vcc, s28, v24
	s_nop 1
	v_cndmask_b32_e32 v24, v62, v25, vcc
	v_add_f32_e32 v24, 1.0, v24
	v_rcp_f32_e32 v24, v24
	s_nop 0
	v_fma_f32 v25, v24, -2.0, 1.0
.LBB87_86:
	s_andn2_saveexec_b64 s[10:11], s[10:11]
; %bb.87:
	v_mul_f32_e32 v24, v1, v1
	v_mov_b32_e32 v25, 0x3ca908c9
	v_fmac_f32_e32 v25, 0xbbbac73d, v24
	v_fmaak_f32 v25, v24, v25, 0xbd5c1c4e
	v_fmaak_f32 v25, v24, v25, 0x3e088382
	;; [unrolled: 1-line block ×3, first 2 shown]
	v_mul_f32_e64 v25, |v1|, v25
	v_fma_f32 v25, v24, v25, |v1|
; %bb.88:
	s_or_b64 exec, exec, s[10:11]
	s_waitcnt lgkmcnt(0)
	v_max_f32_e32 v21, v21, v21
	v_max_f32_e32 v16, v16, v16
	;; [unrolled: 1-line block ×3, first 2 shown]
	v_mul_hi_u32 v21, s24, v53
	v_add_u32_e32 v21, v53, v21
	v_lshrrev_b32_e32 v21, s25, v21
	v_mul_lo_u32 v21, v21, s26
	v_sub_u32_e32 v21, v53, v21
	s_brev_b32 s10, -2
	v_mul_lo_u32 v21, v21, s19
	v_bfi_b32 v1, s10, v25, v1
	v_add_u32_e32 v24, s18, v21
	v_mul_f32_e32 v1, s15, v1
	s_and_saveexec_b64 s[10:11], s[4:5]
	s_cbranch_execz .LBB87_93
; %bb.89:
	s_and_b64 vcc, exec, s[8:9]
	s_cbranch_vccnz .LBB87_91
; %bb.90:
	v_add_u32_e32 v62, v24, v20
	v_ashrrev_i32_e32 v63, 31, v62
	v_lshl_add_u64 v[62:63], v[62:63], 1, s[36:37]
	global_load_ushort v21, v[62:63], off
	s_waitcnt vmcnt(0)
	v_cvt_f32_f16_e32 v21, v21
	v_mul_f32_e32 v21, v43, v21
	s_branch .LBB87_92
.LBB87_91:
	v_mov_b32_e32 v21, 0
.LBB87_92:
	v_add_f32_e32 v1, v1, v21
	v_add_f32_e32 v21, 0x40051340, v1
	v_max_f32_e32 v17, v17, v17
	v_max_f32_e32 v17, v17, v21
.LBB87_93:
	s_or_b64 exec, exec, s[10:11]
	s_mov_b32 s10, 0x3f200000
	v_cmp_nlt_f32_e64 s[10:11], |v5|, s10
                                        ; implicit-def: $vgpr21
	s_and_saveexec_b64 s[28:29], s[10:11]
	s_xor_b64 s[10:11], exec, s[28:29]
	s_cbranch_execz .LBB87_95
; %bb.94:
	v_add_f32_e64 v21, |v5|, |v5|
	v_mul_f32_e32 v25, 0x3fb8aa3b, v21
	s_mov_b32 s28, 0x3fb8aa3b
	v_rndne_f32_e32 v53, v25
	v_sub_f32_e32 v62, v25, v53
	v_fma_f32 v25, v21, s28, -v25
	v_fmamk_f32 v25, v21, 0x32a5705f, v25
	v_add_f32_e32 v25, v62, v25
	v_exp_f32_e32 v25, v25
	v_cvt_i32_f32_e32 v53, v53
	s_mov_b32 s28, 0xc2ce8ed0
	v_cmp_ngt_f32_e32 vcc, s28, v21
	s_mov_b32 s28, 0x42b17218
	v_ldexp_f32 v25, v25, v53
	v_cndmask_b32_e32 v25, 0, v25, vcc
	v_mov_b32_e32 v53, 0x7f800000
	v_cmp_nlt_f32_e32 vcc, s28, v21
	s_nop 1
	v_cndmask_b32_e32 v21, v53, v25, vcc
	v_add_f32_e32 v21, 1.0, v21
	v_rcp_f32_e32 v21, v21
	s_nop 0
	v_fma_f32 v21, v21, -2.0, 1.0
.LBB87_95:
	s_andn2_saveexec_b64 s[10:11], s[10:11]
; %bb.96:
	v_mul_f32_e32 v21, v5, v5
	v_mov_b32_e32 v25, 0x3ca908c9
	v_fmac_f32_e32 v25, 0xbbbac73d, v21
	v_fmaak_f32 v25, v21, v25, 0xbd5c1c4e
	v_fmaak_f32 v25, v21, v25, 0x3e088382
	;; [unrolled: 1-line block ×3, first 2 shown]
	v_mul_f32_e64 v25, |v5|, v25
	v_fma_f32 v21, v21, v25, |v5|
; %bb.97:
	s_or_b64 exec, exec, s[10:11]
	s_brev_b32 s10, -2
	v_bfi_b32 v5, s10, v21, v5
	v_mul_f32_e32 v5, s15, v5
	s_and_saveexec_b64 s[10:11], s[6:7]
	s_cbranch_execz .LBB87_102
; %bb.98:
	s_and_b64 vcc, exec, s[8:9]
	s_cbranch_vccnz .LBB87_100
; %bb.99:
	v_ashrrev_i32_e32 v25, 31, v24
	v_mov_b32_e32 v21, 0
	v_lshl_add_u64 v[24:25], v[24:25], 0, v[20:21]
	v_lshl_add_u64 v[24:25], v[24:25], 1, s[36:37]
	global_load_ushort v21, v[24:25], off offset:64
	s_waitcnt vmcnt(0)
	v_cvt_f32_f16_e32 v21, v21
	v_mul_f32_e32 v21, v43, v21
	s_branch .LBB87_101
.LBB87_100:
	v_mov_b32_e32 v21, 0
.LBB87_101:
	v_add_f32_e32 v5, v5, v21
	v_add_f32_e32 v21, 0x40051340, v5
	v_max_f32_e32 v17, v17, v17
	v_max_f32_e32 v17, v17, v21
.LBB87_102:
	s_or_b64 exec, exec, s[10:11]
	ds_bpermute_b32 v21, v59, v17
	v_max_f32_e32 v17, v17, v17
	s_mov_b32 s10, 0x3f200000
	v_cmp_nlt_f32_e64 s[10:11], |v2|, s10
                                        ; implicit-def: $vgpr25
	s_waitcnt lgkmcnt(0)
	v_max_f32_e32 v21, v21, v21
	v_max_f32_e32 v17, v17, v21
	ds_bpermute_b32 v21, v61, v17
	s_waitcnt lgkmcnt(0)
	v_max_f32_e32 v21, v21, v21
	v_max_f32_e32 v17, v17, v21
	ds_bpermute_b32 v21, v60, v17
	;; [unrolled: 4-line block ×4, first 2 shown]
	s_and_saveexec_b64 s[28:29], s[10:11]
	s_xor_b64 s[10:11], exec, s[28:29]
	s_cbranch_execz .LBB87_104
; %bb.103:
	v_add_f32_e64 v24, |v2|, |v2|
	v_mul_f32_e32 v25, 0x3fb8aa3b, v24
	s_mov_b32 s28, 0x3fb8aa3b
	v_rndne_f32_e32 v53, v25
	v_sub_f32_e32 v62, v25, v53
	v_fma_f32 v25, v24, s28, -v25
	v_fmamk_f32 v25, v24, 0x32a5705f, v25
	v_add_f32_e32 v25, v62, v25
	v_exp_f32_e32 v25, v25
	v_cvt_i32_f32_e32 v53, v53
	s_mov_b32 s28, 0xc2ce8ed0
	v_cmp_ngt_f32_e32 vcc, s28, v24
	s_mov_b32 s28, 0x42b17218
	v_ldexp_f32 v25, v25, v53
	v_cndmask_b32_e32 v25, 0, v25, vcc
	v_mov_b32_e32 v53, 0x7f800000
	v_cmp_nlt_f32_e32 vcc, s28, v24
	s_nop 1
	v_cndmask_b32_e32 v24, v53, v25, vcc
	v_add_f32_e32 v24, 1.0, v24
	v_rcp_f32_e32 v24, v24
	s_nop 0
	v_fma_f32 v25, v24, -2.0, 1.0
.LBB87_104:
	s_andn2_saveexec_b64 s[10:11], s[10:11]
; %bb.105:
	v_mul_f32_e32 v24, v2, v2
	v_mov_b32_e32 v25, 0x3ca908c9
	v_fmac_f32_e32 v25, 0xbbbac73d, v24
	v_fmaak_f32 v25, v24, v25, 0xbd5c1c4e
	v_fmaak_f32 v25, v24, v25, 0x3e088382
	;; [unrolled: 1-line block ×3, first 2 shown]
	v_mul_f32_e64 v25, |v2|, v25
	v_fma_f32 v25, v24, v25, |v2|
; %bb.106:
	s_or_b64 exec, exec, s[10:11]
	s_waitcnt lgkmcnt(0)
	v_max_f32_e32 v21, v21, v21
	v_max_f32_e32 v17, v17, v17
	v_max_f32_e32 v17, v17, v21
	v_mul_hi_u32 v21, s24, v51
	v_add_u32_e32 v21, v51, v21
	v_lshrrev_b32_e32 v21, s25, v21
	v_mul_lo_u32 v21, v21, s26
	v_sub_u32_e32 v21, v51, v21
	s_brev_b32 s10, -2
	v_mul_lo_u32 v21, v21, s19
	v_bfi_b32 v2, s10, v25, v2
	v_add_u32_e32 v24, s18, v21
	v_mul_f32_e32 v2, s15, v2
	s_and_saveexec_b64 s[10:11], s[4:5]
	s_cbranch_execz .LBB87_111
; %bb.107:
	s_and_b64 vcc, exec, s[8:9]
	s_cbranch_vccnz .LBB87_109
; %bb.108:
	v_add_u32_e32 v62, v24, v20
	v_ashrrev_i32_e32 v63, 31, v62
	v_lshl_add_u64 v[62:63], v[62:63], 1, s[36:37]
	global_load_ushort v21, v[62:63], off
	s_waitcnt vmcnt(0)
	v_cvt_f32_f16_e32 v21, v21
	v_mul_f32_e32 v21, v43, v21
	s_branch .LBB87_110
.LBB87_109:
	v_mov_b32_e32 v21, 0
.LBB87_110:
	v_add_f32_e32 v2, v2, v21
	v_add_f32_e32 v21, 0x40051340, v2
	v_max_f32_e32 v18, v18, v18
	v_max_f32_e32 v18, v18, v21
.LBB87_111:
	s_or_b64 exec, exec, s[10:11]
	s_mov_b32 s10, 0x3f200000
	v_cmp_nlt_f32_e64 s[10:11], |v6|, s10
                                        ; implicit-def: $vgpr21
	s_and_saveexec_b64 s[28:29], s[10:11]
	s_xor_b64 s[10:11], exec, s[28:29]
	s_cbranch_execz .LBB87_113
; %bb.112:
	v_add_f32_e64 v21, |v6|, |v6|
	v_mul_f32_e32 v25, 0x3fb8aa3b, v21
	s_mov_b32 s28, 0x3fb8aa3b
	v_rndne_f32_e32 v51, v25
	v_sub_f32_e32 v53, v25, v51
	v_fma_f32 v25, v21, s28, -v25
	v_fmamk_f32 v25, v21, 0x32a5705f, v25
	v_add_f32_e32 v25, v53, v25
	v_exp_f32_e32 v25, v25
	v_cvt_i32_f32_e32 v51, v51
	s_mov_b32 s28, 0xc2ce8ed0
	v_cmp_ngt_f32_e32 vcc, s28, v21
	s_mov_b32 s28, 0x42b17218
	v_ldexp_f32 v25, v25, v51
	v_cndmask_b32_e32 v25, 0, v25, vcc
	v_mov_b32_e32 v51, 0x7f800000
	v_cmp_nlt_f32_e32 vcc, s28, v21
	s_nop 1
	v_cndmask_b32_e32 v21, v51, v25, vcc
	v_add_f32_e32 v21, 1.0, v21
	v_rcp_f32_e32 v21, v21
	s_nop 0
	v_fma_f32 v21, v21, -2.0, 1.0
.LBB87_113:
	s_andn2_saveexec_b64 s[10:11], s[10:11]
; %bb.114:
	v_mul_f32_e32 v21, v6, v6
	v_mov_b32_e32 v25, 0x3ca908c9
	v_fmac_f32_e32 v25, 0xbbbac73d, v21
	v_fmaak_f32 v25, v21, v25, 0xbd5c1c4e
	v_fmaak_f32 v25, v21, v25, 0x3e088382
	;; [unrolled: 1-line block ×3, first 2 shown]
	v_mul_f32_e64 v25, |v6|, v25
	v_fma_f32 v21, v21, v25, |v6|
; %bb.115:
	s_or_b64 exec, exec, s[10:11]
	s_brev_b32 s10, -2
	v_bfi_b32 v6, s10, v21, v6
	v_mul_f32_e32 v6, s15, v6
	s_and_saveexec_b64 s[10:11], s[6:7]
	s_cbranch_execz .LBB87_120
; %bb.116:
	s_and_b64 vcc, exec, s[8:9]
	s_cbranch_vccnz .LBB87_118
; %bb.117:
	v_ashrrev_i32_e32 v25, 31, v24
	v_mov_b32_e32 v21, 0
	v_lshl_add_u64 v[24:25], v[24:25], 0, v[20:21]
	v_lshl_add_u64 v[24:25], v[24:25], 1, s[36:37]
	global_load_ushort v21, v[24:25], off offset:64
	s_waitcnt vmcnt(0)
	v_cvt_f32_f16_e32 v21, v21
	v_mul_f32_e32 v21, v43, v21
	s_branch .LBB87_119
.LBB87_118:
	v_mov_b32_e32 v21, 0
.LBB87_119:
	v_add_f32_e32 v6, v6, v21
	v_add_f32_e32 v21, 0x40051340, v6
	v_max_f32_e32 v18, v18, v18
	v_max_f32_e32 v18, v18, v21
.LBB87_120:
	s_or_b64 exec, exec, s[10:11]
	ds_bpermute_b32 v21, v59, v18
	v_max_f32_e32 v18, v18, v18
	s_mov_b32 s10, 0x3f200000
	v_cmp_nlt_f32_e64 s[10:11], |v3|, s10
                                        ; implicit-def: $vgpr25
	s_waitcnt lgkmcnt(0)
	v_max_f32_e32 v21, v21, v21
	v_max_f32_e32 v18, v18, v21
	ds_bpermute_b32 v21, v61, v18
	s_waitcnt lgkmcnt(0)
	v_max_f32_e32 v21, v21, v21
	v_max_f32_e32 v18, v18, v21
	ds_bpermute_b32 v21, v60, v18
	s_waitcnt lgkmcnt(0)
	v_max_f32_e32 v21, v21, v21
	v_max_f32_e32 v18, v18, v21
	ds_bpermute_b32 v21, v58, v18
	s_waitcnt lgkmcnt(0)
	v_max_f32_e32 v21, v21, v21
	v_max_f32_e32 v18, v18, v21
	ds_bpermute_b32 v21, v54, v18
	s_and_saveexec_b64 s[28:29], s[10:11]
	s_xor_b64 s[10:11], exec, s[28:29]
	s_cbranch_execz .LBB87_122
; %bb.121:
	v_add_f32_e64 v24, |v3|, |v3|
	v_mul_f32_e32 v25, 0x3fb8aa3b, v24
	s_mov_b32 s28, 0x3fb8aa3b
	v_rndne_f32_e32 v51, v25
	v_sub_f32_e32 v53, v25, v51
	v_fma_f32 v25, v24, s28, -v25
	v_fmamk_f32 v25, v24, 0x32a5705f, v25
	v_add_f32_e32 v25, v53, v25
	v_exp_f32_e32 v25, v25
	v_cvt_i32_f32_e32 v51, v51
	s_mov_b32 s28, 0xc2ce8ed0
	v_cmp_ngt_f32_e32 vcc, s28, v24
	s_mov_b32 s28, 0x42b17218
	v_ldexp_f32 v25, v25, v51
	v_cndmask_b32_e32 v25, 0, v25, vcc
	v_mov_b32_e32 v51, 0x7f800000
	v_cmp_nlt_f32_e32 vcc, s28, v24
	s_nop 1
	v_cndmask_b32_e32 v24, v51, v25, vcc
	v_add_f32_e32 v24, 1.0, v24
	v_rcp_f32_e32 v24, v24
	s_nop 0
	v_fma_f32 v25, v24, -2.0, 1.0
.LBB87_122:
	s_andn2_saveexec_b64 s[10:11], s[10:11]
; %bb.123:
	v_mul_f32_e32 v24, v3, v3
	v_mov_b32_e32 v25, 0x3ca908c9
	v_fmac_f32_e32 v25, 0xbbbac73d, v24
	v_fmaak_f32 v25, v24, v25, 0xbd5c1c4e
	v_fmaak_f32 v25, v24, v25, 0x3e088382
	;; [unrolled: 1-line block ×3, first 2 shown]
	v_mul_f32_e64 v25, |v3|, v25
	v_fma_f32 v25, v24, v25, |v3|
; %bb.124:
	s_or_b64 exec, exec, s[10:11]
	s_waitcnt lgkmcnt(0)
	v_max_f32_e32 v21, v21, v21
	v_max_f32_e32 v18, v18, v18
	;; [unrolled: 1-line block ×3, first 2 shown]
	v_mul_hi_u32 v21, s24, v44
	v_add_u32_e32 v21, v44, v21
	v_lshrrev_b32_e32 v21, s25, v21
	v_mul_lo_u32 v21, v21, s26
	v_sub_u32_e32 v21, v44, v21
	s_brev_b32 s10, -2
	v_mul_lo_u32 v21, v21, s19
	v_bfi_b32 v3, s10, v25, v3
	v_add_u32_e32 v24, s18, v21
	v_mul_f32_e32 v3, s15, v3
	s_and_saveexec_b64 s[10:11], s[4:5]
	s_cbranch_execz .LBB87_129
; %bb.125:
	s_and_b64 vcc, exec, s[8:9]
	s_cbranch_vccnz .LBB87_127
; %bb.126:
	v_add_u32_e32 v62, v24, v20
	v_ashrrev_i32_e32 v63, 31, v62
	v_lshl_add_u64 v[62:63], v[62:63], 1, s[36:37]
	global_load_ushort v21, v[62:63], off
	s_waitcnt vmcnt(0)
	v_cvt_f32_f16_e32 v21, v21
	v_mul_f32_e32 v21, v43, v21
	s_branch .LBB87_128
.LBB87_127:
	v_mov_b32_e32 v21, 0
.LBB87_128:
	v_add_f32_e32 v3, v3, v21
	v_add_f32_e32 v21, 0x40051340, v3
	v_max_f32_e32 v19, v19, v19
	v_max_f32_e32 v19, v19, v21
.LBB87_129:
	s_or_b64 exec, exec, s[10:11]
	s_mov_b32 s4, 0x3f200000
	v_cmp_nlt_f32_e64 s[4:5], |v7|, s4
                                        ; implicit-def: $vgpr21
	s_and_saveexec_b64 s[10:11], s[4:5]
	s_xor_b64 s[4:5], exec, s[10:11]
	s_cbranch_execz .LBB87_131
; %bb.130:
	v_add_f32_e64 v21, |v7|, |v7|
	v_mul_f32_e32 v25, 0x3fb8aa3b, v21
	s_mov_b32 s10, 0x3fb8aa3b
	v_rndne_f32_e32 v44, v25
	v_sub_f32_e32 v51, v25, v44
	v_fma_f32 v25, v21, s10, -v25
	v_fmamk_f32 v25, v21, 0x32a5705f, v25
	v_add_f32_e32 v25, v51, v25
	v_exp_f32_e32 v25, v25
	v_cvt_i32_f32_e32 v44, v44
	s_mov_b32 s10, 0xc2ce8ed0
	v_cmp_ngt_f32_e32 vcc, s10, v21
	s_mov_b32 s10, 0x42b17218
	v_ldexp_f32 v25, v25, v44
	v_cndmask_b32_e32 v25, 0, v25, vcc
	v_mov_b32_e32 v44, 0x7f800000
	v_cmp_nlt_f32_e32 vcc, s10, v21
	s_nop 1
	v_cndmask_b32_e32 v21, v44, v25, vcc
	v_add_f32_e32 v21, 1.0, v21
	v_rcp_f32_e32 v21, v21
	s_nop 0
	v_fma_f32 v21, v21, -2.0, 1.0
.LBB87_131:
	s_andn2_saveexec_b64 s[4:5], s[4:5]
; %bb.132:
	v_mul_f32_e32 v21, v7, v7
	v_mov_b32_e32 v25, 0x3ca908c9
	v_fmac_f32_e32 v25, 0xbbbac73d, v21
	v_fmaak_f32 v25, v21, v25, 0xbd5c1c4e
	v_fmaak_f32 v25, v21, v25, 0x3e088382
	;; [unrolled: 1-line block ×3, first 2 shown]
	v_mul_f32_e64 v25, |v7|, v25
	v_fma_f32 v21, v21, v25, |v7|
; %bb.133:
	s_or_b64 exec, exec, s[4:5]
	s_brev_b32 s4, -2
	v_bfi_b32 v7, s4, v21, v7
	v_mul_f32_e32 v7, s15, v7
	s_and_saveexec_b64 s[4:5], s[6:7]
	s_cbranch_execz .LBB87_138
; %bb.134:
	s_and_b64 vcc, exec, s[8:9]
	s_cbranch_vccnz .LBB87_136
; %bb.135:
	v_ashrrev_i32_e32 v25, 31, v24
	v_mov_b32_e32 v21, 0
	v_lshl_add_u64 v[24:25], v[24:25], 0, v[20:21]
	v_lshl_add_u64 v[24:25], v[24:25], 1, s[36:37]
	global_load_ushort v21, v[24:25], off offset:64
	s_waitcnt vmcnt(0)
	v_cvt_f32_f16_e32 v21, v21
	v_mul_f32_e32 v21, v43, v21
	s_branch .LBB87_137
.LBB87_136:
	v_mov_b32_e32 v21, 0
.LBB87_137:
	v_add_f32_e32 v7, v7, v21
	v_add_f32_e32 v21, 0x40051340, v7
	v_max_f32_e32 v19, v19, v19
	v_max_f32_e32 v19, v19, v21
.LBB87_138:
	s_or_b64 exec, exec, s[4:5]
	ds_bpermute_b32 v21, v59, v19
	v_max_f32_e32 v19, v19, v19
	s_mov_b64 s[8:9], src_private_base
	v_sub_f32_e32 v0, v0, v16
	s_mov_b32 s8, 0x3fb8aa3b
	s_waitcnt lgkmcnt(0)
	v_max_f32_e32 v21, v21, v21
	v_max_f32_e32 v19, v19, v21
	ds_bpermute_b32 v24, v61, v19
	v_mul_f32_e32 v25, 0x3fb8aa3b, v0
	v_fma_f32 v43, v0, s8, -v25
	v_rndne_f32_e32 v44, v25
	v_fmac_f32_e32 v43, 0x32a5705f, v0
	s_waitcnt lgkmcnt(0)
	v_max_f32_e32 v24, v24, v24
	v_max_f32_e32 v19, v19, v24
	ds_bpermute_b32 v24, v60, v19
	v_sub_f32_e32 v25, v25, v44
	v_sub_f32_e32 v4, v4, v16
	v_add_f32_e32 v25, v25, v43
	v_cvt_i32_f32_e32 v44, v44
	s_waitcnt lgkmcnt(0)
	v_max_f32_e32 v24, v24, v24
	v_max_f32_e32 v19, v19, v24
	ds_bpermute_b32 v24, v58, v19
	v_exp_f32_e32 v25, v25
	s_mov_b32 s10, 0xc2ce8ed0
	v_cmp_ngt_f32_e32 vcc, s10, v0
	s_mov_b32 s11, 0x42b17218
	s_waitcnt lgkmcnt(0)
	v_max_f32_e32 v24, v24, v24
	v_max_f32_e32 v19, v19, v24
	ds_bpermute_b32 v24, v54, v19
	v_ldexp_f32 v25, v25, v44
	v_cndmask_b32_e32 v25, 0, v25, vcc
	v_mov_b32_e32 v44, 0x7f800000
	v_cmp_nlt_f32_e32 vcc, s11, v0
	s_waitcnt lgkmcnt(0)
	v_max_f32_e32 v24, v24, v24
	v_max_f32_e32 v19, v19, v24
	v_mul_f32_e32 v24, 0x3fb8aa3b, v4
	v_fma_f32 v43, v4, s8, -v24
	v_rndne_f32_e32 v51, v24
	v_fmac_f32_e32 v43, 0x32a5705f, v4
	v_sub_f32_e32 v24, v24, v51
	v_add_f32_e32 v24, v24, v43
	v_exp_f32_e32 v24, v24
	v_cvt_i32_f32_e32 v43, v51
	v_cndmask_b32_e32 v0, v44, v25, vcc
	v_cmp_gt_u32_e32 vcc, s31, v20
	v_sub_f32_e32 v1, v1, v17
	v_cmp_ngt_f32_e64 s[4:5], s10, v4
	v_cndmask_b32_e32 v51, 0, v0, vcc
	v_ldexp_f32 v0, v24, v43
	v_mul_f32_e32 v24, 0x3fb8aa3b, v1
	v_fma_f32 v25, v1, s8, -v24
	v_rndne_f32_e32 v43, v24
	v_fmac_f32_e32 v25, 0x32a5705f, v1
	v_sub_f32_e32 v24, v24, v43
	v_add_f32_e32 v24, v24, v25
	v_exp_f32_e32 v24, v24
	v_cvt_i32_f32_e32 v25, v43
	v_cndmask_b32_e64 v0, 0, v0, s[4:5]
	v_cmp_nlt_f32_e64 s[4:5], s11, v4
	v_sub_f32_e32 v4, v5, v17
	v_mul_f32_e32 v5, 0x3fb8aa3b, v4
	v_cndmask_b32_e64 v0, v44, v0, s[4:5]
	v_cmp_gt_u32_e64 s[4:5], s31, v55
	v_cmp_ngt_f32_e64 s[6:7], s10, v1
	v_lshlrev_b32_e32 v21, 9, v23
	v_cndmask_b32_e64 v53, 0, v0, s[4:5]
	v_ldexp_f32 v0, v24, v25
	v_fma_f32 v24, v4, s8, -v5
	v_rndne_f32_e32 v25, v5
	v_fmac_f32_e32 v24, 0x32a5705f, v4
	v_sub_f32_e32 v5, v5, v25
	v_add_f32_e32 v5, v5, v24
	v_exp_f32_e32 v5, v5
	v_cvt_i32_f32_e32 v24, v25
	v_cndmask_b32_e64 v0, 0, v0, s[6:7]
	v_cmp_nlt_f32_e64 s[6:7], s11, v1
	v_sub_f32_e32 v1, v2, v18
	v_mul_f32_e32 v2, 0x3fb8aa3b, v1
	v_cndmask_b32_e64 v0, v44, v0, s[6:7]
	v_cndmask_b32_e32 v54, 0, v0, vcc
	v_ldexp_f32 v0, v5, v24
	v_fma_f32 v5, v1, s8, -v2
	v_rndne_f32_e32 v24, v2
	v_fmac_f32_e32 v5, 0x32a5705f, v1
	v_sub_f32_e32 v2, v2, v24
	v_add_f32_e32 v2, v2, v5
	v_exp_f32_e32 v2, v2
	v_cvt_i32_f32_e32 v5, v24
	v_cmp_ngt_f32_e64 s[6:7], s10, v4
	v_lshl_add_u32 v43, v23, 1, v42
	s_nop 0
	v_cndmask_b32_e64 v0, 0, v0, s[6:7]
	v_cmp_nlt_f32_e64 s[6:7], s11, v4
	s_barrier
	s_nop 0
	v_cndmask_b32_e64 v0, v44, v0, s[6:7]
	v_cndmask_b32_e64 v61, 0, v0, s[4:5]
	v_ldexp_f32 v0, v2, v5
	v_sub_f32_e32 v2, v6, v18
	v_mul_f32_e32 v4, 0x3fb8aa3b, v2
	v_fma_f32 v5, v2, s8, -v4
	v_rndne_f32_e32 v6, v4
	v_fmac_f32_e32 v5, 0x32a5705f, v2
	v_sub_f32_e32 v4, v4, v6
	v_add_f32_e32 v4, v4, v5
	v_exp_f32_e32 v4, v4
	v_cvt_i32_f32_e32 v5, v6
	v_cmp_ngt_f32_e64 s[6:7], s10, v1
	v_mul_lo_u32 v6, s2, v43
	v_mov_b32_e32 v24, s9
	v_cndmask_b32_e64 v0, 0, v0, s[6:7]
	v_cmp_nlt_f32_e64 s[6:7], s11, v1
	v_sub_f32_e32 v1, v3, v19
	v_mul_f32_e32 v3, 0x3fb8aa3b, v1
	v_cndmask_b32_e64 v0, v44, v0, s[6:7]
	v_cndmask_b32_e32 v66, 0, v0, vcc
	v_ldexp_f32 v0, v4, v5
	v_fma_f32 v4, v1, s8, -v3
	v_rndne_f32_e32 v5, v3
	v_fmac_f32_e32 v4, 0x32a5705f, v1
	v_sub_f32_e32 v3, v3, v5
	v_add_f32_e32 v3, v3, v4
	v_exp_f32_e32 v3, v3
	v_cvt_i32_f32_e32 v4, v5
	v_cmp_ngt_f32_e64 s[6:7], s10, v2
	v_mov_b32_e32 v25, 0
	s_nop 0
	v_cndmask_b32_e64 v0, 0, v0, s[6:7]
	v_cmp_nlt_f32_e64 s[6:7], s11, v2
	v_sub_f32_e32 v2, v7, v19
	v_ashrrev_i32_e32 v7, 31, v6
	v_cndmask_b32_e64 v0, v44, v0, s[6:7]
	v_cndmask_b32_e64 v67, 0, v0, s[4:5]
	v_ldexp_f32 v0, v3, v4
	v_mul_f32_e32 v3, 0x3fb8aa3b, v2
	v_fma_f32 v4, v2, s8, -v3
	v_rndne_f32_e32 v5, v3
	v_fmac_f32_e32 v4, 0x32a5705f, v2
	v_sub_f32_e32 v3, v3, v5
	v_add_f32_e32 v3, v3, v4
	v_exp_f32_e32 v3, v3
	v_cvt_i32_f32_e32 v4, v5
	v_cmp_ngt_f32_e64 s[6:7], s10, v1
	v_mov_b32_e32 v5, 0
	scratch_store_dword off, v5, off
	v_cndmask_b32_e64 v0, 0, v0, s[6:7]
	v_cmp_nlt_f32_e64 s[6:7], s11, v1
	s_nop 1
	v_cndmask_b32_e64 v0, v44, v0, s[6:7]
	v_cndmask_b32_e32 v68, 0, v0, vcc
	v_ldexp_f32 v0, v3, v4
	v_cmp_ngt_f32_e32 vcc, s10, v2
	v_cvt_pk_f16_f32 v1, v66, v68
	v_lshlrev_b32_e32 v4, 2, v22
	v_cndmask_b32_e32 v0, 0, v0, vcc
	v_cmp_nlt_f32_e32 vcc, s11, v2
	v_add_u32_e32 v2, 0x4400, v21
	v_add_u32_e32 v3, v2, v41
	v_cndmask_b32_e32 v0, v44, v0, vcc
	v_cndmask_b32_e64 v69, 0, v0, s[4:5]
	s_mul_hi_i32 s5, s18, s2
	s_mul_i32 s4, s18, s2
	s_lshl_b64 s[4:5], s[4:5], 2
	v_cvt_pk_f16_f32 v0, v51, v54
	s_add_u32 s24, s12, s4
	s_mov_b32 s4, 0
	ds_write_b64 v3, v[0:1]
	v_lshl_add_u32 v2, v55, 3, v2
	v_cvt_pk_f16_f32 v1, v67, v69
	v_cvt_pk_f16_f32 v0, v53, v61
	s_addc_u32 s25, s13, s5
	s_mov_b32 s6, s4
	v_lshlrev_b64 v[22:23], 2, v[6:7]
	ds_write_b64 v2, v[0:1]
	s_mov_b32 s5, s4
	v_mov_b32_e32 v60, s6
	v_lshl_add_u64 v[0:1], s[24:25], 0, v[22:23]
	v_mov_b32_e32 v59, s5
	v_mov_b32_e32 v58, s4
	v_lshl_add_u64 v[0:1], v[0:1], 0, v[4:5]
	v_cmp_gt_i32_e32 vcc, s31, v43
	scratch_store_dwordx3 off, v[58:60], off offset:4
	v_lshl_add_u32 v6, s2, 4, v6
	v_cndmask_b32_e32 v1, v24, v1, vcc
	v_cndmask_b32_e32 v0, v25, v0, vcc
	flat_load_dwordx4 v[0:3], v[0:1]
	v_ashrrev_i32_e32 v7, 31, v6
	v_lshl_or_b32 v42, v43, 8, v4
	v_lshlrev_b64 v[6:7], 2, v[6:7]
	v_sub_f32_e32 v55, v12, v16
	v_add_u32_e32 v12, 16, v43
	v_cmp_gt_i32_e32 vcc, s31, v12
	v_mul_f32_e32 v70, 0x3fb8aa3b, v55
	s_mov_b32 s4, 0x10001
	s_or_b32 s5, s18, 32
	s_mul_hi_i32 s7, s5, s2
	s_mul_i32 s6, s5, s2
	s_lshl_b64 s[6:7], s[6:7], 2
	s_add_u32 s6, s12, s6
	s_addc_u32 s7, s13, s7
	s_sub_i32 s2, s31, 32
	s_waitcnt vmcnt(0) lgkmcnt(0)
	ds_write_b128 v42, v[0:3]
	v_lshl_add_u64 v[0:1], s[24:25], 0, v[6:7]
	v_lshl_add_u64 v[0:1], v[0:1], 0, v[4:5]
	scratch_store_dword off, v5, off
	scratch_store_dwordx3 off, v[58:60], off offset:4
	v_cndmask_b32_e32 v1, v24, v1, vcc
	v_cndmask_b32_e32 v0, v25, v0, vcc
	flat_load_dwordx4 v[62:65], v[0:1]
	v_fma_f32 v0, v55, s8, -v70
	v_rndne_f32_e32 v1, v70
	v_fmac_f32_e32 v0, 0x32a5705f, v55
	v_sub_f32_e32 v2, v70, v1
	v_add_f32_e32 v0, v2, v0
	v_exp_f32_e32 v2, v0
	v_cvt_i32_f32_e32 v1, v1
	v_cmp_ngt_f32_e32 vcc, s10, v55
	v_add_f32_e32 v0, v51, v53
	v_lshl_add_u64 v[6:7], s[6:7], 0, v[6:7]
	v_ldexp_f32 v1, v2, v1
	v_cndmask_b32_e32 v1, 0, v1, vcc
	v_cmp_nlt_f32_e32 vcc, s11, v55
	v_sub_f32_e32 v2, v13, v17
	v_mul_f32_e32 v3, 0x3fb8aa3b, v2
	v_cndmask_b32_e32 v1, v44, v1, vcc
	v_fmac_f32_e32 v0, v8, v1
	v_fma_f32 v8, v2, s8, -v3
	v_rndne_f32_e32 v13, v3
	v_fmac_f32_e32 v8, 0x32a5705f, v2
	v_sub_f32_e32 v3, v3, v13
	v_add_f32_e32 v3, v3, v8
	v_exp_f32_e32 v3, v3
	v_cvt_i32_f32_e32 v8, v13
	v_cvt_f16_f32_e32 v1, v1
	v_cmp_ngt_f32_e32 vcc, s10, v2
	v_ldexp_f32 v3, v3, v8
	v_sub_f32_e32 v8, v14, v18
	v_mul_f32_e32 v14, 0x3fb8aa3b, v8
	v_fma_f32 v51, v8, s8, -v14
	v_rndne_f32_e32 v53, v14
	v_fmac_f32_e32 v51, 0x32a5705f, v8
	v_sub_f32_e32 v14, v14, v53
	v_add_f32_e32 v14, v14, v51
	v_cndmask_b32_e32 v3, 0, v3, vcc
	v_cmp_nlt_f32_e32 vcc, s11, v2
	v_exp_f32_e32 v14, v14
	v_cvt_i32_f32_e32 v51, v53
	v_cndmask_b32_e32 v2, v44, v3, vcc
	v_cvt_f16_f32_e32 v3, v2
	v_mul_u32_u24_e32 v13, 0x10001, v1
	v_add_f32_e32 v1, v54, v61
	v_fmac_f32_e32 v1, v9, v2
	v_ldexp_f32 v2, v14, v51
	v_cmp_ngt_f32_e32 vcc, s10, v8
	v_sub_f32_e32 v14, v15, v19
	v_mul_u32_u24_e32 v9, 0x10001, v3
	v_cndmask_b32_e32 v2, 0, v2, vcc
	v_cmp_nlt_f32_e32 vcc, s11, v8
	v_pk_mul_f16 v61, v52, v9
	v_pk_mul_f16 v31, v31, v13
	v_cndmask_b32_e32 v3, v44, v2, vcc
	v_mul_f32_e32 v2, 0x3fb8aa3b, v14
	v_fma_f32 v15, v14, s8, -v2
	v_rndne_f32_e32 v51, v2
	v_fmac_f32_e32 v15, 0x32a5705f, v14
	v_sub_f32_e32 v2, v2, v51
	v_add_f32_e32 v2, v2, v15
	v_exp_f32_e32 v15, v2
	v_cvt_i32_f32_e32 v51, v51
	v_add_f32_e32 v2, v66, v67
	v_cvt_f16_f32_e32 v8, v3
	v_fmac_f32_e32 v2, v10, v3
	v_ldexp_f32 v3, v15, v51
	v_cmp_ngt_f32_e32 vcc, s10, v14
	v_mul_u32_u24_e32 v8, 0x10001, v8
	v_pk_mul_f16 v15, v49, v8
	v_cndmask_b32_e32 v3, 0, v3, vcc
	v_cmp_nlt_f32_e32 vcc, s11, v14
	s_nop 1
	v_cndmask_b32_e32 v10, v44, v3, vcc
	v_cvt_f16_f32_e32 v14, v10
	v_add_f32_e32 v3, v68, v69
	v_fmac_f32_e32 v3, v11, v10
	v_lshl_or_b32 v11, v12, 8, v4
	v_mul_u32_u24_e32 v10, 0x10001, v14
	v_pk_mul_f16 v14, v45, v10
	s_waitcnt vmcnt(0) lgkmcnt(0)
	ds_write_b128 v11, v[62:65]
	s_waitcnt lgkmcnt(0)
	s_barrier
	ds_read_b128 v[52:55], v21 offset:17408
	ds_read2_b64 v[62:65], v41 offset1:32
	ds_read_b128 v[66:69], v21 offset:17424
	ds_read_b128 v[70:73], v21 offset:17440
	;; [unrolled: 1-line block ×3, first 2 shown]
	s_waitcnt lgkmcnt(4)
	v_mul_u32_u24_sdwa v44, v52, s4 dst_sel:DWORD dst_unused:UNUSED_PAD src0_sel:WORD_0 src1_sel:DWORD
	v_mul_u32_u24_sdwa v45, v52, s4 dst_sel:DWORD dst_unused:UNUSED_PAD src0_sel:WORD_1 src1_sel:DWORD
	s_waitcnt lgkmcnt(3)
	v_pk_mul_f16 v51, v62, v44
	v_pk_mul_f16 v10, v46, v10
	v_mul_u32_u24_sdwa v46, v53, s4 dst_sel:DWORD dst_unused:UNUSED_PAD src0_sel:WORD_0 src1_sel:DWORD
	v_pk_fma_f16 v13, v50, v13, v51
	v_pk_mul_f16 v50, v62, v45
	v_mul_u32_u24_sdwa v49, v53, s4 dst_sel:DWORD dst_unused:UNUSED_PAD src0_sel:WORD_1 src1_sel:DWORD
	v_pk_fma_f16 v9, v48, v9, v50
	v_pk_mul_f16 v48, v62, v46
	v_pk_fma_f16 v31, v63, v44, v31
	v_pk_fma_f16 v8, v47, v8, v48
	;; [unrolled: 1-line block ×4, first 2 shown]
	v_mul_u32_u24_sdwa v45, v54, s4 dst_sel:DWORD dst_unused:UNUSED_PAD src0_sel:WORD_0 src1_sel:DWORD
	v_mul_u32_u24_sdwa v46, v54, s4 dst_sel:DWORD dst_unused:UNUSED_PAD src0_sel:WORD_1 src1_sel:DWORD
	v_mul_u32_u24_sdwa v47, v55, s4 dst_sel:DWORD dst_unused:UNUSED_PAD src0_sel:WORD_0 src1_sel:DWORD
	v_pk_fma_f16 v14, v62, v49, v14
	v_pk_fma_f16 v10, v63, v49, v10
	;; [unrolled: 1-line block ×8, first 2 shown]
	ds_read2_b64 v[44:47], v41 offset0:64 offset1:96
	v_mul_u32_u24_sdwa v48, v55, s4 dst_sel:DWORD dst_unused:UNUSED_PAD src0_sel:WORD_1 src1_sel:DWORD
	v_pk_fma_f16 v14, v64, v48, v14
	v_pk_fma_f16 v10, v65, v48, v10
	s_waitcnt lgkmcnt(3)
	v_mul_u32_u24_sdwa v48, v66, s4 dst_sel:DWORD dst_unused:UNUSED_PAD src0_sel:WORD_0 src1_sel:DWORD
	v_mul_u32_u24_sdwa v50, v66, s4 dst_sel:DWORD dst_unused:UNUSED_PAD src0_sel:WORD_1 src1_sel:DWORD
	v_mul_u32_u24_sdwa v51, v67, s4 dst_sel:DWORD dst_unused:UNUSED_PAD src0_sel:WORD_0 src1_sel:DWORD
	v_mul_u32_u24_sdwa v52, v67, s4 dst_sel:DWORD dst_unused:UNUSED_PAD src0_sel:WORD_1 src1_sel:DWORD
	s_waitcnt lgkmcnt(0)
	v_pk_fma_f16 v13, v44, v48, v13
	v_pk_fma_f16 v9, v44, v50, v9
	;; [unrolled: 1-line block ×8, first 2 shown]
	v_mul_u32_u24_sdwa v45, v68, s4 dst_sel:DWORD dst_unused:UNUSED_PAD src0_sel:WORD_0 src1_sel:DWORD
	v_mul_u32_u24_sdwa v48, v68, s4 dst_sel:DWORD dst_unused:UNUSED_PAD src0_sel:WORD_1 src1_sel:DWORD
	v_mul_u32_u24_sdwa v49, v69, s4 dst_sel:DWORD dst_unused:UNUSED_PAD src0_sel:WORD_0 src1_sel:DWORD
	v_mul_u32_u24_sdwa v50, v69, s4 dst_sel:DWORD dst_unused:UNUSED_PAD src0_sel:WORD_1 src1_sel:DWORD
	v_pk_fma_f16 v13, v46, v45, v13
	v_pk_fma_f16 v9, v46, v48, v9
	;; [unrolled: 1-line block ×8, first 2 shown]
	ds_read2_b64 v[44:47], v41 offset0:128 offset1:160
	v_mul_u32_u24_sdwa v49, v70, s4 dst_sel:DWORD dst_unused:UNUSED_PAD src0_sel:WORD_0 src1_sel:DWORD
	v_mul_u32_u24_sdwa v50, v70, s4 dst_sel:DWORD dst_unused:UNUSED_PAD src0_sel:WORD_1 src1_sel:DWORD
	v_mul_u32_u24_sdwa v51, v71, s4 dst_sel:DWORD dst_unused:UNUSED_PAD src0_sel:WORD_0 src1_sel:DWORD
	v_mul_u32_u24_sdwa v52, v71, s4 dst_sel:DWORD dst_unused:UNUSED_PAD src0_sel:WORD_1 src1_sel:DWORD
	s_waitcnt lgkmcnt(0)
	v_pk_fma_f16 v13, v44, v49, v13
	v_pk_fma_f16 v9, v44, v50, v9
	;; [unrolled: 1-line block ×8, first 2 shown]
	v_mul_u32_u24_sdwa v45, v72, s4 dst_sel:DWORD dst_unused:UNUSED_PAD src0_sel:WORD_0 src1_sel:DWORD
	v_mul_u32_u24_sdwa v48, v72, s4 dst_sel:DWORD dst_unused:UNUSED_PAD src0_sel:WORD_1 src1_sel:DWORD
	v_mul_u32_u24_sdwa v49, v73, s4 dst_sel:DWORD dst_unused:UNUSED_PAD src0_sel:WORD_0 src1_sel:DWORD
	v_mul_u32_u24_sdwa v50, v73, s4 dst_sel:DWORD dst_unused:UNUSED_PAD src0_sel:WORD_1 src1_sel:DWORD
	v_pk_fma_f16 v13, v46, v45, v13
	v_pk_fma_f16 v9, v46, v48, v9
	;; [unrolled: 1-line block ×8, first 2 shown]
	ds_read2_b64 v[44:47], v41 offset0:192 offset1:224
	v_mul_u32_u24_sdwa v49, v74, s4 dst_sel:DWORD dst_unused:UNUSED_PAD src0_sel:WORD_0 src1_sel:DWORD
	v_mul_u32_u24_sdwa v50, v74, s4 dst_sel:DWORD dst_unused:UNUSED_PAD src0_sel:WORD_1 src1_sel:DWORD
	v_mul_u32_u24_sdwa v51, v75, s4 dst_sel:DWORD dst_unused:UNUSED_PAD src0_sel:WORD_0 src1_sel:DWORD
	v_mul_u32_u24_sdwa v52, v75, s4 dst_sel:DWORD dst_unused:UNUSED_PAD src0_sel:WORD_1 src1_sel:DWORD
	s_waitcnt lgkmcnt(0)
	v_pk_fma_f16 v13, v44, v49, v13
	v_pk_fma_f16 v9, v44, v50, v9
	v_pk_fma_f16 v8, v44, v51, v8
	v_pk_fma_f16 v14, v44, v52, v14
	v_pk_fma_f16 v31, v45, v49, v31
	v_pk_fma_f16 v44, v45, v50, v48
	v_pk_fma_f16 v15, v45, v51, v15
	v_mul_u32_u24_sdwa v48, v76, s4 dst_sel:DWORD dst_unused:UNUSED_PAD src0_sel:WORD_1 src1_sel:DWORD
	v_mul_u32_u24_sdwa v49, v77, s4 dst_sel:DWORD dst_unused:UNUSED_PAD src0_sel:WORD_0 src1_sel:DWORD
	v_pk_fma_f16 v61, v46, v48, v9
	v_pk_fma_f16 v8, v46, v49, v8
	;; [unrolled: 1-line block ×4, first 2 shown]
	ds_read_b128 v[48:51], v21 offset:17472
	v_pk_fma_f16 v10, v45, v52, v10
	v_mul_u32_u24_sdwa v45, v76, s4 dst_sel:DWORD dst_unused:UNUSED_PAD src0_sel:WORD_0 src1_sel:DWORD
	v_mul_u32_u24_sdwa v52, v77, s4 dst_sel:DWORD dst_unused:UNUSED_PAD src0_sel:WORD_1 src1_sel:DWORD
	v_add_u32_e32 v9, 0x800, v41
	v_pk_fma_f16 v13, v46, v45, v13
	v_pk_fma_f16 v14, v46, v52, v14
	;; [unrolled: 1-line block ×4, first 2 shown]
	ds_read2_b64 v[44:47], v9 offset1:32
	ds_read_b128 v[52:55], v21 offset:17488
	s_waitcnt lgkmcnt(2)
	v_mul_u32_u24_sdwa v63, v48, s4 dst_sel:DWORD dst_unused:UNUSED_PAD src0_sel:WORD_0 src1_sel:DWORD
	v_mul_u32_u24_sdwa v48, v48, s4 dst_sel:DWORD dst_unused:UNUSED_PAD src0_sel:WORD_1 src1_sel:DWORD
	v_mul_u32_u24_sdwa v64, v49, s4 dst_sel:DWORD dst_unused:UNUSED_PAD src0_sel:WORD_0 src1_sel:DWORD
	v_mul_u32_u24_sdwa v49, v49, s4 dst_sel:DWORD dst_unused:UNUSED_PAD src0_sel:WORD_1 src1_sel:DWORD
	s_waitcnt lgkmcnt(1)
	v_pk_fma_f16 v13, v44, v63, v13
	v_pk_fma_f16 v61, v44, v48, v61
	;; [unrolled: 1-line block ×8, first 2 shown]
	v_mul_u32_u24_sdwa v45, v50, s4 dst_sel:DWORD dst_unused:UNUSED_PAD src0_sel:WORD_0 src1_sel:DWORD
	v_mul_u32_u24_sdwa v48, v50, s4 dst_sel:DWORD dst_unused:UNUSED_PAD src0_sel:WORD_1 src1_sel:DWORD
	v_mul_u32_u24_sdwa v49, v51, s4 dst_sel:DWORD dst_unused:UNUSED_PAD src0_sel:WORD_0 src1_sel:DWORD
	v_mul_u32_u24_sdwa v50, v51, s4 dst_sel:DWORD dst_unused:UNUSED_PAD src0_sel:WORD_1 src1_sel:DWORD
	v_pk_fma_f16 v13, v46, v45, v13
	v_pk_fma_f16 v51, v46, v48, v61
	;; [unrolled: 1-line block ×8, first 2 shown]
	ds_read2_b64 v[44:47], v9 offset0:64 offset1:96
	s_waitcnt lgkmcnt(1)
	v_mul_u32_u24_sdwa v49, v52, s4 dst_sel:DWORD dst_unused:UNUSED_PAD src0_sel:WORD_0 src1_sel:DWORD
	v_mul_u32_u24_sdwa v50, v52, s4 dst_sel:DWORD dst_unused:UNUSED_PAD src0_sel:WORD_1 src1_sel:DWORD
	v_mul_u32_u24_sdwa v52, v53, s4 dst_sel:DWORD dst_unused:UNUSED_PAD src0_sel:WORD_0 src1_sel:DWORD
	v_mul_u32_u24_sdwa v53, v53, s4 dst_sel:DWORD dst_unused:UNUSED_PAD src0_sel:WORD_1 src1_sel:DWORD
	s_waitcnt lgkmcnt(0)
	v_pk_fma_f16 v13, v44, v49, v13
	v_pk_fma_f16 v51, v44, v50, v51
	;; [unrolled: 1-line block ×5, first 2 shown]
	v_mul_u32_u24_sdwa v48, v54, s4 dst_sel:DWORD dst_unused:UNUSED_PAD src0_sel:WORD_1 src1_sel:DWORD
	v_pk_fma_f16 v31, v45, v49, v31
	v_pk_fma_f16 v61, v46, v48, v51
	;; [unrolled: 1-line block ×3, first 2 shown]
	ds_read_b128 v[48:51], v21 offset:17504
	v_pk_fma_f16 v15, v45, v52, v15
	v_pk_fma_f16 v10, v45, v53, v10
	v_mul_u32_u24_sdwa v45, v54, s4 dst_sel:DWORD dst_unused:UNUSED_PAD src0_sel:WORD_0 src1_sel:DWORD
	v_mul_u32_u24_sdwa v52, v55, s4 dst_sel:DWORD dst_unused:UNUSED_PAD src0_sel:WORD_0 src1_sel:DWORD
	v_mul_u32_u24_sdwa v53, v55, s4 dst_sel:DWORD dst_unused:UNUSED_PAD src0_sel:WORD_1 src1_sel:DWORD
	v_pk_fma_f16 v13, v46, v45, v13
	v_pk_fma_f16 v8, v46, v52, v8
	;; [unrolled: 1-line block ×6, first 2 shown]
	ds_read2_b64 v[44:47], v9 offset0:128 offset1:160
	ds_read_b128 v[52:55], v21 offset:17520
	s_waitcnt lgkmcnt(2)
	v_mul_u32_u24_sdwa v63, v48, s4 dst_sel:DWORD dst_unused:UNUSED_PAD src0_sel:WORD_0 src1_sel:DWORD
	v_mul_u32_u24_sdwa v48, v48, s4 dst_sel:DWORD dst_unused:UNUSED_PAD src0_sel:WORD_1 src1_sel:DWORD
	v_mul_u32_u24_sdwa v64, v49, s4 dst_sel:DWORD dst_unused:UNUSED_PAD src0_sel:WORD_0 src1_sel:DWORD
	v_mul_u32_u24_sdwa v49, v49, s4 dst_sel:DWORD dst_unused:UNUSED_PAD src0_sel:WORD_1 src1_sel:DWORD
	s_waitcnt lgkmcnt(1)
	v_pk_fma_f16 v13, v44, v63, v13
	v_pk_fma_f16 v61, v44, v48, v61
	;; [unrolled: 1-line block ×8, first 2 shown]
	v_mul_u32_u24_sdwa v45, v50, s4 dst_sel:DWORD dst_unused:UNUSED_PAD src0_sel:WORD_0 src1_sel:DWORD
	v_mul_u32_u24_sdwa v48, v50, s4 dst_sel:DWORD dst_unused:UNUSED_PAD src0_sel:WORD_1 src1_sel:DWORD
	v_mul_u32_u24_sdwa v49, v51, s4 dst_sel:DWORD dst_unused:UNUSED_PAD src0_sel:WORD_0 src1_sel:DWORD
	v_mul_u32_u24_sdwa v50, v51, s4 dst_sel:DWORD dst_unused:UNUSED_PAD src0_sel:WORD_1 src1_sel:DWORD
	v_pk_fma_f16 v13, v46, v45, v13
	v_pk_fma_f16 v51, v46, v48, v61
	;; [unrolled: 1-line block ×8, first 2 shown]
	ds_read2_b64 v[44:47], v9 offset0:192 offset1:224
	s_waitcnt lgkmcnt(1)
	v_mul_u32_u24_sdwa v49, v52, s4 dst_sel:DWORD dst_unused:UNUSED_PAD src0_sel:WORD_0 src1_sel:DWORD
	v_mul_u32_u24_sdwa v50, v52, s4 dst_sel:DWORD dst_unused:UNUSED_PAD src0_sel:WORD_1 src1_sel:DWORD
	v_mul_u32_u24_sdwa v52, v53, s4 dst_sel:DWORD dst_unused:UNUSED_PAD src0_sel:WORD_0 src1_sel:DWORD
	v_mul_u32_u24_sdwa v53, v53, s4 dst_sel:DWORD dst_unused:UNUSED_PAD src0_sel:WORD_1 src1_sel:DWORD
	s_waitcnt lgkmcnt(0)
	v_pk_fma_f16 v13, v44, v49, v13
	v_pk_fma_f16 v51, v44, v50, v51
	;; [unrolled: 1-line block ×7, first 2 shown]
	v_mul_u32_u24_sdwa v48, v54, s4 dst_sel:DWORD dst_unused:UNUSED_PAD src0_sel:WORD_1 src1_sel:DWORD
	v_mul_u32_u24_sdwa v49, v55, s4 dst_sel:DWORD dst_unused:UNUSED_PAD src0_sel:WORD_0 src1_sel:DWORD
	v_pk_fma_f16 v10, v45, v53, v10
	v_mul_u32_u24_sdwa v52, v55, s4 dst_sel:DWORD dst_unused:UNUSED_PAD src0_sel:WORD_1 src1_sel:DWORD
	v_pk_fma_f16 v61, v46, v48, v51
	v_pk_fma_f16 v8, v46, v49, v8
	;; [unrolled: 1-line block ×4, first 2 shown]
	ds_read_b128 v[48:51], v21 offset:17536
	v_mul_u32_u24_sdwa v45, v54, s4 dst_sel:DWORD dst_unused:UNUSED_PAD src0_sel:WORD_0 src1_sel:DWORD
	v_pk_fma_f16 v63, v47, v52, v10
	v_add_u32_e32 v10, 0x1000, v41
	v_pk_fma_f16 v13, v46, v45, v13
	v_pk_fma_f16 v14, v46, v52, v14
	;; [unrolled: 1-line block ×3, first 2 shown]
	ds_read2_b64 v[44:47], v10 offset1:32
	ds_read_b128 v[52:55], v21 offset:17552
	s_waitcnt lgkmcnt(2)
	v_mul_u32_u24_sdwa v64, v48, s4 dst_sel:DWORD dst_unused:UNUSED_PAD src0_sel:WORD_0 src1_sel:DWORD
	v_mul_u32_u24_sdwa v48, v48, s4 dst_sel:DWORD dst_unused:UNUSED_PAD src0_sel:WORD_1 src1_sel:DWORD
	v_mul_u32_u24_sdwa v65, v49, s4 dst_sel:DWORD dst_unused:UNUSED_PAD src0_sel:WORD_0 src1_sel:DWORD
	v_mul_u32_u24_sdwa v49, v49, s4 dst_sel:DWORD dst_unused:UNUSED_PAD src0_sel:WORD_1 src1_sel:DWORD
	s_waitcnt lgkmcnt(1)
	v_pk_fma_f16 v13, v44, v64, v13
	v_pk_fma_f16 v61, v44, v48, v61
	;; [unrolled: 1-line block ×8, first 2 shown]
	v_mul_u32_u24_sdwa v48, v50, s4 dst_sel:DWORD dst_unused:UNUSED_PAD src0_sel:WORD_0 src1_sel:DWORD
	v_mul_u32_u24_sdwa v49, v50, s4 dst_sel:DWORD dst_unused:UNUSED_PAD src0_sel:WORD_1 src1_sel:DWORD
	v_mul_u32_u24_sdwa v50, v51, s4 dst_sel:DWORD dst_unused:UNUSED_PAD src0_sel:WORD_0 src1_sel:DWORD
	v_mul_u32_u24_sdwa v51, v51, s4 dst_sel:DWORD dst_unused:UNUSED_PAD src0_sel:WORD_1 src1_sel:DWORD
	v_pk_fma_f16 v13, v46, v48, v13
	v_pk_fma_f16 v61, v46, v49, v61
	;; [unrolled: 1-line block ×8, first 2 shown]
	ds_read2_b64 v[44:47], v10 offset0:64 offset1:96
	s_waitcnt lgkmcnt(1)
	v_mul_u32_u24_sdwa v15, v52, s4 dst_sel:DWORD dst_unused:UNUSED_PAD src0_sel:WORD_0 src1_sel:DWORD
	v_mul_u32_u24_sdwa v49, v52, s4 dst_sel:DWORD dst_unused:UNUSED_PAD src0_sel:WORD_1 src1_sel:DWORD
	v_mul_u32_u24_sdwa v52, v53, s4 dst_sel:DWORD dst_unused:UNUSED_PAD src0_sel:WORD_0 src1_sel:DWORD
	v_mul_u32_u24_sdwa v53, v53, s4 dst_sel:DWORD dst_unused:UNUSED_PAD src0_sel:WORD_1 src1_sel:DWORD
	s_waitcnt lgkmcnt(0)
	v_pk_fma_f16 v13, v44, v15, v13
	v_pk_fma_f16 v61, v44, v49, v61
	;; [unrolled: 1-line block ×5, first 2 shown]
	v_lshl_add_u64 v[14:15], s[6:7], 0, v[22:23]
	v_add_u32_e32 v8, 0x1800, v41
	v_lshl_add_u64 v[14:15], v[14:15], 0, v[4:5]
	v_cmp_gt_i32_e32 vcc, s2, v43
	v_pk_fma_f16 v113, v45, v49, v48
	ds_read2_b64 v[48:51], v10 offset0:128 offset1:160
	ds_read2_b64 v[62:65], v10 offset0:192 offset1:224
	ds_read_b128 v[66:69], v21 offset:17568
	ds_read_b128 v[70:73], v21 offset:17584
	ds_read2_b64 v[74:77], v8 offset1:32
	ds_read2_b64 v[78:81], v8 offset0:64 offset1:96
	ds_read_b128 v[82:85], v21 offset:17600
	ds_read_b128 v[86:89], v21 offset:17616
	ds_read2_b64 v[90:93], v8 offset0:128 offset1:160
	ds_read2_b64 v[94:97], v8 offset0:192 offset1:224
	ds_read_b128 v[98:101], v21 offset:17632
	ds_read_b128 v[102:105], v21 offset:17648
	s_waitcnt lgkmcnt(0)
	s_barrier
	scratch_store_dword off, v5, off
	scratch_store_dwordx3 off, v[58:60], off offset:4
	v_cndmask_b32_e32 v15, v24, v15, vcc
	v_cndmask_b32_e32 v14, v25, v14, vcc
	flat_load_dwordx4 v[106:109], v[14:15]
	v_cmp_gt_i32_e32 vcc, s2, v12
	v_pk_fma_f16 v14, v45, v52, v110
	v_pk_fma_f16 v15, v45, v53, v111
	v_mul_u32_u24_sdwa v22, v54, s4 dst_sel:DWORD dst_unused:UNUSED_PAD src0_sel:WORD_0 src1_sel:DWORD
	v_mul_u32_u24_sdwa v23, v54, s4 dst_sel:DWORD dst_unused:UNUSED_PAD src0_sel:WORD_1 src1_sel:DWORD
	v_mul_u32_u24_sdwa v43, v55, s4 dst_sel:DWORD dst_unused:UNUSED_PAD src0_sel:WORD_0 src1_sel:DWORD
	v_mul_u32_u24_sdwa v45, v55, s4 dst_sel:DWORD dst_unused:UNUSED_PAD src0_sel:WORD_1 src1_sel:DWORD
	v_pk_fma_f16 v13, v46, v22, v13
	v_pk_fma_f16 v52, v46, v23, v61
	v_pk_fma_f16 v53, v46, v43, v112
	v_pk_fma_f16 v44, v46, v45, v44
	v_pk_fma_f16 v22, v47, v22, v31
	v_pk_fma_f16 v23, v47, v23, v113
	v_pk_fma_f16 v14, v47, v43, v14
	v_pk_fma_f16 v15, v47, v45, v15
	v_mul_u32_u24_sdwa v31, v66, s4 dst_sel:DWORD dst_unused:UNUSED_PAD src0_sel:WORD_0 src1_sel:DWORD
	v_mul_u32_u24_sdwa v43, v66, s4 dst_sel:DWORD dst_unused:UNUSED_PAD src0_sel:WORD_1 src1_sel:DWORD
	v_mul_u32_u24_sdwa v45, v67, s4 dst_sel:DWORD dst_unused:UNUSED_PAD src0_sel:WORD_0 src1_sel:DWORD
	v_mul_u32_u24_sdwa v46, v67, s4 dst_sel:DWORD dst_unused:UNUSED_PAD src0_sel:WORD_1 src1_sel:DWORD
	v_pk_fma_f16 v13, v48, v31, v13
	v_pk_fma_f16 v47, v48, v43, v52
	v_pk_fma_f16 v52, v48, v45, v53
	v_pk_fma_f16 v44, v48, v46, v44
	v_pk_fma_f16 v22, v49, v31, v22
	v_pk_fma_f16 v23, v49, v43, v23
	;; [unrolled: 12-line block ×6, first 2 shown]
	v_pk_fma_f16 v14, v75, v45, v14
	v_pk_fma_f16 v15, v75, v46, v15
	v_mul_u32_u24_sdwa v31, v84, s4 dst_sel:DWORD dst_unused:UNUSED_PAD src0_sel:WORD_0 src1_sel:DWORD
	v_mul_u32_u24_sdwa v43, v84, s4 dst_sel:DWORD dst_unused:UNUSED_PAD src0_sel:WORD_1 src1_sel:DWORD
	v_mul_u32_u24_sdwa v45, v85, s4 dst_sel:DWORD dst_unused:UNUSED_PAD src0_sel:WORD_0 src1_sel:DWORD
	v_mul_u32_u24_sdwa v46, v85, s4 dst_sel:DWORD dst_unused:UNUSED_PAD src0_sel:WORD_1 src1_sel:DWORD
	s_waitcnt vmcnt(0) lgkmcnt(0)
	ds_write_b128 v42, v[106:109]
	scratch_store_dword off, v5, off
	scratch_store_dwordx3 off, v[58:60], off offset:4
	v_lshl_add_u64 v[4:5], v[6:7], 0, v[4:5]
	v_cndmask_b32_e32 v5, v24, v5, vcc
	v_cndmask_b32_e32 v4, v25, v4, vcc
	flat_load_dwordx4 v[4:7], v[4:5]
	v_pk_fma_f16 v13, v76, v31, v13
	v_pk_fma_f16 v12, v76, v43, v47
	v_pk_fma_f16 v24, v76, v45, v48
	v_pk_fma_f16 v25, v76, v46, v44
	v_pk_fma_f16 v22, v77, v31, v22
	v_pk_fma_f16 v23, v77, v43, v23
	v_pk_fma_f16 v14, v77, v45, v14
	v_pk_fma_f16 v15, v77, v46, v15
	v_mul_u32_u24_sdwa v31, v86, s4 dst_sel:DWORD dst_unused:UNUSED_PAD src0_sel:WORD_0 src1_sel:DWORD
	v_mul_u32_u24_sdwa v42, v86, s4 dst_sel:DWORD dst_unused:UNUSED_PAD src0_sel:WORD_1 src1_sel:DWORD
	v_mul_u32_u24_sdwa v43, v87, s4 dst_sel:DWORD dst_unused:UNUSED_PAD src0_sel:WORD_0 src1_sel:DWORD
	v_mul_u32_u24_sdwa v44, v87, s4 dst_sel:DWORD dst_unused:UNUSED_PAD src0_sel:WORD_1 src1_sel:DWORD
	v_pk_fma_f16 v13, v78, v31, v13
	v_pk_fma_f16 v12, v78, v42, v12
	v_pk_fma_f16 v24, v78, v43, v24
	v_pk_fma_f16 v25, v78, v44, v25
	v_pk_fma_f16 v22, v79, v31, v22
	v_pk_fma_f16 v23, v79, v42, v23
	v_pk_fma_f16 v14, v79, v43, v14
	v_pk_fma_f16 v15, v79, v44, v15
	v_mul_u32_u24_sdwa v31, v88, s4 dst_sel:DWORD dst_unused:UNUSED_PAD src0_sel:WORD_0 src1_sel:DWORD
	v_mul_u32_u24_sdwa v42, v88, s4 dst_sel:DWORD dst_unused:UNUSED_PAD src0_sel:WORD_1 src1_sel:DWORD
	v_mul_u32_u24_sdwa v43, v89, s4 dst_sel:DWORD dst_unused:UNUSED_PAD src0_sel:WORD_0 src1_sel:DWORD
	v_mul_u32_u24_sdwa v44, v89, s4 dst_sel:DWORD dst_unused:UNUSED_PAD src0_sel:WORD_1 src1_sel:DWORD
	;; [unrolled: 12-line block ×6, first 2 shown]
	v_pk_fma_f16 v50, v96, v31, v13
	v_pk_fma_f16 v51, v96, v42, v12
	;; [unrolled: 1-line block ×8, first 2 shown]
	s_waitcnt vmcnt(0) lgkmcnt(0)
	ds_write_b128 v11, v[4:7]
	s_waitcnt lgkmcnt(0)
	s_barrier
	ds_read_b128 v[4:7], v21 offset:17664
	ds_read2_b64 v[12:15], v41 offset1:32
	ds_read_b128 v[22:25], v21 offset:17680
	ds_read_b128 v[42:45], v21 offset:17696
	;; [unrolled: 1-line block ×3, first 2 shown]
	s_waitcnt lgkmcnt(4)
	v_mul_u32_u24_sdwa v11, v4, s4 dst_sel:DWORD dst_unused:UNUSED_PAD src0_sel:WORD_0 src1_sel:DWORD
	v_mul_u32_u24_sdwa v4, v4, s4 dst_sel:DWORD dst_unused:UNUSED_PAD src0_sel:WORD_1 src1_sel:DWORD
	v_mul_u32_u24_sdwa v59, v5, s4 dst_sel:DWORD dst_unused:UNUSED_PAD src0_sel:WORD_0 src1_sel:DWORD
	v_mul_u32_u24_sdwa v5, v5, s4 dst_sel:DWORD dst_unused:UNUSED_PAD src0_sel:WORD_1 src1_sel:DWORD
	s_waitcnt lgkmcnt(3)
	v_pk_fma_f16 v50, v12, v11, v50
	v_pk_fma_f16 v51, v12, v4, v51
	;; [unrolled: 1-line block ×8, first 2 shown]
	v_mul_u32_u24_sdwa v13, v6, s4 dst_sel:DWORD dst_unused:UNUSED_PAD src0_sel:WORD_0 src1_sel:DWORD
	v_mul_u32_u24_sdwa v6, v6, s4 dst_sel:DWORD dst_unused:UNUSED_PAD src0_sel:WORD_1 src1_sel:DWORD
	v_mul_u32_u24_sdwa v53, v7, s4 dst_sel:DWORD dst_unused:UNUSED_PAD src0_sel:WORD_0 src1_sel:DWORD
	v_mul_u32_u24_sdwa v7, v7, s4 dst_sel:DWORD dst_unused:UNUSED_PAD src0_sel:WORD_1 src1_sel:DWORD
	v_pk_fma_f16 v50, v14, v13, v50
	v_pk_fma_f16 v51, v14, v6, v51
	;; [unrolled: 1-line block ×8, first 2 shown]
	ds_read2_b64 v[4:7], v41 offset0:64 offset1:96
	s_waitcnt lgkmcnt(3)
	v_mul_u32_u24_sdwa v31, v22, s4 dst_sel:DWORD dst_unused:UNUSED_PAD src0_sel:WORD_0 src1_sel:DWORD
	v_mul_u32_u24_sdwa v22, v22, s4 dst_sel:DWORD dst_unused:UNUSED_PAD src0_sel:WORD_1 src1_sel:DWORD
	v_mul_u32_u24_sdwa v53, v23, s4 dst_sel:DWORD dst_unused:UNUSED_PAD src0_sel:WORD_0 src1_sel:DWORD
	v_mul_u32_u24_sdwa v23, v23, s4 dst_sel:DWORD dst_unused:UNUSED_PAD src0_sel:WORD_1 src1_sel:DWORD
	s_waitcnt lgkmcnt(0)
	v_pk_fma_f16 v50, v4, v31, v50
	v_pk_fma_f16 v51, v4, v22, v51
	;; [unrolled: 1-line block ×8, first 2 shown]
	v_mul_u32_u24_sdwa v14, v24, s4 dst_sel:DWORD dst_unused:UNUSED_PAD src0_sel:WORD_0 src1_sel:DWORD
	v_mul_u32_u24_sdwa v15, v24, s4 dst_sel:DWORD dst_unused:UNUSED_PAD src0_sel:WORD_1 src1_sel:DWORD
	v_mul_u32_u24_sdwa v22, v25, s4 dst_sel:DWORD dst_unused:UNUSED_PAD src0_sel:WORD_0 src1_sel:DWORD
	v_mul_u32_u24_sdwa v23, v25, s4 dst_sel:DWORD dst_unused:UNUSED_PAD src0_sel:WORD_1 src1_sel:DWORD
	v_pk_fma_f16 v24, v6, v14, v50
	v_pk_fma_f16 v25, v6, v15, v51
	;; [unrolled: 1-line block ×8, first 2 shown]
	ds_read2_b64 v[4:7], v41 offset0:128 offset1:160
	v_mul_u32_u24_sdwa v15, v42, s4 dst_sel:DWORD dst_unused:UNUSED_PAD src0_sel:WORD_0 src1_sel:DWORD
	v_mul_u32_u24_sdwa v22, v42, s4 dst_sel:DWORD dst_unused:UNUSED_PAD src0_sel:WORD_1 src1_sel:DWORD
	v_mul_u32_u24_sdwa v23, v43, s4 dst_sel:DWORD dst_unused:UNUSED_PAD src0_sel:WORD_0 src1_sel:DWORD
	v_mul_u32_u24_sdwa v42, v43, s4 dst_sel:DWORD dst_unused:UNUSED_PAD src0_sel:WORD_1 src1_sel:DWORD
	s_waitcnt lgkmcnt(0)
	v_pk_fma_f16 v24, v4, v15, v24
	v_pk_fma_f16 v25, v4, v22, v25
	;; [unrolled: 1-line block ×8, first 2 shown]
	v_mul_u32_u24_sdwa v14, v44, s4 dst_sel:DWORD dst_unused:UNUSED_PAD src0_sel:WORD_0 src1_sel:DWORD
	v_mul_u32_u24_sdwa v15, v44, s4 dst_sel:DWORD dst_unused:UNUSED_PAD src0_sel:WORD_1 src1_sel:DWORD
	v_mul_u32_u24_sdwa v22, v45, s4 dst_sel:DWORD dst_unused:UNUSED_PAD src0_sel:WORD_0 src1_sel:DWORD
	v_mul_u32_u24_sdwa v23, v45, s4 dst_sel:DWORD dst_unused:UNUSED_PAD src0_sel:WORD_1 src1_sel:DWORD
	v_pk_fma_f16 v24, v6, v14, v24
	v_pk_fma_f16 v25, v6, v15, v25
	;; [unrolled: 1-line block ×8, first 2 shown]
	ds_read2_b64 v[4:7], v41 offset0:192 offset1:224
	v_mul_u32_u24_sdwa v15, v46, s4 dst_sel:DWORD dst_unused:UNUSED_PAD src0_sel:WORD_0 src1_sel:DWORD
	v_mul_u32_u24_sdwa v22, v46, s4 dst_sel:DWORD dst_unused:UNUSED_PAD src0_sel:WORD_1 src1_sel:DWORD
	v_mul_u32_u24_sdwa v23, v47, s4 dst_sel:DWORD dst_unused:UNUSED_PAD src0_sel:WORD_0 src1_sel:DWORD
	v_mul_u32_u24_sdwa v41, v47, s4 dst_sel:DWORD dst_unused:UNUSED_PAD src0_sel:WORD_1 src1_sel:DWORD
	s_waitcnt lgkmcnt(0)
	v_pk_fma_f16 v24, v4, v15, v24
	v_pk_fma_f16 v25, v4, v22, v25
	;; [unrolled: 1-line block ×6, first 2 shown]
	v_mul_u32_u24_sdwa v13, v48, s4 dst_sel:DWORD dst_unused:UNUSED_PAD src0_sel:WORD_0 src1_sel:DWORD
	v_mul_u32_u24_sdwa v14, v48, s4 dst_sel:DWORD dst_unused:UNUSED_PAD src0_sel:WORD_1 src1_sel:DWORD
	v_pk_fma_f16 v31, v4, v23, v31
	v_pk_fma_f16 v4, v4, v41, v42
	;; [unrolled: 1-line block ×6, first 2 shown]
	ds_read_b128 v[12:15], v21 offset:17728
	v_mul_u32_u24_sdwa v23, v49, s4 dst_sel:DWORD dst_unused:UNUSED_PAD src0_sel:WORD_0 src1_sel:DWORD
	v_mul_u32_u24_sdwa v41, v49, s4 dst_sel:DWORD dst_unused:UNUSED_PAD src0_sel:WORD_1 src1_sel:DWORD
	v_pk_fma_f16 v31, v6, v23, v31
	v_pk_fma_f16 v44, v6, v41, v4
	;; [unrolled: 1-line block ×4, first 2 shown]
	ds_read2_b64 v[4:7], v9 offset1:32
	ds_read_b128 v[22:25], v21 offset:17744
	s_waitcnt lgkmcnt(2)
	v_mul_u32_u24_sdwa v47, v12, s4 dst_sel:DWORD dst_unused:UNUSED_PAD src0_sel:WORD_0 src1_sel:DWORD
	v_mul_u32_u24_sdwa v12, v12, s4 dst_sel:DWORD dst_unused:UNUSED_PAD src0_sel:WORD_1 src1_sel:DWORD
	v_mul_u32_u24_sdwa v48, v13, s4 dst_sel:DWORD dst_unused:UNUSED_PAD src0_sel:WORD_0 src1_sel:DWORD
	v_mul_u32_u24_sdwa v13, v13, s4 dst_sel:DWORD dst_unused:UNUSED_PAD src0_sel:WORD_1 src1_sel:DWORD
	s_waitcnt lgkmcnt(1)
	v_pk_fma_f16 v42, v4, v47, v42
	v_pk_fma_f16 v43, v4, v12, v43
	;; [unrolled: 1-line block ×8, first 2 shown]
	v_mul_u32_u24_sdwa v13, v14, s4 dst_sel:DWORD dst_unused:UNUSED_PAD src0_sel:WORD_0 src1_sel:DWORD
	v_mul_u32_u24_sdwa v14, v14, s4 dst_sel:DWORD dst_unused:UNUSED_PAD src0_sel:WORD_1 src1_sel:DWORD
	v_mul_u32_u24_sdwa v41, v15, s4 dst_sel:DWORD dst_unused:UNUSED_PAD src0_sel:WORD_0 src1_sel:DWORD
	v_mul_u32_u24_sdwa v15, v15, s4 dst_sel:DWORD dst_unused:UNUSED_PAD src0_sel:WORD_1 src1_sel:DWORD
	v_pk_fma_f16 v42, v6, v13, v42
	v_pk_fma_f16 v43, v6, v14, v43
	;; [unrolled: 1-line block ×8, first 2 shown]
	ds_read2_b64 v[4:7], v9 offset0:64 offset1:96
	s_waitcnt lgkmcnt(1)
	v_mul_u32_u24_sdwa v15, v22, s4 dst_sel:DWORD dst_unused:UNUSED_PAD src0_sel:WORD_0 src1_sel:DWORD
	v_mul_u32_u24_sdwa v22, v22, s4 dst_sel:DWORD dst_unused:UNUSED_PAD src0_sel:WORD_1 src1_sel:DWORD
	v_mul_u32_u24_sdwa v41, v23, s4 dst_sel:DWORD dst_unused:UNUSED_PAD src0_sel:WORD_0 src1_sel:DWORD
	v_mul_u32_u24_sdwa v23, v23, s4 dst_sel:DWORD dst_unused:UNUSED_PAD src0_sel:WORD_1 src1_sel:DWORD
	s_waitcnt lgkmcnt(0)
	v_pk_fma_f16 v42, v4, v15, v42
	v_pk_fma_f16 v43, v4, v22, v43
	;; [unrolled: 1-line block ×6, first 2 shown]
	v_mul_u32_u24_sdwa v13, v24, s4 dst_sel:DWORD dst_unused:UNUSED_PAD src0_sel:WORD_0 src1_sel:DWORD
	v_mul_u32_u24_sdwa v14, v24, s4 dst_sel:DWORD dst_unused:UNUSED_PAD src0_sel:WORD_1 src1_sel:DWORD
	v_pk_fma_f16 v31, v4, v41, v31
	v_pk_fma_f16 v41, v6, v13, v42
	;; [unrolled: 1-line block ×5, first 2 shown]
	ds_read_b128 v[12:15], v21 offset:17760
	v_pk_fma_f16 v4, v4, v23, v45
	v_mul_u32_u24_sdwa v23, v25, s4 dst_sel:DWORD dst_unused:UNUSED_PAD src0_sel:WORD_0 src1_sel:DWORD
	v_mul_u32_u24_sdwa v24, v25, s4 dst_sel:DWORD dst_unused:UNUSED_PAD src0_sel:WORD_1 src1_sel:DWORD
	v_pk_fma_f16 v31, v6, v23, v31
	v_pk_fma_f16 v43, v6, v24, v4
	v_pk_fma_f16 v45, v7, v23, v22
	v_pk_fma_f16 v46, v7, v24, v5
	ds_read2_b64 v[4:7], v9 offset0:128 offset1:160
	ds_read_b128 v[22:25], v21 offset:17776
	s_waitcnt lgkmcnt(2)
	v_mul_u32_u24_sdwa v47, v12, s4 dst_sel:DWORD dst_unused:UNUSED_PAD src0_sel:WORD_0 src1_sel:DWORD
	v_mul_u32_u24_sdwa v12, v12, s4 dst_sel:DWORD dst_unused:UNUSED_PAD src0_sel:WORD_1 src1_sel:DWORD
	v_mul_u32_u24_sdwa v48, v13, s4 dst_sel:DWORD dst_unused:UNUSED_PAD src0_sel:WORD_0 src1_sel:DWORD
	v_mul_u32_u24_sdwa v13, v13, s4 dst_sel:DWORD dst_unused:UNUSED_PAD src0_sel:WORD_1 src1_sel:DWORD
	s_waitcnt lgkmcnt(1)
	v_pk_fma_f16 v41, v4, v47, v41
	v_pk_fma_f16 v42, v4, v12, v42
	;; [unrolled: 1-line block ×8, first 2 shown]
	v_mul_u32_u24_sdwa v13, v14, s4 dst_sel:DWORD dst_unused:UNUSED_PAD src0_sel:WORD_0 src1_sel:DWORD
	v_mul_u32_u24_sdwa v14, v14, s4 dst_sel:DWORD dst_unused:UNUSED_PAD src0_sel:WORD_1 src1_sel:DWORD
	v_mul_u32_u24_sdwa v44, v15, s4 dst_sel:DWORD dst_unused:UNUSED_PAD src0_sel:WORD_0 src1_sel:DWORD
	v_mul_u32_u24_sdwa v15, v15, s4 dst_sel:DWORD dst_unused:UNUSED_PAD src0_sel:WORD_1 src1_sel:DWORD
	v_pk_fma_f16 v41, v6, v13, v41
	v_pk_fma_f16 v42, v6, v14, v42
	;; [unrolled: 1-line block ×8, first 2 shown]
	ds_read2_b64 v[4:7], v9 offset0:192 offset1:224
	s_waitcnt lgkmcnt(1)
	v_mul_u32_u24_sdwa v9, v22, s4 dst_sel:DWORD dst_unused:UNUSED_PAD src0_sel:WORD_0 src1_sel:DWORD
	v_mul_u32_u24_sdwa v15, v22, s4 dst_sel:DWORD dst_unused:UNUSED_PAD src0_sel:WORD_1 src1_sel:DWORD
	v_mul_u32_u24_sdwa v22, v23, s4 dst_sel:DWORD dst_unused:UNUSED_PAD src0_sel:WORD_0 src1_sel:DWORD
	v_mul_u32_u24_sdwa v23, v23, s4 dst_sel:DWORD dst_unused:UNUSED_PAD src0_sel:WORD_1 src1_sel:DWORD
	s_waitcnt lgkmcnt(0)
	v_pk_fma_f16 v41, v4, v9, v41
	v_pk_fma_f16 v42, v4, v15, v42
	;; [unrolled: 1-line block ×6, first 2 shown]
	v_mul_u32_u24_sdwa v12, v24, s4 dst_sel:DWORD dst_unused:UNUSED_PAD src0_sel:WORD_0 src1_sel:DWORD
	v_mul_u32_u24_sdwa v13, v24, s4 dst_sel:DWORD dst_unused:UNUSED_PAD src0_sel:WORD_1 src1_sel:DWORD
	v_pk_fma_f16 v5, v5, v23, v14
	v_pk_fma_f16 v41, v6, v12, v41
	;; [unrolled: 1-line block ×5, first 2 shown]
	ds_read_b128 v[12:15], v21 offset:17792
	v_pk_fma_f16 v4, v4, v23, v45
	v_mul_u32_u24_sdwa v23, v25, s4 dst_sel:DWORD dst_unused:UNUSED_PAD src0_sel:WORD_0 src1_sel:DWORD
	v_mul_u32_u24_sdwa v24, v25, s4 dst_sel:DWORD dst_unused:UNUSED_PAD src0_sel:WORD_1 src1_sel:DWORD
	v_pk_fma_f16 v31, v6, v23, v31
	v_pk_fma_f16 v43, v6, v24, v4
	;; [unrolled: 1-line block ×4, first 2 shown]
	ds_read2_b64 v[4:7], v10 offset1:32
	ds_read_b128 v[22:25], v21 offset:17808
	s_waitcnt lgkmcnt(2)
	v_mul_u32_u24_sdwa v46, v12, s4 dst_sel:DWORD dst_unused:UNUSED_PAD src0_sel:WORD_0 src1_sel:DWORD
	v_mul_u32_u24_sdwa v12, v12, s4 dst_sel:DWORD dst_unused:UNUSED_PAD src0_sel:WORD_1 src1_sel:DWORD
	v_mul_u32_u24_sdwa v47, v13, s4 dst_sel:DWORD dst_unused:UNUSED_PAD src0_sel:WORD_0 src1_sel:DWORD
	v_mul_u32_u24_sdwa v13, v13, s4 dst_sel:DWORD dst_unused:UNUSED_PAD src0_sel:WORD_1 src1_sel:DWORD
	s_waitcnt lgkmcnt(1)
	v_pk_fma_f16 v41, v4, v46, v41
	v_pk_fma_f16 v42, v4, v12, v42
	;; [unrolled: 1-line block ×8, first 2 shown]
	v_mul_u32_u24_sdwa v13, v14, s4 dst_sel:DWORD dst_unused:UNUSED_PAD src0_sel:WORD_0 src1_sel:DWORD
	v_mul_u32_u24_sdwa v14, v14, s4 dst_sel:DWORD dst_unused:UNUSED_PAD src0_sel:WORD_1 src1_sel:DWORD
	v_mul_u32_u24_sdwa v43, v15, s4 dst_sel:DWORD dst_unused:UNUSED_PAD src0_sel:WORD_0 src1_sel:DWORD
	v_mul_u32_u24_sdwa v15, v15, s4 dst_sel:DWORD dst_unused:UNUSED_PAD src0_sel:WORD_1 src1_sel:DWORD
	v_pk_fma_f16 v41, v6, v13, v41
	v_pk_fma_f16 v42, v6, v14, v42
	;; [unrolled: 1-line block ×8, first 2 shown]
	ds_read2_b64 v[4:7], v10 offset0:64 offset1:96
	s_waitcnt lgkmcnt(1)
	v_mul_u32_u24_sdwa v14, v22, s4 dst_sel:DWORD dst_unused:UNUSED_PAD src0_sel:WORD_0 src1_sel:DWORD
	v_mul_u32_u24_sdwa v15, v22, s4 dst_sel:DWORD dst_unused:UNUSED_PAD src0_sel:WORD_1 src1_sel:DWORD
	v_mul_u32_u24_sdwa v22, v23, s4 dst_sel:DWORD dst_unused:UNUSED_PAD src0_sel:WORD_0 src1_sel:DWORD
	v_mul_u32_u24_sdwa v23, v23, s4 dst_sel:DWORD dst_unused:UNUSED_PAD src0_sel:WORD_1 src1_sel:DWORD
	s_waitcnt lgkmcnt(0)
	v_pk_fma_f16 v41, v4, v14, v41
	v_pk_fma_f16 v42, v4, v15, v42
	v_pk_fma_f16 v31, v4, v22, v31
	v_pk_fma_f16 v9, v5, v14, v9
	v_pk_fma_f16 v11, v5, v15, v11
	v_pk_fma_f16 v22, v5, v22, v12
	v_pk_fma_f16 v5, v5, v23, v13
	v_mul_u32_u24_sdwa v12, v24, s4 dst_sel:DWORD dst_unused:UNUSED_PAD src0_sel:WORD_0 src1_sel:DWORD
	v_mul_u32_u24_sdwa v13, v24, s4 dst_sel:DWORD dst_unused:UNUSED_PAD src0_sel:WORD_1 src1_sel:DWORD
	v_pk_fma_f16 v41, v6, v12, v41
	v_pk_fma_f16 v42, v6, v13, v42
	;; [unrolled: 1-line block ×4, first 2 shown]
	ds_read_b128 v[12:15], v21 offset:17824
	v_pk_fma_f16 v4, v4, v23, v44
	v_mul_u32_u24_sdwa v23, v25, s4 dst_sel:DWORD dst_unused:UNUSED_PAD src0_sel:WORD_0 src1_sel:DWORD
	v_mul_u32_u24_sdwa v24, v25, s4 dst_sel:DWORD dst_unused:UNUSED_PAD src0_sel:WORD_1 src1_sel:DWORD
	v_pk_fma_f16 v31, v6, v23, v31
	v_pk_fma_f16 v43, v6, v24, v4
	v_pk_fma_f16 v44, v7, v23, v22
	v_pk_fma_f16 v45, v7, v24, v5
	ds_read2_b64 v[4:7], v10 offset0:128 offset1:160
	ds_read_b128 v[22:25], v21 offset:17840
	s_waitcnt lgkmcnt(2)
	v_mul_u32_u24_sdwa v46, v12, s4 dst_sel:DWORD dst_unused:UNUSED_PAD src0_sel:WORD_0 src1_sel:DWORD
	v_mul_u32_u24_sdwa v12, v12, s4 dst_sel:DWORD dst_unused:UNUSED_PAD src0_sel:WORD_1 src1_sel:DWORD
	v_mul_u32_u24_sdwa v47, v13, s4 dst_sel:DWORD dst_unused:UNUSED_PAD src0_sel:WORD_0 src1_sel:DWORD
	v_mul_u32_u24_sdwa v13, v13, s4 dst_sel:DWORD dst_unused:UNUSED_PAD src0_sel:WORD_1 src1_sel:DWORD
	s_waitcnt lgkmcnt(1)
	v_pk_fma_f16 v41, v4, v46, v41
	v_pk_fma_f16 v42, v4, v12, v42
	;; [unrolled: 1-line block ×8, first 2 shown]
	v_mul_u32_u24_sdwa v13, v14, s4 dst_sel:DWORD dst_unused:UNUSED_PAD src0_sel:WORD_0 src1_sel:DWORD
	v_mul_u32_u24_sdwa v14, v14, s4 dst_sel:DWORD dst_unused:UNUSED_PAD src0_sel:WORD_1 src1_sel:DWORD
	v_mul_u32_u24_sdwa v43, v15, s4 dst_sel:DWORD dst_unused:UNUSED_PAD src0_sel:WORD_0 src1_sel:DWORD
	v_mul_u32_u24_sdwa v15, v15, s4 dst_sel:DWORD dst_unused:UNUSED_PAD src0_sel:WORD_1 src1_sel:DWORD
	v_pk_fma_f16 v41, v6, v13, v41
	v_pk_fma_f16 v42, v6, v14, v42
	;; [unrolled: 1-line block ×8, first 2 shown]
	ds_read2_b64 v[4:7], v10 offset0:192 offset1:224
	s_waitcnt lgkmcnt(1)
	v_mul_u32_u24_sdwa v10, v22, s4 dst_sel:DWORD dst_unused:UNUSED_PAD src0_sel:WORD_0 src1_sel:DWORD
	v_mul_u32_u24_sdwa v14, v22, s4 dst_sel:DWORD dst_unused:UNUSED_PAD src0_sel:WORD_1 src1_sel:DWORD
	v_mul_u32_u24_sdwa v15, v23, s4 dst_sel:DWORD dst_unused:UNUSED_PAD src0_sel:WORD_0 src1_sel:DWORD
	v_mul_u32_u24_sdwa v22, v23, s4 dst_sel:DWORD dst_unused:UNUSED_PAD src0_sel:WORD_1 src1_sel:DWORD
	s_waitcnt lgkmcnt(0)
	v_pk_fma_f16 v23, v4, v10, v41
	v_pk_fma_f16 v41, v4, v14, v42
	;; [unrolled: 1-line block ×5, first 2 shown]
	v_mul_u32_u24_sdwa v11, v24, s4 dst_sel:DWORD dst_unused:UNUSED_PAD src0_sel:WORD_0 src1_sel:DWORD
	v_mul_u32_u24_sdwa v12, v24, s4 dst_sel:DWORD dst_unused:UNUSED_PAD src0_sel:WORD_1 src1_sel:DWORD
	v_pk_fma_f16 v31, v4, v15, v31
	v_pk_fma_f16 v4, v4, v22, v44
	;; [unrolled: 1-line block ×7, first 2 shown]
	ds_read_b128 v[10:13], v21 offset:17856
	v_mul_u32_u24_sdwa v15, v25, s4 dst_sel:DWORD dst_unused:UNUSED_PAD src0_sel:WORD_0 src1_sel:DWORD
	v_mul_u32_u24_sdwa v22, v25, s4 dst_sel:DWORD dst_unused:UNUSED_PAD src0_sel:WORD_1 src1_sel:DWORD
	v_pk_fma_f16 v31, v6, v15, v31
	v_pk_fma_f16 v43, v6, v22, v4
	;; [unrolled: 1-line block ×4, first 2 shown]
	ds_read2_b64 v[4:7], v8 offset1:32
	ds_read_b128 v[22:25], v21 offset:17872
	s_waitcnt lgkmcnt(2)
	v_mul_u32_u24_sdwa v45, v10, s4 dst_sel:DWORD dst_unused:UNUSED_PAD src0_sel:WORD_0 src1_sel:DWORD
	v_mul_u32_u24_sdwa v10, v10, s4 dst_sel:DWORD dst_unused:UNUSED_PAD src0_sel:WORD_1 src1_sel:DWORD
	v_mul_u32_u24_sdwa v46, v11, s4 dst_sel:DWORD dst_unused:UNUSED_PAD src0_sel:WORD_0 src1_sel:DWORD
	v_mul_u32_u24_sdwa v11, v11, s4 dst_sel:DWORD dst_unused:UNUSED_PAD src0_sel:WORD_1 src1_sel:DWORD
	s_waitcnt lgkmcnt(1)
	v_pk_fma_f16 v42, v4, v45, v42
	v_pk_fma_f16 v41, v4, v10, v41
	;; [unrolled: 1-line block ×8, first 2 shown]
	v_mul_u32_u24_sdwa v11, v12, s4 dst_sel:DWORD dst_unused:UNUSED_PAD src0_sel:WORD_0 src1_sel:DWORD
	v_mul_u32_u24_sdwa v12, v12, s4 dst_sel:DWORD dst_unused:UNUSED_PAD src0_sel:WORD_1 src1_sel:DWORD
	v_mul_u32_u24_sdwa v15, v13, s4 dst_sel:DWORD dst_unused:UNUSED_PAD src0_sel:WORD_0 src1_sel:DWORD
	v_mul_u32_u24_sdwa v13, v13, s4 dst_sel:DWORD dst_unused:UNUSED_PAD src0_sel:WORD_1 src1_sel:DWORD
	v_pk_fma_f16 v42, v6, v11, v42
	v_pk_fma_f16 v41, v6, v12, v41
	;; [unrolled: 1-line block ×8, first 2 shown]
	ds_read2_b64 v[4:7], v8 offset0:64 offset1:96
	s_waitcnt lgkmcnt(1)
	v_mul_u32_u24_sdwa v13, v22, s4 dst_sel:DWORD dst_unused:UNUSED_PAD src0_sel:WORD_0 src1_sel:DWORD
	v_mul_u32_u24_sdwa v14, v22, s4 dst_sel:DWORD dst_unused:UNUSED_PAD src0_sel:WORD_1 src1_sel:DWORD
	v_mul_u32_u24_sdwa v15, v23, s4 dst_sel:DWORD dst_unused:UNUSED_PAD src0_sel:WORD_0 src1_sel:DWORD
	v_mul_u32_u24_sdwa v22, v23, s4 dst_sel:DWORD dst_unused:UNUSED_PAD src0_sel:WORD_1 src1_sel:DWORD
	s_waitcnt lgkmcnt(0)
	v_pk_fma_f16 v23, v4, v13, v42
	v_pk_fma_f16 v41, v4, v14, v41
	;; [unrolled: 1-line block ×6, first 2 shown]
	v_mul_u32_u24_sdwa v11, v24, s4 dst_sel:DWORD dst_unused:UNUSED_PAD src0_sel:WORD_0 src1_sel:DWORD
	v_mul_u32_u24_sdwa v12, v24, s4 dst_sel:DWORD dst_unused:UNUSED_PAD src0_sel:WORD_1 src1_sel:DWORD
	v_pk_fma_f16 v42, v6, v11, v23
	v_pk_fma_f16 v41, v6, v12, v41
	;; [unrolled: 1-line block ×4, first 2 shown]
	ds_read_b128 v[10:13], v21 offset:17888
	v_pk_fma_f16 v31, v4, v15, v31
	v_pk_fma_f16 v4, v4, v22, v43
	v_mul_u32_u24_sdwa v15, v25, s4 dst_sel:DWORD dst_unused:UNUSED_PAD src0_sel:WORD_0 src1_sel:DWORD
	v_mul_u32_u24_sdwa v22, v25, s4 dst_sel:DWORD dst_unused:UNUSED_PAD src0_sel:WORD_1 src1_sel:DWORD
	v_pk_fma_f16 v31, v6, v15, v31
	v_pk_fma_f16 v43, v6, v22, v4
	;; [unrolled: 1-line block ×4, first 2 shown]
	ds_read2_b64 v[4:7], v8 offset0:128 offset1:160
	ds_read_b128 v[22:25], v21 offset:17904
	s_waitcnt lgkmcnt(2)
	v_mul_u32_u24_sdwa v21, v10, s4 dst_sel:DWORD dst_unused:UNUSED_PAD src0_sel:WORD_0 src1_sel:DWORD
	v_mul_u32_u24_sdwa v10, v10, s4 dst_sel:DWORD dst_unused:UNUSED_PAD src0_sel:WORD_1 src1_sel:DWORD
	v_mul_u32_u24_sdwa v45, v11, s4 dst_sel:DWORD dst_unused:UNUSED_PAD src0_sel:WORD_0 src1_sel:DWORD
	v_mul_u32_u24_sdwa v11, v11, s4 dst_sel:DWORD dst_unused:UNUSED_PAD src0_sel:WORD_1 src1_sel:DWORD
	s_waitcnt lgkmcnt(1)
	v_pk_fma_f16 v42, v4, v21, v42
	v_pk_fma_f16 v41, v4, v10, v41
	;; [unrolled: 1-line block ×8, first 2 shown]
	v_mul_u32_u24_sdwa v11, v12, s4 dst_sel:DWORD dst_unused:UNUSED_PAD src0_sel:WORD_0 src1_sel:DWORD
	v_mul_u32_u24_sdwa v12, v12, s4 dst_sel:DWORD dst_unused:UNUSED_PAD src0_sel:WORD_1 src1_sel:DWORD
	v_mul_u32_u24_sdwa v15, v13, s4 dst_sel:DWORD dst_unused:UNUSED_PAD src0_sel:WORD_0 src1_sel:DWORD
	v_mul_u32_u24_sdwa v13, v13, s4 dst_sel:DWORD dst_unused:UNUSED_PAD src0_sel:WORD_1 src1_sel:DWORD
	v_pk_fma_f16 v21, v6, v11, v42
	v_pk_fma_f16 v41, v6, v12, v41
	;; [unrolled: 1-line block ×8, first 2 shown]
	ds_read2_b64 v[4:7], v8 offset0:192 offset1:224
	s_waitcnt lgkmcnt(1)
	v_mul_u32_u24_sdwa v8, v22, s4 dst_sel:DWORD dst_unused:UNUSED_PAD src0_sel:WORD_0 src1_sel:DWORD
	v_mul_u32_u24_sdwa v13, v22, s4 dst_sel:DWORD dst_unused:UNUSED_PAD src0_sel:WORD_1 src1_sel:DWORD
	v_mul_u32_u24_sdwa v14, v23, s4 dst_sel:DWORD dst_unused:UNUSED_PAD src0_sel:WORD_0 src1_sel:DWORD
	v_mul_u32_u24_sdwa v15, v23, s4 dst_sel:DWORD dst_unused:UNUSED_PAD src0_sel:WORD_1 src1_sel:DWORD
	s_waitcnt lgkmcnt(0)
	v_pk_fma_f16 v21, v4, v8, v21
	v_pk_fma_f16 v22, v4, v13, v41
	;; [unrolled: 1-line block ×8, first 2 shown]
	v_mul_u32_u24_sdwa v11, v24, s4 dst_sel:DWORD dst_unused:UNUSED_PAD src0_sel:WORD_0 src1_sel:DWORD
	v_mul_u32_u24_sdwa v12, v24, s4 dst_sel:DWORD dst_unused:UNUSED_PAD src0_sel:WORD_1 src1_sel:DWORD
	v_mul_u32_u24_sdwa v13, v25, s4 dst_sel:DWORD dst_unused:UNUSED_PAD src0_sel:WORD_0 src1_sel:DWORD
	v_mul_u32_u24_sdwa v14, v25, s4 dst_sel:DWORD dst_unused:UNUSED_PAD src0_sel:WORD_1 src1_sel:DWORD
	v_pk_fma_f16 v50, v6, v11, v21
	v_pk_fma_f16 v48, v6, v12, v22
	;; [unrolled: 1-line block ×8, first 2 shown]
	v_mov_b64_e32 v[12:13], v[16:17]
	v_mov_b64_e32 v[10:11], v[2:3]
	;; [unrolled: 1-line block ×4, first 2 shown]
	s_barrier
.LBB87_139:
	v_cmp_lt_i32_e32 vcc, v29, v27
	s_cmp_eq_u64 s[16:17], 0
	s_cselect_b64 s[4:5], -1, 0
	v_cndmask_b32_e32 v0, v26, v29, vcc
	v_cmp_lt_i32_e32 vcc, v56, v27
	v_lshlrev_b32_e32 v3, 2, v0
	ds_bpermute_b32 v1, v3, v9
	v_cndmask_b32_e32 v0, v26, v56, vcc
	v_cmp_lt_i32_e32 vcc, v57, v27
	v_lshlrev_b32_e32 v7, 2, v0
	ds_bpermute_b32 v2, v3, v10
	v_cndmask_b32_e32 v0, v26, v57, vcc
	v_lshlrev_b32_e32 v16, 2, v0
	ds_bpermute_b32 v0, v3, v8
	ds_bpermute_b32 v3, v3, v11
	v_cmp_lt_i32_e32 vcc, v30, v27
	s_cmp_lg_u32 s3, 0
	s_cselect_b64 s[6:7], -1, 0
	s_waitcnt lgkmcnt(1)
	v_pk_add_f32 v[0:1], v[8:9], v[0:1]
	s_waitcnt lgkmcnt(0)
	v_pk_add_f32 v[2:3], v[10:11], v[2:3]
	ds_bpermute_b32 v4, v7, v0
	ds_bpermute_b32 v5, v7, v1
	;; [unrolled: 1-line block ×4, first 2 shown]
	v_cndmask_b32_e32 v17, v26, v30, vcc
	v_lshlrev_b32_e32 v8, 2, v17
	s_waitcnt lgkmcnt(2)
	v_pk_add_f32 v[0:1], v[0:1], v[4:5]
	ds_bpermute_b32 v4, v16, v0
	s_waitcnt lgkmcnt(1)
	v_pk_add_f32 v[2:3], v[2:3], v[6:7]
	ds_bpermute_b32 v5, v16, v1
	ds_bpermute_b32 v6, v16, v2
	;; [unrolled: 1-line block ×3, first 2 shown]
	v_cmp_lt_i32_e32 vcc, v28, v27
	s_or_b64 s[4:5], s[6:7], s[4:5]
	s_waitcnt lgkmcnt(2)
	v_pk_add_f32 v[0:1], v[0:1], v[4:5]
	ds_bpermute_b32 v4, v8, v0
	s_waitcnt lgkmcnt(1)
	v_pk_add_f32 v[2:3], v[2:3], v[6:7]
	ds_bpermute_b32 v5, v8, v1
	ds_bpermute_b32 v6, v8, v2
	ds_bpermute_b32 v7, v8, v3
	v_cndmask_b32_e32 v9, v26, v28, vcc
	v_lshlrev_b32_e32 v9, 2, v9
	s_waitcnt lgkmcnt(2)
	v_pk_add_f32 v[0:1], v[0:1], v[4:5]
	ds_bpermute_b32 v4, v9, v0
	s_waitcnt lgkmcnt(1)
	v_pk_add_f32 v[6:7], v[2:3], v[6:7]
	ds_bpermute_b32 v5, v9, v1
	ds_bpermute_b32 v8, v9, v6
	;; [unrolled: 1-line block ×3, first 2 shown]
	s_and_b64 vcc, exec, s[4:5]
	s_waitcnt lgkmcnt(2)
	v_pk_add_f32 v[2:3], v[0:1], v[4:5]
	s_waitcnt lgkmcnt(0)
	v_pk_add_f32 v[0:1], v[6:7], v[8:9]
	s_cbranch_vccnz .LBB87_141
; %bb.140:
	s_lshl_b64 s[4:5], s[34:35], 2
	s_add_u32 s4, s16, s4
	s_addc_u32 s5, s17, s5
	v_mov_b32_e32 v4, 0
	global_load_dword v16, v4, s[4:5]
	v_max_f32_e32 v4, v12, v12
	v_max_f32_e32 v5, v13, v13
	s_mov_b32 s5, 0x3fb8aa3b
	v_max_f32_e32 v6, v14, v14
	s_mov_b32 s2, 0xc2ce8ed0
	s_mov_b32 s4, 0x42b17218
	v_mov_b32_e32 v17, 0x7f800000
	s_waitcnt vmcnt(0)
	v_max_f32_e32 v7, v16, v16
	v_max_f32_e32 v4, v4, v7
	v_sub_f32_e32 v8, v12, v4
	v_max_f32_e32 v5, v5, v7
	v_sub_f32_e32 v9, v16, v4
	v_mul_f32_e32 v10, 0x3fb8aa3b, v8
	v_sub_f32_e32 v11, v13, v5
	v_mul_f32_e32 v18, 0x3fb8aa3b, v9
	v_fma_f32 v24, v8, s5, -v10
	v_rndne_f32_e32 v25, v10
	v_max_f32_e32 v6, v6, v7
	v_sub_f32_e32 v12, v16, v5
	v_mul_f32_e32 v19, 0x3fb8aa3b, v11
	v_fma_f32 v26, v9, s5, -v18
	v_rndne_f32_e32 v27, v18
	v_fmac_f32_e32 v24, 0x32a5705f, v8
	v_sub_f32_e32 v10, v10, v25
	v_sub_f32_e32 v13, v14, v6
	v_mul_f32_e32 v21, 0x3fb8aa3b, v12
	v_fma_f32 v28, v11, s5, -v19
	v_rndne_f32_e32 v29, v19
	v_fmac_f32_e32 v26, 0x32a5705f, v9
	v_sub_f32_e32 v18, v18, v27
	v_add_f32_e32 v10, v10, v24
	v_mul_f32_e32 v22, 0x3fb8aa3b, v13
	v_fma_f32 v30, v12, s5, -v21
	v_rndne_f32_e32 v41, v21
	v_cvt_i32_f32_e32 v25, v25
	v_fmac_f32_e32 v28, 0x32a5705f, v11
	v_sub_f32_e32 v19, v19, v29
	v_add_f32_e32 v18, v18, v26
	v_exp_f32_e32 v10, v10
	v_fma_f32 v42, v13, s5, -v22
	v_rndne_f32_e32 v43, v22
	v_cvt_i32_f32_e32 v27, v27
	v_fmac_f32_e32 v30, 0x32a5705f, v12
	v_sub_f32_e32 v21, v21, v41
	v_add_f32_e32 v19, v19, v28
	v_exp_f32_e32 v18, v18
	v_cvt_i32_f32_e32 v29, v29
	v_fmac_f32_e32 v42, 0x32a5705f, v13
	v_sub_f32_e32 v22, v22, v43
	v_add_f32_e32 v21, v21, v30
	v_exp_f32_e32 v19, v19
	v_cvt_i32_f32_e32 v41, v41
	v_add_f32_e32 v22, v22, v42
	v_exp_f32_e32 v21, v21
	v_cvt_i32_f32_e32 v43, v43
	v_exp_f32_e32 v22, v22
	v_ldexp_f32 v10, v10, v25
	v_cmp_ngt_f32_e32 vcc, s2, v8
	v_ldexp_f32 v18, v18, v27
	v_ldexp_f32 v19, v19, v29
	v_cndmask_b32_e32 v10, 0, v10, vcc
	v_cmp_ngt_f32_e32 vcc, s2, v9
	v_ldexp_f32 v21, v21, v41
	v_ldexp_f32 v22, v22, v43
	v_cndmask_b32_e32 v18, 0, v18, vcc
	v_cmp_ngt_f32_e32 vcc, s2, v11
	v_sub_f32_e32 v14, v16, v6
	v_mul_f32_e32 v23, 0x3fb8aa3b, v14
	v_cndmask_b32_e32 v19, 0, v19, vcc
	v_cmp_ngt_f32_e32 vcc, s2, v12
	v_fma_f32 v44, v14, s5, -v23
	v_rndne_f32_e32 v51, v23
	v_cndmask_b32_e32 v21, 0, v21, vcc
	v_cmp_ngt_f32_e32 vcc, s2, v13
	v_fmac_f32_e32 v44, 0x32a5705f, v14
	v_sub_f32_e32 v23, v23, v51
	v_cndmask_b32_e32 v22, 0, v22, vcc
	v_cmp_nlt_f32_e32 vcc, s4, v8
	v_add_f32_e32 v23, v23, v44
	v_cvt_i32_f32_e32 v51, v51
	v_cndmask_b32_e32 v8, v17, v10, vcc
	v_cmp_nlt_f32_e32 vcc, s4, v9
	v_exp_f32_e32 v23, v23
	s_nop 0
	v_cndmask_b32_e32 v10, v17, v18, vcc
	v_cmp_nlt_f32_e32 vcc, s4, v11
	v_cvt_f16_f32_e32 v18, v8
	s_nop 0
	v_cndmask_b32_e32 v9, v17, v19, vcc
	v_cvt_f16_f32_e32 v19, v9
	v_cmp_nlt_f32_e32 vcc, s4, v12
	s_nop 1
	v_cndmask_b32_e32 v11, v17, v21, vcc
	v_cmp_nlt_f32_e32 vcc, s4, v13
	v_mul_u32_u24_e32 v13, 0x10001, v18
	v_mul_u32_u24_e32 v18, 0x10001, v19
	v_pk_mul_f16 v48, v48, v18
	v_pk_mul_f16 v52, v52, v18
	v_max_f32_e32 v18, v15, v15
	v_max_f32_e32 v7, v18, v7
	v_sub_f32_e32 v15, v15, v7
	v_mul_f32_e32 v18, 0x3fb8aa3b, v15
	v_cndmask_b32_e32 v12, v17, v22, vcc
	v_pk_mul_f16 v50, v50, v13
	v_pk_mul_f16 v31, v31, v13
	v_ldexp_f32 v13, v23, v51
	v_cmp_ngt_f32_e32 vcc, s2, v14
	v_fma_f32 v19, v15, s5, -v18
	v_rndne_f32_e32 v21, v18
	v_cndmask_b32_e32 v13, 0, v13, vcc
	v_cmp_nlt_f32_e32 vcc, s4, v14
	v_fmac_f32_e32 v19, 0x32a5705f, v15
	v_sub_f32_e32 v18, v18, v21
	v_cndmask_b32_e32 v14, v17, v13, vcc
	v_cvt_f16_f32_e32 v13, v12
	v_add_f32_e32 v18, v18, v19
	v_exp_f32_e32 v18, v18
	v_cvt_i32_f32_e32 v19, v21
	v_mul_u32_u24_e32 v13, 0x10001, v13
	v_sub_f32_e32 v16, v16, v7
	v_pk_mul_f16 v47, v47, v13
	v_pk_mul_f16 v49, v49, v13
	v_ldexp_f32 v13, v18, v19
	v_mul_f32_e32 v18, 0x3fb8aa3b, v16
	v_fma_f32 v19, v16, s5, -v18
	v_rndne_f32_e32 v21, v18
	v_fmac_f32_e32 v19, 0x32a5705f, v16
	v_sub_f32_e32 v18, v18, v21
	v_add_f32_e32 v18, v18, v19
	v_exp_f32_e32 v18, v18
	v_cvt_i32_f32_e32 v19, v21
	v_cmp_ngt_f32_e32 vcc, s2, v15
	v_pk_fma_f32 v[2:3], v[2:3], v[8:9], v[10:11]
	s_nop 0
	v_cndmask_b32_e32 v13, 0, v13, vcc
	v_cmp_nlt_f32_e32 vcc, s4, v15
	v_ldexp_f32 v15, v18, v19
	s_nop 0
	v_cndmask_b32_e32 v13, v17, v13, vcc
	v_cvt_f16_f32_e32 v18, v13
	v_cmp_ngt_f32_e32 vcc, s2, v16
	s_nop 1
	v_cndmask_b32_e32 v15, 0, v15, vcc
	v_cmp_nlt_f32_e32 vcc, s4, v16
	v_mul_u32_u24_e32 v16, 0x10001, v18
	v_pk_mul_f16 v45, v45, v16
	v_cndmask_b32_e32 v15, v17, v15, vcc
	v_pk_fma_f32 v[0:1], v[0:1], v[12:13], v[14:15]
	v_mov_b64_e32 v[14:15], v[6:7]
	v_pk_mul_f16 v46, v46, v16
	v_mov_b64_e32 v[12:13], v[4:5]
.LBB87_141:
	v_cmp_gt_i32_e32 vcc, s26, v40
	s_and_saveexec_b64 s[4:5], vcc
	s_cbranch_execz .LBB87_161
; %bb.142:
	s_load_dword s2, s[0:1], 0xd4
	v_mov_b32_e32 v4, 1.0
	s_waitcnt lgkmcnt(0)
	s_cmp_lg_u32 s2, 1
	s_cselect_b64 s[0:1], -1, 0
	s_cmp_eq_u32 s2, 1
	s_cselect_b64 s[6:7], -1, 0
	s_and_b64 vcc, exec, s[0:1]
	s_cbranch_vccnz .LBB87_144
; %bb.143:
	v_div_scale_f32 v4, s[4:5], v2, v2, 1.0
	v_rcp_f32_e32 v5, v4
	v_div_scale_f32 v6, vcc, 1.0, v2, 1.0
	v_fma_f32 v7, -v4, v5, 1.0
	v_fmac_f32_e32 v5, v7, v5
	v_mul_f32_e32 v7, v6, v5
	v_fma_f32 v8, -v4, v7, v6
	v_fmac_f32_e32 v7, v8, v5
	v_fma_f32 v4, -v4, v7, v6
	v_div_fmas_f32 v4, v4, v5, v7
	v_div_fixup_f32 v4, v4, v2, 1.0
.LBB87_144:
	s_mul_i32 s8, s33, s26
	s_add_i32 s8, s8, s14
	v_add_u32_e32 v5, s8, v38
	v_mul_lo_u32 v5, v5, s27
	v_add_u32_e32 v5, s34, v5
	v_cvt_f32_f16_sdwa v11, v50 dst_sel:DWORD dst_unused:UNUSED_PAD src0_sel:WORD_1
	v_cvt_f32_f16_e32 v10, v50
	v_cvt_f32_f16_sdwa v17, v31 dst_sel:DWORD dst_unused:UNUSED_PAD src0_sel:WORD_1
	v_cvt_f32_f16_e32 v16, v31
	v_mul_lo_u32 v5, s2, v5
	v_add_u32_e32 v6, s3, v5
	v_cmp_eq_u32_e32 vcc, 0, v20
	v_lshl_add_u32 v8, v6, 7, v37
	v_mov_b32_e32 v9, 0
	v_lshl_add_u64 v[18:19], v[8:9], 2, s[20:21]
	v_pk_mul_f32 v[8:9], v[4:5], v[10:11] op_sel_hi:[0,1]
	v_pk_mul_f32 v[10:11], v[4:5], v[16:17] op_sel_hi:[0,1]
	s_and_b64 s[4:5], vcc, s[0:1]
	global_store_dwordx4 v[18:19], v[8:11], off
	s_and_saveexec_b64 s[0:1], s[4:5]
	s_cbranch_execz .LBB87_146
; %bb.145:
	v_ashrrev_i32_e32 v7, 31, v6
	v_lshl_add_u64 v[4:5], v[6:7], 3, s[22:23]
	v_mov_b32_e32 v6, v12
	v_mov_b32_e32 v7, v2
	global_store_dwordx2 v[4:5], v[6:7], off
.LBB87_146:
	s_or_b64 exec, exec, s[0:1]
	v_cmp_gt_i32_e32 vcc, s26, v39
	s_and_b64 exec, exec, vcc
	s_cbranch_execz .LBB87_161
; %bb.147:
	v_cndmask_b32_e64 v2, 0, 1, s[6:7]
	v_cmp_ne_u32_e64 s[0:1], 1, v2
	s_andn2_b64 vcc, exec, s[6:7]
	v_mov_b32_e32 v2, 1.0
	s_cbranch_vccnz .LBB87_149
; %bb.148:
	v_div_scale_f32 v2, s[6:7], v3, v3, 1.0
	v_rcp_f32_e32 v4, v2
	v_div_scale_f32 v5, vcc, 1.0, v3, 1.0
	v_fma_f32 v6, -v2, v4, 1.0
	v_fmac_f32_e32 v4, v6, v4
	v_mul_f32_e32 v6, v5, v4
	v_fma_f32 v7, -v2, v6, v5
	v_fmac_f32_e32 v6, v7, v4
	v_fma_f32 v2, -v2, v6, v5
	v_div_fmas_f32 v2, v2, v4, v6
	v_div_fixup_f32 v2, v2, v3, 1.0
.LBB87_149:
	v_add_u32_e32 v4, s8, v36
	v_mul_lo_u32 v4, v4, s27
	v_add_u32_e32 v4, s34, v4
	v_cvt_f32_f16_sdwa v9, v48 dst_sel:DWORD dst_unused:UNUSED_PAD src0_sel:WORD_1
	v_cvt_f32_f16_e32 v8, v48
	v_cvt_f32_f16_sdwa v11, v52 dst_sel:DWORD dst_unused:UNUSED_PAD src0_sel:WORD_1
	v_cvt_f32_f16_e32 v10, v52
	v_mul_lo_u32 v4, s2, v4
	v_add_u32_e32 v4, s3, v4
	v_lshl_add_u32 v6, v4, 7, v37
	v_mov_b32_e32 v7, 0
	v_lshl_add_u64 v[16:17], v[6:7], 2, s[20:21]
	v_pk_mul_f32 v[6:7], v[2:3], v[8:9] op_sel_hi:[0,1]
	v_pk_mul_f32 v[8:9], v[2:3], v[10:11] op_sel_hi:[0,1]
	global_store_dwordx4 v[16:17], v[6:9], off
	s_and_saveexec_b64 s[6:7], s[4:5]
	s_cbranch_execz .LBB87_151
; %bb.150:
	v_ashrrev_i32_e32 v5, 31, v4
	v_lshl_add_u64 v[4:5], v[4:5], 3, s[22:23]
	v_mov_b32_e32 v2, v13
	global_store_dwordx2 v[4:5], v[2:3], off
.LBB87_151:
	s_or_b64 exec, exec, s[6:7]
	v_cmp_gt_i32_e32 vcc, s26, v35
	s_and_b64 exec, exec, vcc
	s_cbranch_execz .LBB87_161
; %bb.152:
	s_and_b64 vcc, exec, s[0:1]
	v_mov_b32_e32 v4, 1.0
	s_cbranch_vccnz .LBB87_154
; %bb.153:
	v_div_scale_f32 v2, s[6:7], v0, v0, 1.0
	v_rcp_f32_e32 v3, v2
	v_div_scale_f32 v4, vcc, 1.0, v0, 1.0
	v_fma_f32 v5, -v2, v3, 1.0
	v_fmac_f32_e32 v3, v5, v3
	v_mul_f32_e32 v5, v4, v3
	v_fma_f32 v6, -v2, v5, v4
	v_fmac_f32_e32 v5, v6, v3
	v_fma_f32 v2, -v2, v5, v4
	v_div_fmas_f32 v2, v2, v3, v5
	v_div_fixup_f32 v4, v2, v0, 1.0
.LBB87_154:
	v_add_u32_e32 v2, s8, v34
	v_mul_lo_u32 v2, v2, s27
	v_add_u32_e32 v2, s34, v2
	v_cvt_f32_f16_sdwa v9, v47 dst_sel:DWORD dst_unused:UNUSED_PAD src0_sel:WORD_1
	v_cvt_f32_f16_e32 v8, v47
	v_cvt_f32_f16_sdwa v11, v49 dst_sel:DWORD dst_unused:UNUSED_PAD src0_sel:WORD_1
	v_cvt_f32_f16_e32 v10, v49
	v_mul_lo_u32 v2, s2, v2
	v_add_u32_e32 v2, s3, v2
	v_lshl_add_u32 v6, v2, 7, v37
	v_mov_b32_e32 v7, 0
	v_lshl_add_u64 v[12:13], v[6:7], 2, s[20:21]
	v_pk_mul_f32 v[6:7], v[4:5], v[8:9] op_sel_hi:[0,1]
	v_pk_mul_f32 v[8:9], v[4:5], v[10:11] op_sel_hi:[0,1]
	global_store_dwordx4 v[12:13], v[6:9], off
	s_and_saveexec_b64 s[6:7], s[4:5]
	s_cbranch_execz .LBB87_156
; %bb.155:
	v_ashrrev_i32_e32 v3, 31, v2
	v_lshl_add_u64 v[2:3], v[2:3], 3, s[22:23]
	v_mov_b32_e32 v4, v14
	v_mov_b32_e32 v5, v0
	global_store_dwordx2 v[2:3], v[4:5], off
.LBB87_156:
	s_or_b64 exec, exec, s[6:7]
	v_cmp_gt_i32_e32 vcc, s26, v33
	s_and_b64 exec, exec, vcc
	s_cbranch_execz .LBB87_161
; %bb.157:
	s_and_b64 vcc, exec, s[0:1]
	v_mov_b32_e32 v0, 1.0
	s_cbranch_vccnz .LBB87_159
; %bb.158:
	v_div_scale_f32 v0, s[0:1], v1, v1, 1.0
	v_rcp_f32_e32 v2, v0
	v_div_scale_f32 v3, vcc, 1.0, v1, 1.0
	v_fma_f32 v4, -v0, v2, 1.0
	v_fmac_f32_e32 v2, v4, v2
	v_mul_f32_e32 v4, v3, v2
	v_fma_f32 v5, -v0, v4, v3
	v_fmac_f32_e32 v4, v5, v2
	v_fma_f32 v0, -v0, v4, v3
	v_div_fmas_f32 v0, v0, v2, v4
	v_div_fixup_f32 v0, v0, v1, 1.0
.LBB87_159:
	v_add_u32_e32 v2, s8, v32
	v_mul_lo_u32 v2, v2, s27
	v_add_u32_e32 v2, s34, v2
	v_cvt_f32_f16_sdwa v7, v45 dst_sel:DWORD dst_unused:UNUSED_PAD src0_sel:WORD_1
	v_cvt_f32_f16_e32 v6, v45
	v_cvt_f32_f16_sdwa v9, v46 dst_sel:DWORD dst_unused:UNUSED_PAD src0_sel:WORD_1
	v_cvt_f32_f16_e32 v8, v46
	v_mul_lo_u32 v2, s2, v2
	v_add_u32_e32 v2, s3, v2
	v_lshl_add_u32 v4, v2, 7, v37
	v_mov_b32_e32 v5, 0
	v_lshl_add_u64 v[10:11], v[4:5], 2, s[20:21]
	v_pk_mul_f32 v[4:5], v[0:1], v[6:7] op_sel_hi:[0,1]
	v_pk_mul_f32 v[6:7], v[0:1], v[8:9] op_sel_hi:[0,1]
	global_store_dwordx4 v[10:11], v[4:7], off
	s_and_b64 exec, exec, s[4:5]
	s_cbranch_execz .LBB87_161
; %bb.160:
	v_ashrrev_i32_e32 v3, 31, v2
	v_lshl_add_u64 v[2:3], v[2:3], 3, s[22:23]
	v_mov_b32_e32 v0, v15
	global_store_dwordx2 v[2:3], v[0:1], off
.LBB87_161:
	s_endpgm
	.section	.rodata,"a",@progbits
	.p2align	6, 0x0
	.amdhsa_kernel _ZL15flash_attn_tileILi128ELi128ELi32ELi1ELb1EEvPKcS1_S1_S1_S1_PKiPfP15HIP_vector_typeIfLj2EEffffjfiS5_IjLj3EEiiiiiiiiiiiliiliiiiil
		.amdhsa_group_segment_fixed_size 21504
		.amdhsa_private_segment_fixed_size 32
		.amdhsa_kernarg_size 464
		.amdhsa_user_sgpr_count 2
		.amdhsa_user_sgpr_dispatch_ptr 0
		.amdhsa_user_sgpr_queue_ptr 0
		.amdhsa_user_sgpr_kernarg_segment_ptr 1
		.amdhsa_user_sgpr_dispatch_id 0
		.amdhsa_user_sgpr_kernarg_preload_length 0
		.amdhsa_user_sgpr_kernarg_preload_offset 0
		.amdhsa_user_sgpr_private_segment_size 0
		.amdhsa_uses_dynamic_stack 0
		.amdhsa_enable_private_segment 1
		.amdhsa_system_sgpr_workgroup_id_x 1
		.amdhsa_system_sgpr_workgroup_id_y 1
		.amdhsa_system_sgpr_workgroup_id_z 1
		.amdhsa_system_sgpr_workgroup_info 0
		.amdhsa_system_vgpr_workitem_id 1
		.amdhsa_next_free_vgpr 114
		.amdhsa_next_free_sgpr 75
		.amdhsa_accum_offset 116
		.amdhsa_reserve_vcc 1
		.amdhsa_float_round_mode_32 0
		.amdhsa_float_round_mode_16_64 0
		.amdhsa_float_denorm_mode_32 3
		.amdhsa_float_denorm_mode_16_64 3
		.amdhsa_dx10_clamp 1
		.amdhsa_ieee_mode 1
		.amdhsa_fp16_overflow 0
		.amdhsa_tg_split 0
		.amdhsa_exception_fp_ieee_invalid_op 0
		.amdhsa_exception_fp_denorm_src 0
		.amdhsa_exception_fp_ieee_div_zero 0
		.amdhsa_exception_fp_ieee_overflow 0
		.amdhsa_exception_fp_ieee_underflow 0
		.amdhsa_exception_fp_ieee_inexact 0
		.amdhsa_exception_int_div_zero 0
	.end_amdhsa_kernel
	.section	.text._ZL15flash_attn_tileILi128ELi128ELi32ELi1ELb1EEvPKcS1_S1_S1_S1_PKiPfP15HIP_vector_typeIfLj2EEffffjfiS5_IjLj3EEiiiiiiiiiiiliiliiiiil,"axG",@progbits,_ZL15flash_attn_tileILi128ELi128ELi32ELi1ELb1EEvPKcS1_S1_S1_S1_PKiPfP15HIP_vector_typeIfLj2EEffffjfiS5_IjLj3EEiiiiiiiiiiiliiliiiiil,comdat
.Lfunc_end87:
	.size	_ZL15flash_attn_tileILi128ELi128ELi32ELi1ELb1EEvPKcS1_S1_S1_S1_PKiPfP15HIP_vector_typeIfLj2EEffffjfiS5_IjLj3EEiiiiiiiiiiiliiliiiiil, .Lfunc_end87-_ZL15flash_attn_tileILi128ELi128ELi32ELi1ELb1EEvPKcS1_S1_S1_S1_PKiPfP15HIP_vector_typeIfLj2EEffffjfiS5_IjLj3EEiiiiiiiiiiiliiliiiiil
                                        ; -- End function
	.set _ZL15flash_attn_tileILi128ELi128ELi32ELi1ELb1EEvPKcS1_S1_S1_S1_PKiPfP15HIP_vector_typeIfLj2EEffffjfiS5_IjLj3EEiiiiiiiiiiiliiliiiiil.num_vgpr, 114
	.set _ZL15flash_attn_tileILi128ELi128ELi32ELi1ELb1EEvPKcS1_S1_S1_S1_PKiPfP15HIP_vector_typeIfLj2EEffffjfiS5_IjLj3EEiiiiiiiiiiiliiliiiiil.num_agpr, 0
	.set _ZL15flash_attn_tileILi128ELi128ELi32ELi1ELb1EEvPKcS1_S1_S1_S1_PKiPfP15HIP_vector_typeIfLj2EEffffjfiS5_IjLj3EEiiiiiiiiiiiliiliiiiil.numbered_sgpr, 48
	.set _ZL15flash_attn_tileILi128ELi128ELi32ELi1ELb1EEvPKcS1_S1_S1_S1_PKiPfP15HIP_vector_typeIfLj2EEffffjfiS5_IjLj3EEiiiiiiiiiiiliiliiiiil.num_named_barrier, 0
	.set _ZL15flash_attn_tileILi128ELi128ELi32ELi1ELb1EEvPKcS1_S1_S1_S1_PKiPfP15HIP_vector_typeIfLj2EEffffjfiS5_IjLj3EEiiiiiiiiiiiliiliiiiil.private_seg_size, 32
	.set _ZL15flash_attn_tileILi128ELi128ELi32ELi1ELb1EEvPKcS1_S1_S1_S1_PKiPfP15HIP_vector_typeIfLj2EEffffjfiS5_IjLj3EEiiiiiiiiiiiliiliiiiil.uses_vcc, 1
	.set _ZL15flash_attn_tileILi128ELi128ELi32ELi1ELb1EEvPKcS1_S1_S1_S1_PKiPfP15HIP_vector_typeIfLj2EEffffjfiS5_IjLj3EEiiiiiiiiiiiliiliiiiil.uses_flat_scratch, 0
	.set _ZL15flash_attn_tileILi128ELi128ELi32ELi1ELb1EEvPKcS1_S1_S1_S1_PKiPfP15HIP_vector_typeIfLj2EEffffjfiS5_IjLj3EEiiiiiiiiiiiliiliiiiil.has_dyn_sized_stack, 0
	.set _ZL15flash_attn_tileILi128ELi128ELi32ELi1ELb1EEvPKcS1_S1_S1_S1_PKiPfP15HIP_vector_typeIfLj2EEffffjfiS5_IjLj3EEiiiiiiiiiiiliiliiiiil.has_recursion, 0
	.set _ZL15flash_attn_tileILi128ELi128ELi32ELi1ELb1EEvPKcS1_S1_S1_S1_PKiPfP15HIP_vector_typeIfLj2EEffffjfiS5_IjLj3EEiiiiiiiiiiiliiliiiiil.has_indirect_call, 0
	.section	.AMDGPU.csdata,"",@progbits
; Kernel info:
; codeLenInByte = 50484
; TotalNumSgprs: 54
; NumVgprs: 114
; NumAgprs: 0
; TotalNumVgprs: 114
; ScratchSize: 32
; MemoryBound: 0
; FloatMode: 240
; IeeeMode: 1
; LDSByteSize: 21504 bytes/workgroup (compile time only)
; SGPRBlocks: 10
; VGPRBlocks: 14
; NumSGPRsForWavesPerEU: 81
; NumVGPRsForWavesPerEU: 114
; AccumOffset: 116
; Occupancy: 4
; WaveLimiterHint : 1
; COMPUTE_PGM_RSRC2:SCRATCH_EN: 1
; COMPUTE_PGM_RSRC2:USER_SGPR: 2
; COMPUTE_PGM_RSRC2:TRAP_HANDLER: 0
; COMPUTE_PGM_RSRC2:TGID_X_EN: 1
; COMPUTE_PGM_RSRC2:TGID_Y_EN: 1
; COMPUTE_PGM_RSRC2:TGID_Z_EN: 1
; COMPUTE_PGM_RSRC2:TIDIG_COMP_CNT: 1
; COMPUTE_PGM_RSRC3_GFX90A:ACCUM_OFFSET: 28
; COMPUTE_PGM_RSRC3_GFX90A:TG_SPLIT: 0
	.section	.text._ZL15flash_attn_tileILi128ELi128ELi16ELi1ELb1EEvPKcS1_S1_S1_S1_PKiPfP15HIP_vector_typeIfLj2EEffffjfiS5_IjLj3EEiiiiiiiiiiiliiliiiiil,"axG",@progbits,_ZL15flash_attn_tileILi128ELi128ELi16ELi1ELb1EEvPKcS1_S1_S1_S1_PKiPfP15HIP_vector_typeIfLj2EEffffjfiS5_IjLj3EEiiiiiiiiiiiliiliiiiil,comdat
	.globl	_ZL15flash_attn_tileILi128ELi128ELi16ELi1ELb1EEvPKcS1_S1_S1_S1_PKiPfP15HIP_vector_typeIfLj2EEffffjfiS5_IjLj3EEiiiiiiiiiiiliiliiiiil ; -- Begin function _ZL15flash_attn_tileILi128ELi128ELi16ELi1ELb1EEvPKcS1_S1_S1_S1_PKiPfP15HIP_vector_typeIfLj2EEffffjfiS5_IjLj3EEiiiiiiiiiiiliiliiiiil
	.p2align	8
	.type	_ZL15flash_attn_tileILi128ELi128ELi16ELi1ELb1EEvPKcS1_S1_S1_S1_PKiPfP15HIP_vector_typeIfLj2EEffffjfiS5_IjLj3EEiiiiiiiiiiiliiliiiiil,@function
_ZL15flash_attn_tileILi128ELi128ELi16ELi1ELb1EEvPKcS1_S1_S1_S1_PKiPfP15HIP_vector_typeIfLj2EEffffjfiS5_IjLj3EEiiiiiiiiiiiliiliiiiil: ; @_ZL15flash_attn_tileILi128ELi128ELi16ELi1ELb1EEvPKcS1_S1_S1_S1_PKiPfP15HIP_vector_typeIfLj2EEffffjfiS5_IjLj3EEiiiiiiiiiiiliiliiiiil
; %bb.0:
	s_load_dwordx4 s[28:31], s[0:1], 0x5c
	s_load_dwordx2 s[38:39], s[0:1], 0x80
	s_load_dwordx16 s[12:27], s[0:1], 0x0
	s_load_dwordx2 s[40:41], s[0:1], 0xb8
	s_mov_b64 s[36:37], 0
	s_waitcnt lgkmcnt(0)
	v_cvt_f32_u32_e32 v1, s31
	s_sub_i32 s5, 0, s31
	v_rcp_iflag_f32_e32 v1, v1
	s_nop 0
	v_mul_f32_e32 v1, 0x4f7ffffe, v1
	v_cvt_u32_f32_e32 v1, v1
	s_nop 0
	v_readfirstlane_b32 s6, v1
	s_mul_i32 s5, s5, s6
	s_mul_hi_u32 s5, s6, s5
	s_add_i32 s6, s6, s5
	s_mul_hi_u32 s5, s4, s6
	s_mul_i32 s6, s5, s31
	s_sub_i32 s6, s4, s6
	s_add_i32 s7, s5, 1
	s_sub_i32 s8, s6, s31
	s_cmp_ge_u32 s6, s31
	s_cselect_b32 s5, s7, s5
	s_cselect_b32 s6, s8, s6
	s_add_i32 s7, s5, 1
	s_cmp_ge_u32 s6, s31
	s_cselect_b32 s33, s7, s5
	s_abs_i32 s5, s39
	v_cvt_f32_u32_e32 v1, s5
	s_mul_i32 s8, s33, s31
	s_sub_i32 s9, 0, s5
	s_sub_i32 s34, s4, s8
	v_rcp_iflag_f32_e32 v1, v1
	s_abs_i32 s7, s31
	s_xor_b32 s6, s31, s39
	s_ashr_i32 s6, s6, 31
	v_mul_f32_e32 v1, 0x4f7ffffe, v1
	v_cvt_u32_f32_e32 v1, v1
	s_nop 0
	v_readfirstlane_b32 s4, v1
	s_mul_i32 s9, s9, s4
	s_mul_hi_u32 s8, s4, s9
	s_add_i32 s4, s4, s8
	s_mul_hi_u32 s4, s7, s4
	s_mul_i32 s8, s4, s5
	s_sub_i32 s7, s7, s8
	s_add_i32 s9, s4, 1
	s_sub_i32 s8, s7, s5
	s_cmp_ge_u32 s7, s5
	s_cselect_b32 s4, s9, s4
	s_cselect_b32 s7, s8, s7
	s_add_i32 s8, s4, 1
	s_cmp_ge_u32 s7, s5
	s_cselect_b32 s4, s8, s4
	s_xor_b32 s4, s4, s6
	s_sub_i32 s42, s4, s6
	s_abs_i32 s39, s42
	v_cvt_f32_u32_e32 v1, s39
	s_sub_i32 s4, 0, s39
	s_abs_i32 s43, s34
	v_rcp_iflag_f32_e32 v1, v1
	s_nop 0
	v_mul_f32_e32 v1, 0x4f7ffffe, v1
	v_cvt_u32_f32_e32 v1, v1
	s_nop 0
	v_readfirstlane_b32 s5, v1
	s_mul_i32 s4, s4, s5
	s_mul_hi_u32 s4, s5, s4
	s_add_i32 s4, s5, s4
	s_cmp_eq_u64 s[18:19], 0
	s_cbranch_scc1 .LBB88_2
; %bb.1:
	s_abs_i32 s5, s40
	v_cvt_f32_u32_e32 v1, s5
	s_sub_i32 s10, 0, s5
	s_abs_i32 s9, s33
	s_ashr_i32 s8, s33, 31
	v_rcp_iflag_f32_e32 v1, v1
	s_load_dwordx2 s[6:7], s[0:1], 0xc8
	v_mul_f32_e32 v1, 0x4f7ffffe, v1
	v_cvt_u32_f32_e32 v1, v1
	s_nop 0
	v_readfirstlane_b32 s11, v1
	s_mul_i32 s10, s10, s11
	s_mul_hi_u32 s10, s11, s10
	s_add_i32 s11, s11, s10
	s_mul_hi_u32 s10, s9, s11
	s_mul_i32 s10, s10, s5
	s_sub_i32 s9, s9, s10
	s_sub_i32 s10, s9, s5
	s_cmp_ge_u32 s9, s5
	s_cselect_b32 s9, s10, s9
	s_sub_i32 s10, s9, s5
	s_cmp_ge_u32 s9, s5
	s_cselect_b32 s5, s10, s9
	s_xor_b32 s5, s5, s8
	s_sub_i32 s5, s5, s8
	s_ashr_i32 s8, s5, 31
	s_waitcnt lgkmcnt(0)
	s_mul_hi_u32 s9, s6, s5
	s_mul_i32 s8, s6, s8
	s_mul_i32 s7, s7, s5
	s_add_i32 s8, s9, s8
	s_add_i32 s8, s8, s7
	s_mul_i32 s5, s6, s5
	s_add_u32 s36, s18, s5
	s_addc_u32 s37, s19, s8
.LBB88_2:
	s_load_dwordx4 s[8:11], s[0:1], 0x40
	s_load_dwordx2 s[18:19], s[0:1], 0x50
	s_mul_hi_u32 s40, s43, s4
	v_mov_b32_e32 v25, 1.0
	s_waitcnt lgkmcnt(0)
	v_cmp_le_f32_e64 s[4:5], s9, 0
	s_and_b64 vcc, exec, s[4:5]
	s_cbranch_vccnz .LBB88_4
; %bb.3:
	v_mov_b32_e32 v1, s18
	v_sub_co_u32_e32 v1, vcc, s34, v1
	v_mov_b32_e32 v2, s11
	v_mov_b32_e32 v3, s10
	s_add_i32 s4, s34, 1
	v_lshlrev_b32_e32 v1, 1, v1
	v_cndmask_b32_e32 v2, v2, v3, vcc
	v_or_b32_e32 v1, 1, v1
	v_mov_b32_e32 v3, s4
	v_cndmask_b32_e32 v1, v1, v3, vcc
	v_cvt_f32_i32_e32 v1, v1
	v_cmp_neq_f32_e32 vcc, 1.0, v2
	s_mov_b32 s4, 0x3f2aaaab
	s_movk_i32 s6, 0x204
	v_cndmask_b32_e32 v1, 1.0, v1, vcc
	v_cmp_neq_f32_e32 vcc, 0, v1
	s_mov_b32 s5, 0x42b17218
	s_mov_b32 s7, 0x3fb8aa3b
	v_cndmask_b32_e32 v18, 1.0, v2, vcc
	v_frexp_mant_f32_e64 v2, |v18|
	v_cmp_gt_f32_e32 vcc, s4, v2
	s_mov_b32 s4, 0x3f317218
	s_brev_b32 s9, -2
	v_cndmask_b32_e64 v3, 1.0, 2.0, vcc
	v_mul_f32_e32 v2, v2, v3
	v_add_f32_e32 v5, 1.0, v2
	v_rcp_f32_e32 v10, v5
	v_add_f32_e32 v3, -1.0, v5
	v_sub_f32_e32 v7, v2, v3
	v_add_f32_e32 v3, -1.0, v2
	v_mul_f32_e32 v11, v3, v10
	v_mul_f32_e32 v4, v5, v11
	v_fma_f32 v6, v11, v5, -v4
	v_fmac_f32_e32 v6, v11, v7
	v_add_f32_e32 v2, v4, v6
	v_sub_f32_e32 v5, v3, v2
	v_pk_add_f32 v[8:9], v[2:3], v[4:5] neg_lo:[0,1] neg_hi:[0,1]
	v_mov_b32_e32 v7, v2
	v_pk_add_f32 v[2:3], v[8:9], v[6:7] neg_lo:[0,1] neg_hi:[0,1]
	v_mov_b32_e32 v6, 0x3e91f4c4
	v_add_f32_e32 v2, v2, v3
	v_add_f32_e32 v2, v5, v2
	v_mul_f32_e32 v3, v10, v2
	v_add_f32_e32 v2, v11, v3
	v_sub_f32_e32 v4, v2, v11
	v_sub_f32_e32 v12, v3, v4
	v_mul_f32_e32 v3, v2, v2
	v_fma_f32 v5, v2, v2, -v3
	v_add_f32_e32 v4, v12, v12
	v_fmac_f32_e32 v5, v2, v4
	v_add_f32_e32 v4, v3, v5
	v_fmac_f32_e32 v6, 0x3e76c4e1, v4
	v_fmaak_f32 v6, v4, v6, 0x3ecccdef
	v_sub_f32_e32 v3, v4, v3
	v_sub_f32_e32 v13, v5, v3
	v_mul_f32_e32 v3, v4, v6
	v_fma_f32 v5, v4, v6, -v3
	v_fmac_f32_e32 v5, v13, v6
	v_add_f32_e32 v6, v3, v5
	v_add_f32_e32 v7, 0x3f2aaaaa, v6
	v_sub_f32_e32 v3, v6, v3
	v_sub_f32_e32 v3, v5, v3
	v_add_f32_e32 v5, 0xbf2aaaaa, v7
	v_add_f32_e32 v3, 0x31739010, v3
	v_sub_f32_e32 v5, v6, v5
	v_pk_mul_f32 v[8:9], v[2:3], v[4:5]
	v_pk_add_f32 v[10:11], v[2:3], v[4:5]
	v_fma_f32 v6, v4, v2, -v8
	v_fmac_f32_e32 v6, v4, v12
	v_mov_b32_e32 v9, v11
	v_fmac_f32_e32 v6, v13, v2
	v_pk_add_f32 v[4:5], v[8:9], v[6:7]
	v_ldexp_f32 v14, v12, 1
	v_sub_f32_e32 v3, v4, v8
	v_sub_f32_e32 v3, v6, v3
	;; [unrolled: 1-line block ×3, first 2 shown]
	v_add_f32_e32 v9, v11, v6
	v_pk_mul_f32 v[6:7], v[4:5], v[4:5] op_sel:[0,1] op_sel_hi:[1,0]
	v_cvt_f64_f32_e64 v[10:11], |v18|
	v_frexp_exp_i32_f64_e32 v7, v[10:11]
	v_subbrev_co_u32_e32 v7, vcc, 0, v7, vcc
	v_cvt_f32_i32_e32 v7, v7
	v_fma_f32 v8, v4, v5, -v6
	v_fmac_f32_e32 v8, v4, v9
	v_fmac_f32_e32 v8, v3, v5
	v_mul_f32_e32 v4, 0x3f317218, v7
	v_fma_f32 v3, v7, s4, -v4
	v_fmamk_f32 v10, v7, 0xb102e308, v3
	v_ldexp_f32 v11, v2, 1
	v_add_f32_e32 v5, v6, v8
	v_pk_add_f32 v[2:3], v[4:5], v[10:11]
	v_mov_b32_e32 v12, v5
	v_mov_b32_e32 v13, v3
	;; [unrolled: 1-line block ×3, first 2 shown]
	v_pk_add_f32 v[6:7], v[12:13], v[6:7] neg_lo:[0,1] neg_hi:[0,1]
	v_mov_b32_e32 v9, v5
	v_pk_add_f32 v[6:7], v[8:9], v[6:7] neg_lo:[0,1] neg_hi:[0,1]
	v_mov_b32_e32 v11, v2
	v_add_f32_e32 v5, v14, v6
	v_add_f32_e32 v5, v5, v7
	v_pk_add_f32 v[6:7], v[2:3], v[4:5] neg_lo:[0,1] neg_hi:[0,1]
	v_pk_add_f32 v[8:9], v[2:3], v[4:5]
	v_mov_b32_e32 v16, v3
	v_mov_b32_e32 v7, v9
	v_pk_add_f32 v[12:13], v[10:11], v[6:7] neg_lo:[0,1] neg_hi:[0,1]
	v_pk_add_f32 v[6:7], v[10:11], v[6:7]
	v_mov_b32_e32 v4, v5
	v_pk_add_f32 v[10:11], v[6:7], v[2:3] op_sel:[1,0] op_sel_hi:[0,1] neg_lo:[0,1] neg_hi:[0,1]
	v_pk_add_f32 v[14:15], v[8:9], v[10:11] op_sel_hi:[1,0] neg_lo:[0,1] neg_hi:[0,1]
	v_mov_b32_e32 v8, v9
	v_mov_b32_e32 v9, v7
	;; [unrolled: 1-line block ×3, first 2 shown]
	v_pk_add_f32 v[8:9], v[8:9], v[16:17] neg_lo:[0,1] neg_hi:[0,1]
	v_mov_b32_e32 v5, v2
	v_pk_add_f32 v[2:3], v[4:5], v[8:9] neg_lo:[0,1] neg_hi:[0,1]
	v_mov_b32_e32 v14, v12
	v_pk_add_f32 v[4:5], v[14:15], v[2:3]
	v_mov_b32_e32 v13, v7
	v_pk_add_f32 v[8:9], v[4:5], v[4:5] op_sel:[0,1] op_sel_hi:[1,0]
	s_mov_b32 s4, 0x7f800000
	v_pk_add_f32 v[6:7], v[6:7], v[8:9] op_sel:[1,0] op_sel_hi:[0,1]
	v_mov_b32_e32 v5, v6
	v_pk_add_f32 v[10:11], v[4:5], v[12:13] neg_lo:[0,1] neg_hi:[0,1]
	v_mov_b32_e32 v3, v8
	v_sub_f32_e32 v4, v4, v10
	v_pk_add_f32 v[2:3], v[2:3], v[10:11] neg_lo:[0,1] neg_hi:[0,1]
	v_sub_f32_e32 v4, v12, v4
	v_add_f32_e32 v2, v2, v4
	v_add_f32_e32 v2, v2, v3
	;; [unrolled: 1-line block ×3, first 2 shown]
	v_sub_f32_e32 v4, v3, v6
	v_sub_f32_e32 v2, v2, v4
	v_mul_f32_e32 v4, v1, v3
	v_fma_f32 v3, v1, v3, -v4
	v_fmac_f32_e32 v3, v1, v2
	v_add_f32_e32 v2, v4, v3
	v_cmp_class_f32_e64 vcc, v4, s6
	v_sub_f32_e32 v5, v2, v4
	v_sub_f32_e32 v3, v3, v5
	v_cndmask_b32_e32 v2, v2, v4, vcc
	v_mov_b32_e32 v4, 0x37000000
	v_cmp_eq_f32_e32 vcc, s5, v2
	v_cmp_class_f32_e64 s[10:11], v18, s6
	s_nop 0
	v_cndmask_b32_e32 v4, 0, v4, vcc
	v_sub_f32_e32 v5, v2, v4
	v_mul_f32_e32 v6, 0x3fb8aa3b, v5
	v_fma_f32 v7, v5, s7, -v6
	v_rndne_f32_e32 v8, v6
	v_fmamk_f32 v7, v5, 0x32a5705f, v7
	v_sub_f32_e32 v6, v6, v8
	v_add_f32_e32 v6, v6, v7
	v_exp_f32_e32 v6, v6
	v_cvt_i32_f32_e32 v7, v8
	v_cmp_neq_f32_e64 vcc, |v2|, s4
	s_mov_b32 s4, 0xc2ce8ed0
	s_nop 0
	v_cndmask_b32_e32 v2, 0, v3, vcc
	v_ldexp_f32 v3, v6, v7
	v_cmp_ngt_f32_e32 vcc, s4, v5
	v_add_f32_e32 v2, v4, v2
	v_mov_b32_e32 v4, 0x7f800000
	v_cndmask_b32_e32 v3, 0, v3, vcc
	v_cmp_nlt_f32_e32 vcc, s5, v5
	v_mov_b32_e32 v5, 0x7fc00000
	s_nop 0
	v_cndmask_b32_e32 v3, v4, v3, vcc
	v_fma_f32 v2, v3, v2, v3
	v_cmp_class_f32_e64 vcc, v3, s6
	v_cmp_gt_f32_e64 s[6:7], 0, v1
	s_nop 0
	v_cndmask_b32_e32 v2, v2, v3, vcc
	v_trunc_f32_e32 v3, v1
	v_cmp_eq_f32_e32 vcc, v3, v1
	v_mul_f32_e32 v3, 0.5, v1
	v_trunc_f32_e32 v6, v3
	v_cmp_neq_f32_e64 s[4:5], v6, v3
	s_and_b64 s[4:5], vcc, s[4:5]
	s_nop 0
	v_cndmask_b32_e64 v3, 1.0, v18, s[4:5]
	v_bfi_b32 v2, s9, v2, v3
	v_cndmask_b32_e32 v3, v5, v2, vcc
	v_cmp_gt_f32_e32 vcc, 0, v18
	s_nop 1
	v_cndmask_b32_e32 v2, v2, v3, vcc
	v_cmp_eq_f32_e32 vcc, 0, v18
	s_xor_b64 s[6:7], s[6:7], vcc
	v_cndmask_b32_e64 v1, v4, 0, s[6:7]
	v_cndmask_b32_e64 v3, 0, v18, s[4:5]
	v_bfi_b32 v1, s9, v1, v3
	s_or_b64 vcc, vcc, s[10:11]
	v_cndmask_b32_e32 v1, v2, v1, vcc
	v_cmp_o_f32_e32 vcc, v18, v18
	s_nop 1
	v_cndmask_b32_e32 v25, v5, v1, vcc
.LBB88_4:
	s_load_dwordx4 s[44:47], s[0:1], 0x70
	v_bfe_u32 v24, v0, 10, 10
	s_lshl_b32 s18, s2, 4
	v_lshlrev_b32_e32 v44, 1, v24
	s_ashr_i32 s35, s34, 31
	s_waitcnt lgkmcnt(0)
	s_mul_i32 s5, s33, s46
	s_ashr_i32 s4, s42, 31
	s_ashr_i32 s7, s5, 31
	v_add_u32_e32 v46, s18, v44
	v_or_b32_e32 v42, 1, v44
	s_mul_i32 s6, s34, s45
	s_add_u32 s5, s12, s5
	v_and_b32_e32 v36, 0x3ff, v0
	v_mul_hi_u32 v0, v46, s28
	v_add_u32_e32 v43, s18, v42
	s_addc_u32 s7, s13, s7
	s_ashr_i32 s9, s6, 31
	v_add_u32_e32 v0, v46, v0
	v_mul_hi_u32 v1, v43, s28
	s_add_u32 s6, s5, s6
	v_lshrrev_b32_e32 v0, s29, v0
	v_add_u32_e32 v1, v43, v1
	s_addc_u32 s7, s7, s9
	s_ashr_i32 s45, s44, 31
	v_mul_lo_u32 v0, v0, s30
	v_lshrrev_b32_e32 v1, s29, v1
	s_lshr_b64 s[10:11], s[44:45], 2
	v_lshlrev_b32_e32 v4, 4, v36
	v_mov_b32_e32 v5, 0
	v_sub_u32_e32 v0, v46, v0
	v_mul_lo_u32 v1, v1, s30
	v_lshl_add_u64 v[2:3], s[6:7], 0, v[4:5]
	v_mad_u64_u32 v[6:7], s[6:7], s10, v0, 0
	v_sub_u32_e32 v1, v43, v1
	v_mov_b32_e32 v4, v7
	s_lshr_b32 s5, s45, 2
	v_mad_u64_u32 v[10:11], s[6:7], s10, v1, 0
	v_mad_u64_u32 v[8:9], s[6:7], s5, v0, v[4:5]
	v_mov_b32_e32 v4, v11
	v_mov_b32_e32 v7, v8
	v_mad_u64_u32 v[12:13], s[6:7], s5, v1, v[4:5]
	v_lshl_add_u64 v[6:7], v[6:7], 2, v[2:3]
	v_mov_b32_e32 v11, v12
	global_load_dwordx4 v[6:9], v[6:7], off
	v_lshl_add_u64 v[2:3], v[10:11], 2, v[2:3]
	global_load_dwordx4 v[10:13], v[2:3], off
	v_lshlrev_b32_e32 v47, 3, v36
	v_lshlrev_b32_e32 v32, 9, v24
	v_add_u32_e32 v1, 0x4400, v47
	v_add_u32_e32 v4, v1, v32
	s_cmp_eq_u64 s[22:23], 0
	v_lshl_add_u32 v1, v42, 8, v1
	s_waitcnt vmcnt(1)
	v_fma_mixlo_f16 v2, s8, v6, 0
	v_fma_mixlo_f16 v3, s8, v7, 0
	;; [unrolled: 1-line block ×4, first 2 shown]
	s_waitcnt vmcnt(0)
	v_fma_mixlo_f16 v8, s8, v10, 0
	v_fma_mixlo_f16 v9, s8, v11, 0
	v_lshlrev_b32_e32 v3, 16, v3
	v_and_b32_e32 v2, 0xffff, v2
	v_fma_mixlo_f16 v10, s8, v12, 0
	v_fma_mixlo_f16 v11, s8, v13, 0
	v_lshlrev_b32_e32 v7, 16, v7
	v_and_b32_e32 v6, 0xffff, v6
	v_lshlrev_b32_e32 v9, 16, v9
	v_and_b32_e32 v8, 0xffff, v8
	v_or_b32_e32 v2, v3, v2
	v_lshlrev_b32_e32 v11, 16, v11
	v_and_b32_e32 v10, 0xffff, v10
	v_or3_b32 v3, v7, v6, 0
	v_or_b32_e32 v6, v9, v8
	v_or3_b32 v2, 0, 0, v2
	v_or3_b32 v7, v11, v10, 0
	;; [unrolled: 1-line block ×3, first 2 shown]
	ds_write_b64 v4, v[2:3]
	ds_write_b64 v1, v[6:7]
	s_waitcnt lgkmcnt(0)
	s_barrier
	s_cbranch_scc1 .LBB88_6
; %bb.5:
	s_load_dword s5, s[0:1], 0xd0
	s_mov_b32 s7, 0
	s_waitcnt lgkmcnt(0)
	s_mul_i32 s5, s5, s33
	s_add_i32 s6, s5, s2
	s_lshl_b64 s[6:7], s[6:7], 2
	s_add_u32 s6, s22, s6
	s_addc_u32 s7, s23, s7
	s_load_dword s38, s[6:7], 0x0
.LBB88_6:
	s_nop 0
	s_load_dwordx2 s[6:7], s[0:1], 0x8c
	s_load_dwordx4 s[8:11], s[0:1], 0x98
	s_ashr_i32 s5, s33, 31
	s_ashr_i32 s42, s41, 1
	s_load_dwordx2 s[22:23], s[0:1], 0xa8
	s_waitcnt lgkmcnt(0)
	s_ashr_i32 s12, s6, 2
	s_ashr_i32 s2, s10, 2
	s_mul_hi_u32 s6, s8, s33
	s_mul_i32 s10, s8, s5
	s_add_i32 s6, s6, s10
	s_mul_i32 s9, s9, s33
	s_add_i32 s6, s6, s9
	s_mul_i32 s8, s8, s33
	s_add_u32 s8, s14, s8
	s_mul_i32 s9, s40, s39
	s_addc_u32 s6, s15, s6
	s_sub_i32 s9, s43, s9
	s_xor_b32 s4, s35, s4
	s_add_i32 s10, s40, 1
	s_sub_i32 s13, s9, s39
	s_cmp_ge_u32 s9, s39
	s_cselect_b32 s10, s10, s40
	s_cselect_b32 s9, s13, s9
	s_add_i32 s13, s10, 1
	s_cmp_ge_u32 s9, s39
	s_cselect_b32 s9, s13, s10
	s_xor_b32 s9, s9, s4
	s_sub_i32 s4, s9, s4
	s_mul_i32 s7, s4, s7
	s_ashr_i32 s9, s7, 31
	s_add_u32 s13, s8, s7
	s_addc_u32 s14, s6, s9
	s_mul_hi_u32 s6, s22, s33
	s_mul_i32 s5, s22, s5
	s_add_i32 s5, s6, s5
	s_mul_i32 s6, s23, s33
	s_add_i32 s5, s5, s6
	s_mul_i32 s6, s22, s33
	s_add_u32 s6, s16, s6
	s_mul_i32 s4, s4, s11
	s_addc_u32 s5, s17, s5
	s_ashr_i32 s7, s4, 31
	s_add_u32 s39, s6, s4
	v_lshlrev_b32_e32 v45, 2, v36
	s_addc_u32 s40, s5, s7
	s_lshl_b32 s41, s3, 6
	s_sub_i32 s15, s38, 64
	s_cmp_ge_i32 s41, s15
	v_mul_lo_u32 v33, v0, s42
	v_lshrrev_b32_e32 v1, 4, v36
	v_and_b32_e32 v0, 60, v45
	v_or_b32_e32 v30, 1, v46
	v_mbcnt_lo_u32_b32 v31, -1, 0
	s_cbranch_scc1 .LBB88_36
; %bb.7:
	v_add_u32_e32 v2, v1, v44
	v_lshlrev_b32_e32 v4, 2, v0
	s_movk_i32 s4, 0x110
	v_mad_u32_u24 v34, v2, s4, v4
	v_mul_lo_u32 v8, s12, v2
	s_lshl_b32 s4, s12, 4
	v_add_u32_e32 v10, s4, v8
	v_mul_hi_u32 v5, s28, v30
	v_add_u32_e32 v12, s4, v10
	s_cmp_lg_u64 s[36:37], 0
	v_add_u32_e32 v5, v30, v5
	v_add_u32_e32 v14, s4, v12
	s_cselect_b64 s[6:7], -1, 0
	v_lshrrev_b32_e32 v5, s29, v5
	v_mul_lo_u32 v16, s2, v2
	s_lshl_b32 s4, s2, 4
	v_mul_lo_u32 v5, v5, s30
	v_add_u32_e32 v18, s4, v16
	v_sub_u32_e32 v5, v30, v5
	v_add_u32_e32 v20, s4, v18
	v_mov_b32_e32 v3, 0
	v_mul_lo_u32 v41, v5, s42
	v_mov_b32_e32 v5, 0x5400
	v_lshl_or_b32 v49, v2, 8, v4
	v_add_u32_e32 v22, s4, v20
	s_add_u32 s8, s0, 0xd0
                                        ; implicit-def: $vgpr4
                                        ; implicit-def: $vgpr4
	;; [unrolled: 1-line block ×3, first 2 shown]
	v_ashrrev_i32_e32 v9, 31, v8
	v_add_u32_e32 v35, 0x1100, v34
	v_ashrrev_i32_e32 v11, 31, v10
	v_add_u32_e32 v37, 0x2200, v34
	;; [unrolled: 2-line block ×4, first 2 shown]
	v_mul_u32_u24_e32 v40, 0x110, v36
	v_lshl_add_u32 v48, v24, 8, v5
	v_ashrrev_i32_e32 v17, 31, v16
	v_add_u32_e32 v50, 0x1000, v49
	v_ashrrev_i32_e32 v19, 31, v18
	v_add_u32_e32 v51, 0x2000, v49
	;; [unrolled: 2-line block ×3, first 2 shown]
	v_ashrrev_i32_e32 v23, 31, v22
	s_addc_u32 s9, s1, 0
	v_mov_b32_e32 v57, 0xfeffffff
	v_lshlrev_b32_e32 v2, 2, v0
	s_mov_b32 s16, 0x3f200000
	s_mov_b32 s17, 0x3fb8aa3b
	;; [unrolled: 1-line block ×4, first 2 shown]
	v_mov_b32_e32 v53, 0x3ca908c9
	s_brev_b32 s43, -2
	s_mov_b32 s44, 0x10001
	v_mov_b32_e32 v54, 0x7f800000
	v_mbcnt_hi_u32_b32 v55, -1, v31
	v_mov_b32_e32 v26, v3
	v_mov_b32_e32 v28, v3
	;; [unrolled: 1-line block ×7, first 2 shown]
.LBB88_8:                               ; =>This Inner Loop Header: Depth=1
	s_mul_hi_i32 s5, s41, s12
	s_mul_i32 s4, s41, s12
	s_lshl_b64 s[4:5], s[4:5], 2
	s_add_u32 s4, s13, s4
	s_addc_u32 s5, s14, s5
	v_lshl_add_u64 v[6:7], v[8:9], 2, s[4:5]
	v_lshl_add_u64 v[6:7], v[6:7], 0, v[2:3]
	;; [unrolled: 1-line block ×4, first 2 shown]
	global_load_dwordx4 v[62:65], v[6:7], off
	global_load_dwordx4 v[66:69], v[58:59], off
	v_lshl_add_u64 v[6:7], v[12:13], 2, s[4:5]
	v_lshl_add_u64 v[6:7], v[6:7], 0, v[2:3]
	;; [unrolled: 1-line block ×4, first 2 shown]
	global_load_dwordx4 v[70:73], v[6:7], off
	global_load_dwordx4 v[74:77], v[58:59], off
	v_mov_b32_e32 v60, 0
	v_mov_b32_e32 v58, 0
	;; [unrolled: 1-line block ×4, first 2 shown]
	s_waitcnt vmcnt(3)
	ds_write_b128 v34, v[62:65]
	s_waitcnt vmcnt(2)
	ds_write_b128 v35, v[66:69]
	;; [unrolled: 2-line block ×4, first 2 shown]
	s_waitcnt lgkmcnt(0)
	s_barrier
	ds_read_b128 v[62:65], v40
	ds_read_b128 v[66:69], v39
	ds_read_b128 v[70:73], v40 offset:8704
	ds_read_b128 v[74:77], v39 offset:256
	s_waitcnt lgkmcnt(2)
	;;#ASMSTART
	v_dot2_f32_f16 v60, v62, v66, v60
	;;#ASMEND
	s_nop 0
	;;#ASMSTART
	v_dot2_f32_f16 v60, v63, v67, v60
	;;#ASMEND
	s_nop 0
	;; [unrolled: 4-line block ×3, first 2 shown]
	;;#ASMSTART
	v_dot2_f32_f16 v60, v65, v69, v60
	;;#ASMEND
	s_waitcnt lgkmcnt(0)
	;;#ASMSTART
	v_dot2_f32_f16 v58, v62, v74, v58
	;;#ASMEND
	s_nop 0
	;;#ASMSTART
	v_dot2_f32_f16 v58, v63, v75, v58
	;;#ASMEND
	s_nop 0
	;;#ASMSTART
	v_dot2_f32_f16 v58, v64, v76, v58
	;;#ASMEND
	s_nop 0
	;;#ASMSTART
	v_dot2_f32_f16 v58, v65, v77, v58
	;;#ASMEND
	;;#ASMSTART
	v_dot2_f32_f16 v61, v70, v66, v61
	;;#ASMEND
	s_nop 0
	;;#ASMSTART
	v_dot2_f32_f16 v61, v71, v67, v61
	;;#ASMEND
	s_nop 0
	;;#ASMSTART
	v_dot2_f32_f16 v61, v72, v68, v61
	;;#ASMEND
	s_nop 0
	;;#ASMSTART
	v_dot2_f32_f16 v61, v73, v69, v61
	;;#ASMEND
	;; [unrolled: 15-line block ×3, first 2 shown]
	ds_read_b128 v[62:65], v39 offset:16
	ds_read_b128 v[66:69], v40 offset:16
	;; [unrolled: 1-line block ×4, first 2 shown]
	s_waitcnt lgkmcnt(2)
	;;#ASMSTART
	v_dot2_f32_f16 v60, v66, v62, v60
	;;#ASMEND
	s_nop 0
	;;#ASMSTART
	v_dot2_f32_f16 v60, v67, v63, v60
	;;#ASMEND
	s_nop 0
	;; [unrolled: 4-line block ×3, first 2 shown]
	;;#ASMSTART
	v_dot2_f32_f16 v60, v69, v65, v60
	;;#ASMEND
	s_waitcnt lgkmcnt(0)
	;;#ASMSTART
	v_dot2_f32_f16 v58, v66, v74, v58
	;;#ASMEND
	s_nop 0
	;;#ASMSTART
	v_dot2_f32_f16 v58, v67, v75, v58
	;;#ASMEND
	s_nop 0
	;;#ASMSTART
	v_dot2_f32_f16 v58, v68, v76, v58
	;;#ASMEND
	s_nop 0
	;;#ASMSTART
	v_dot2_f32_f16 v58, v69, v77, v58
	;;#ASMEND
	;;#ASMSTART
	v_dot2_f32_f16 v61, v70, v62, v61
	;;#ASMEND
	s_nop 0
	;;#ASMSTART
	v_dot2_f32_f16 v61, v71, v63, v61
	;;#ASMEND
	s_nop 0
	;;#ASMSTART
	v_dot2_f32_f16 v61, v72, v64, v61
	;;#ASMEND
	s_nop 0
	;;#ASMSTART
	v_dot2_f32_f16 v61, v73, v65, v61
	;;#ASMEND
	;; [unrolled: 15-line block ×3, first 2 shown]
	ds_read_b128 v[62:65], v39 offset:32
	ds_read_b128 v[66:69], v40 offset:32
	;; [unrolled: 1-line block ×4, first 2 shown]
	s_waitcnt lgkmcnt(2)
	;;#ASMSTART
	v_dot2_f32_f16 v60, v66, v62, v60
	;;#ASMEND
	s_nop 0
	;;#ASMSTART
	v_dot2_f32_f16 v60, v67, v63, v60
	;;#ASMEND
	s_nop 0
	;; [unrolled: 4-line block ×3, first 2 shown]
	;;#ASMSTART
	v_dot2_f32_f16 v60, v69, v65, v60
	;;#ASMEND
	s_waitcnt lgkmcnt(0)
	;;#ASMSTART
	v_dot2_f32_f16 v58, v66, v74, v58
	;;#ASMEND
	s_nop 0
	;;#ASMSTART
	v_dot2_f32_f16 v58, v67, v75, v58
	;;#ASMEND
	s_nop 0
	;;#ASMSTART
	v_dot2_f32_f16 v58, v68, v76, v58
	;;#ASMEND
	s_nop 0
	;;#ASMSTART
	v_dot2_f32_f16 v58, v69, v77, v58
	;;#ASMEND
	;;#ASMSTART
	v_dot2_f32_f16 v61, v70, v62, v61
	;;#ASMEND
	s_nop 0
	;;#ASMSTART
	v_dot2_f32_f16 v61, v71, v63, v61
	;;#ASMEND
	s_nop 0
	;;#ASMSTART
	v_dot2_f32_f16 v61, v72, v64, v61
	;;#ASMEND
	s_nop 0
	;;#ASMSTART
	v_dot2_f32_f16 v61, v73, v65, v61
	;;#ASMEND
	;; [unrolled: 15-line block ×3, first 2 shown]
	ds_read_b128 v[62:65], v39 offset:48
	ds_read_b128 v[66:69], v40 offset:48
	;; [unrolled: 1-line block ×4, first 2 shown]
	s_waitcnt lgkmcnt(2)
	;;#ASMSTART
	v_dot2_f32_f16 v60, v66, v62, v60
	;;#ASMEND
	s_nop 0
	;;#ASMSTART
	v_dot2_f32_f16 v60, v67, v63, v60
	;;#ASMEND
	s_nop 0
	;; [unrolled: 4-line block ×3, first 2 shown]
	;;#ASMSTART
	v_dot2_f32_f16 v60, v69, v65, v60
	;;#ASMEND
	s_waitcnt lgkmcnt(0)
	;;#ASMSTART
	v_dot2_f32_f16 v58, v66, v74, v58
	;;#ASMEND
	s_nop 0
	;;#ASMSTART
	v_dot2_f32_f16 v58, v67, v75, v58
	;;#ASMEND
	s_nop 0
	;;#ASMSTART
	v_dot2_f32_f16 v58, v68, v76, v58
	;;#ASMEND
	s_nop 0
	;;#ASMSTART
	v_dot2_f32_f16 v58, v69, v77, v58
	;;#ASMEND
	;;#ASMSTART
	v_dot2_f32_f16 v61, v70, v62, v61
	;;#ASMEND
	s_nop 0
	;;#ASMSTART
	v_dot2_f32_f16 v61, v71, v63, v61
	;;#ASMEND
	s_nop 0
	;;#ASMSTART
	v_dot2_f32_f16 v61, v72, v64, v61
	;;#ASMEND
	s_nop 0
	;;#ASMSTART
	v_dot2_f32_f16 v61, v73, v65, v61
	;;#ASMEND
	;; [unrolled: 15-line block ×3, first 2 shown]
	ds_read_b128 v[62:65], v39 offset:64
	ds_read_b128 v[66:69], v40 offset:64
	;; [unrolled: 1-line block ×4, first 2 shown]
	s_waitcnt lgkmcnt(2)
	;;#ASMSTART
	v_dot2_f32_f16 v60, v66, v62, v60
	;;#ASMEND
	s_nop 0
	;;#ASMSTART
	v_dot2_f32_f16 v60, v67, v63, v60
	;;#ASMEND
	s_nop 0
	;; [unrolled: 4-line block ×3, first 2 shown]
	;;#ASMSTART
	v_dot2_f32_f16 v60, v69, v65, v60
	;;#ASMEND
	s_waitcnt lgkmcnt(0)
	;;#ASMSTART
	v_dot2_f32_f16 v58, v66, v74, v58
	;;#ASMEND
	s_nop 0
	;;#ASMSTART
	v_dot2_f32_f16 v58, v67, v75, v58
	;;#ASMEND
	s_nop 0
	;;#ASMSTART
	v_dot2_f32_f16 v58, v68, v76, v58
	;;#ASMEND
	s_nop 0
	;;#ASMSTART
	v_dot2_f32_f16 v58, v69, v77, v58
	;;#ASMEND
	;;#ASMSTART
	v_dot2_f32_f16 v61, v70, v62, v61
	;;#ASMEND
	s_nop 0
	;;#ASMSTART
	v_dot2_f32_f16 v61, v71, v63, v61
	;;#ASMEND
	s_nop 0
	;;#ASMSTART
	v_dot2_f32_f16 v61, v72, v64, v61
	;;#ASMEND
	s_nop 0
	;;#ASMSTART
	v_dot2_f32_f16 v61, v73, v65, v61
	;;#ASMEND
	;;#ASMSTART
	v_dot2_f32_f16 v59, v70, v74, v59
	;;#ASMEND
	s_nop 0
	;;#ASMSTART
	v_dot2_f32_f16 v59, v71, v75, v59
	;;#ASMEND
	s_nop 0
	;;#ASMSTART
	v_dot2_f32_f16 v59, v72, v76, v59
	;;#ASMEND
	s_nop 0
	;;#ASMSTART
	v_dot2_f32_f16 v59, v73, v77, v59
	;;#ASMEND
	ds_read_b128 v[62:65], v39 offset:80
	ds_read_b128 v[66:69], v40 offset:80
	ds_read_b128 v[70:73], v40 offset:8784
	ds_read_b128 v[74:77], v39 offset:336
	s_waitcnt lgkmcnt(2)
	;;#ASMSTART
	v_dot2_f32_f16 v60, v66, v62, v60
	;;#ASMEND
	s_nop 0
	;;#ASMSTART
	v_dot2_f32_f16 v60, v67, v63, v60
	;;#ASMEND
	s_nop 0
	;; [unrolled: 4-line block ×3, first 2 shown]
	;;#ASMSTART
	v_dot2_f32_f16 v60, v69, v65, v60
	;;#ASMEND
	s_waitcnt lgkmcnt(0)
	;;#ASMSTART
	v_dot2_f32_f16 v58, v66, v74, v58
	;;#ASMEND
	s_nop 0
	;;#ASMSTART
	v_dot2_f32_f16 v58, v67, v75, v58
	;;#ASMEND
	s_nop 0
	;;#ASMSTART
	v_dot2_f32_f16 v58, v68, v76, v58
	;;#ASMEND
	s_nop 0
	;;#ASMSTART
	v_dot2_f32_f16 v58, v69, v77, v58
	;;#ASMEND
	;;#ASMSTART
	v_dot2_f32_f16 v61, v70, v62, v61
	;;#ASMEND
	s_nop 0
	;;#ASMSTART
	v_dot2_f32_f16 v61, v71, v63, v61
	;;#ASMEND
	s_nop 0
	;;#ASMSTART
	v_dot2_f32_f16 v61, v72, v64, v61
	;;#ASMEND
	s_nop 0
	;;#ASMSTART
	v_dot2_f32_f16 v61, v73, v65, v61
	;;#ASMEND
	;; [unrolled: 15-line block ×3, first 2 shown]
	ds_read_b128 v[62:65], v39 offset:96
	ds_read_b128 v[66:69], v40 offset:96
	;; [unrolled: 1-line block ×4, first 2 shown]
	s_waitcnt lgkmcnt(2)
	;;#ASMSTART
	v_dot2_f32_f16 v60, v66, v62, v60
	;;#ASMEND
	s_nop 0
	;;#ASMSTART
	v_dot2_f32_f16 v60, v67, v63, v60
	;;#ASMEND
	s_nop 0
	;; [unrolled: 4-line block ×3, first 2 shown]
	;;#ASMSTART
	v_dot2_f32_f16 v60, v69, v65, v60
	;;#ASMEND
	s_waitcnt lgkmcnt(0)
	;;#ASMSTART
	v_dot2_f32_f16 v58, v66, v74, v58
	;;#ASMEND
	s_nop 0
	;;#ASMSTART
	v_dot2_f32_f16 v58, v67, v75, v58
	;;#ASMEND
	s_nop 0
	;;#ASMSTART
	v_dot2_f32_f16 v58, v68, v76, v58
	;;#ASMEND
	s_nop 0
	;;#ASMSTART
	v_dot2_f32_f16 v58, v69, v77, v58
	;;#ASMEND
	;;#ASMSTART
	v_dot2_f32_f16 v61, v70, v62, v61
	;;#ASMEND
	s_nop 0
	;;#ASMSTART
	v_dot2_f32_f16 v61, v71, v63, v61
	;;#ASMEND
	s_nop 0
	;;#ASMSTART
	v_dot2_f32_f16 v61, v72, v64, v61
	;;#ASMEND
	s_nop 0
	;;#ASMSTART
	v_dot2_f32_f16 v61, v73, v65, v61
	;;#ASMEND
	;; [unrolled: 15-line block ×3, first 2 shown]
	ds_read_b128 v[62:65], v39 offset:112
	ds_read_b128 v[66:69], v40 offset:112
	;; [unrolled: 1-line block ×4, first 2 shown]
	s_waitcnt lgkmcnt(2)
	;;#ASMSTART
	v_dot2_f32_f16 v60, v66, v62, v60
	;;#ASMEND
	s_nop 0
	;;#ASMSTART
	v_dot2_f32_f16 v60, v67, v63, v60
	;;#ASMEND
	s_nop 0
	;; [unrolled: 4-line block ×3, first 2 shown]
	;;#ASMSTART
	v_dot2_f32_f16 v60, v69, v65, v60
	;;#ASMEND
	s_waitcnt lgkmcnt(0)
	;;#ASMSTART
	v_dot2_f32_f16 v58, v66, v74, v58
	;;#ASMEND
	s_nop 0
	;;#ASMSTART
	v_dot2_f32_f16 v58, v67, v75, v58
	;;#ASMEND
	s_nop 0
	;;#ASMSTART
	v_dot2_f32_f16 v58, v68, v76, v58
	;;#ASMEND
	s_nop 0
	;;#ASMSTART
	v_dot2_f32_f16 v58, v69, v77, v58
	;;#ASMEND
	;;#ASMSTART
	v_dot2_f32_f16 v61, v70, v62, v61
	;;#ASMEND
	s_nop 0
	;;#ASMSTART
	v_dot2_f32_f16 v61, v71, v63, v61
	;;#ASMEND
	s_nop 0
	;;#ASMSTART
	v_dot2_f32_f16 v61, v72, v64, v61
	;;#ASMEND
	s_nop 0
	;;#ASMSTART
	v_dot2_f32_f16 v61, v73, v65, v61
	;;#ASMEND
	;; [unrolled: 15-line block ×3, first 2 shown]
	ds_read_b128 v[62:65], v39 offset:128
	ds_read_b128 v[66:69], v40 offset:128
	ds_read_b128 v[70:73], v40 offset:8832
	ds_read_b128 v[74:77], v39 offset:384
	s_waitcnt lgkmcnt(2)
	;;#ASMSTART
	v_dot2_f32_f16 v60, v66, v62, v60
	;;#ASMEND
	s_nop 0
	;;#ASMSTART
	v_dot2_f32_f16 v60, v67, v63, v60
	;;#ASMEND
	s_nop 0
	;; [unrolled: 4-line block ×3, first 2 shown]
	;;#ASMSTART
	v_dot2_f32_f16 v60, v69, v65, v60
	;;#ASMEND
	s_waitcnt lgkmcnt(0)
	;;#ASMSTART
	v_dot2_f32_f16 v58, v66, v74, v58
	;;#ASMEND
	s_nop 0
	;;#ASMSTART
	v_dot2_f32_f16 v58, v67, v75, v58
	;;#ASMEND
	s_nop 0
	;;#ASMSTART
	v_dot2_f32_f16 v58, v68, v76, v58
	;;#ASMEND
	s_nop 0
	;;#ASMSTART
	v_dot2_f32_f16 v58, v69, v77, v58
	;;#ASMEND
	;;#ASMSTART
	v_dot2_f32_f16 v61, v70, v62, v61
	;;#ASMEND
	s_nop 0
	;;#ASMSTART
	v_dot2_f32_f16 v61, v71, v63, v61
	;;#ASMEND
	s_nop 0
	;;#ASMSTART
	v_dot2_f32_f16 v61, v72, v64, v61
	;;#ASMEND
	s_nop 0
	;;#ASMSTART
	v_dot2_f32_f16 v61, v73, v65, v61
	;;#ASMEND
	;; [unrolled: 15-line block ×3, first 2 shown]
	ds_read_b128 v[62:65], v39 offset:144
	ds_read_b128 v[66:69], v40 offset:144
	;; [unrolled: 1-line block ×4, first 2 shown]
	s_waitcnt lgkmcnt(2)
	;;#ASMSTART
	v_dot2_f32_f16 v60, v66, v62, v60
	;;#ASMEND
	s_nop 0
	;;#ASMSTART
	v_dot2_f32_f16 v60, v67, v63, v60
	;;#ASMEND
	s_nop 0
	;; [unrolled: 4-line block ×3, first 2 shown]
	;;#ASMSTART
	v_dot2_f32_f16 v60, v69, v65, v60
	;;#ASMEND
	s_waitcnt lgkmcnt(0)
	;;#ASMSTART
	v_dot2_f32_f16 v58, v66, v74, v58
	;;#ASMEND
	s_nop 0
	;;#ASMSTART
	v_dot2_f32_f16 v58, v67, v75, v58
	;;#ASMEND
	s_nop 0
	;;#ASMSTART
	v_dot2_f32_f16 v58, v68, v76, v58
	;;#ASMEND
	s_nop 0
	;;#ASMSTART
	v_dot2_f32_f16 v58, v69, v77, v58
	;;#ASMEND
	;;#ASMSTART
	v_dot2_f32_f16 v61, v70, v62, v61
	;;#ASMEND
	s_nop 0
	;;#ASMSTART
	v_dot2_f32_f16 v61, v71, v63, v61
	;;#ASMEND
	s_nop 0
	;;#ASMSTART
	v_dot2_f32_f16 v61, v72, v64, v61
	;;#ASMEND
	s_nop 0
	;;#ASMSTART
	v_dot2_f32_f16 v61, v73, v65, v61
	;;#ASMEND
	;; [unrolled: 15-line block ×3, first 2 shown]
	ds_read_b128 v[62:65], v39 offset:160
	ds_read_b128 v[66:69], v40 offset:160
	;; [unrolled: 1-line block ×4, first 2 shown]
	s_waitcnt lgkmcnt(2)
	;;#ASMSTART
	v_dot2_f32_f16 v60, v66, v62, v60
	;;#ASMEND
	s_nop 0
	;;#ASMSTART
	v_dot2_f32_f16 v60, v67, v63, v60
	;;#ASMEND
	s_nop 0
	;; [unrolled: 4-line block ×3, first 2 shown]
	;;#ASMSTART
	v_dot2_f32_f16 v60, v69, v65, v60
	;;#ASMEND
	s_waitcnt lgkmcnt(0)
	;;#ASMSTART
	v_dot2_f32_f16 v58, v66, v74, v58
	;;#ASMEND
	s_nop 0
	;;#ASMSTART
	v_dot2_f32_f16 v58, v67, v75, v58
	;;#ASMEND
	s_nop 0
	;;#ASMSTART
	v_dot2_f32_f16 v58, v68, v76, v58
	;;#ASMEND
	s_nop 0
	;;#ASMSTART
	v_dot2_f32_f16 v58, v69, v77, v58
	;;#ASMEND
	;;#ASMSTART
	v_dot2_f32_f16 v61, v70, v62, v61
	;;#ASMEND
	s_nop 0
	;;#ASMSTART
	v_dot2_f32_f16 v61, v71, v63, v61
	;;#ASMEND
	s_nop 0
	;;#ASMSTART
	v_dot2_f32_f16 v61, v72, v64, v61
	;;#ASMEND
	s_nop 0
	;;#ASMSTART
	v_dot2_f32_f16 v61, v73, v65, v61
	;;#ASMEND
	;; [unrolled: 15-line block ×3, first 2 shown]
	ds_read_b128 v[62:65], v39 offset:176
	ds_read_b128 v[66:69], v40 offset:176
	;; [unrolled: 1-line block ×4, first 2 shown]
	s_waitcnt lgkmcnt(2)
	;;#ASMSTART
	v_dot2_f32_f16 v60, v66, v62, v60
	;;#ASMEND
	s_nop 0
	;;#ASMSTART
	v_dot2_f32_f16 v60, v67, v63, v60
	;;#ASMEND
	s_nop 0
	;; [unrolled: 4-line block ×3, first 2 shown]
	;;#ASMSTART
	v_dot2_f32_f16 v60, v69, v65, v60
	;;#ASMEND
	s_waitcnt lgkmcnt(0)
	;;#ASMSTART
	v_dot2_f32_f16 v58, v66, v74, v58
	;;#ASMEND
	s_nop 0
	;;#ASMSTART
	v_dot2_f32_f16 v58, v67, v75, v58
	;;#ASMEND
	s_nop 0
	;;#ASMSTART
	v_dot2_f32_f16 v58, v68, v76, v58
	;;#ASMEND
	s_nop 0
	;;#ASMSTART
	v_dot2_f32_f16 v58, v69, v77, v58
	;;#ASMEND
	;;#ASMSTART
	v_dot2_f32_f16 v61, v70, v62, v61
	;;#ASMEND
	s_nop 0
	;;#ASMSTART
	v_dot2_f32_f16 v61, v71, v63, v61
	;;#ASMEND
	s_nop 0
	;;#ASMSTART
	v_dot2_f32_f16 v61, v72, v64, v61
	;;#ASMEND
	s_nop 0
	;;#ASMSTART
	v_dot2_f32_f16 v61, v73, v65, v61
	;;#ASMEND
	;; [unrolled: 15-line block ×3, first 2 shown]
	ds_read_b128 v[62:65], v39 offset:192
	ds_read_b128 v[66:69], v40 offset:192
	ds_read_b128 v[70:73], v40 offset:8896
	ds_read_b128 v[74:77], v39 offset:448
	s_waitcnt lgkmcnt(2)
	;;#ASMSTART
	v_dot2_f32_f16 v60, v66, v62, v60
	;;#ASMEND
	s_nop 0
	;;#ASMSTART
	v_dot2_f32_f16 v60, v67, v63, v60
	;;#ASMEND
	s_nop 0
	;; [unrolled: 4-line block ×3, first 2 shown]
	;;#ASMSTART
	v_dot2_f32_f16 v60, v69, v65, v60
	;;#ASMEND
	s_waitcnt lgkmcnt(0)
	;;#ASMSTART
	v_dot2_f32_f16 v58, v66, v74, v58
	;;#ASMEND
	s_nop 0
	;;#ASMSTART
	v_dot2_f32_f16 v58, v67, v75, v58
	;;#ASMEND
	s_nop 0
	;;#ASMSTART
	v_dot2_f32_f16 v58, v68, v76, v58
	;;#ASMEND
	s_nop 0
	;;#ASMSTART
	v_dot2_f32_f16 v58, v69, v77, v58
	;;#ASMEND
	;;#ASMSTART
	v_dot2_f32_f16 v61, v70, v62, v61
	;;#ASMEND
	s_nop 0
	;;#ASMSTART
	v_dot2_f32_f16 v61, v71, v63, v61
	;;#ASMEND
	s_nop 0
	;;#ASMSTART
	v_dot2_f32_f16 v61, v72, v64, v61
	;;#ASMEND
	s_nop 0
	;;#ASMSTART
	v_dot2_f32_f16 v61, v73, v65, v61
	;;#ASMEND
	;; [unrolled: 15-line block ×3, first 2 shown]
	ds_read_b128 v[62:65], v39 offset:208
	ds_read_b128 v[66:69], v40 offset:208
	;; [unrolled: 1-line block ×4, first 2 shown]
	s_waitcnt lgkmcnt(2)
	;;#ASMSTART
	v_dot2_f32_f16 v60, v66, v62, v60
	;;#ASMEND
	s_nop 0
	;;#ASMSTART
	v_dot2_f32_f16 v60, v67, v63, v60
	;;#ASMEND
	s_nop 0
	;; [unrolled: 4-line block ×3, first 2 shown]
	;;#ASMSTART
	v_dot2_f32_f16 v60, v69, v65, v60
	;;#ASMEND
	s_waitcnt lgkmcnt(0)
	;;#ASMSTART
	v_dot2_f32_f16 v58, v66, v74, v58
	;;#ASMEND
	s_nop 0
	;;#ASMSTART
	v_dot2_f32_f16 v58, v67, v75, v58
	;;#ASMEND
	s_nop 0
	;;#ASMSTART
	v_dot2_f32_f16 v58, v68, v76, v58
	;;#ASMEND
	s_nop 0
	;;#ASMSTART
	v_dot2_f32_f16 v58, v69, v77, v58
	;;#ASMEND
	;;#ASMSTART
	v_dot2_f32_f16 v61, v70, v62, v61
	;;#ASMEND
	s_nop 0
	;;#ASMSTART
	v_dot2_f32_f16 v61, v71, v63, v61
	;;#ASMEND
	s_nop 0
	;;#ASMSTART
	v_dot2_f32_f16 v61, v72, v64, v61
	;;#ASMEND
	s_nop 0
	;;#ASMSTART
	v_dot2_f32_f16 v61, v73, v65, v61
	;;#ASMEND
	;;#ASMSTART
	v_dot2_f32_f16 v59, v70, v74, v59
	;;#ASMEND
	s_nop 0
	;;#ASMSTART
	v_dot2_f32_f16 v59, v71, v75, v59
	;;#ASMEND
	s_nop 0
	;;#ASMSTART
	v_dot2_f32_f16 v59, v72, v76, v59
	;;#ASMEND
	s_nop 0
	;;#ASMSTART
	v_dot2_f32_f16 v59, v73, v77, v59
	;;#ASMEND
	ds_read_b128 v[62:65], v39 offset:224
	ds_read_b128 v[66:69], v40 offset:224
	;; [unrolled: 1-line block ×4, first 2 shown]
	s_waitcnt lgkmcnt(2)
	;;#ASMSTART
	v_dot2_f32_f16 v60, v66, v62, v60
	;;#ASMEND
	s_nop 0
	;;#ASMSTART
	v_dot2_f32_f16 v60, v67, v63, v60
	;;#ASMEND
	s_nop 0
	;; [unrolled: 4-line block ×3, first 2 shown]
	;;#ASMSTART
	v_dot2_f32_f16 v60, v69, v65, v60
	;;#ASMEND
	s_waitcnt lgkmcnt(0)
	;;#ASMSTART
	v_dot2_f32_f16 v58, v66, v74, v58
	;;#ASMEND
	s_nop 0
	;;#ASMSTART
	v_dot2_f32_f16 v58, v67, v75, v58
	;;#ASMEND
	s_nop 0
	;;#ASMSTART
	v_dot2_f32_f16 v58, v68, v76, v58
	;;#ASMEND
	s_nop 0
	;;#ASMSTART
	v_dot2_f32_f16 v58, v69, v77, v58
	;;#ASMEND
	;;#ASMSTART
	v_dot2_f32_f16 v61, v70, v62, v61
	;;#ASMEND
	s_nop 0
	;;#ASMSTART
	v_dot2_f32_f16 v61, v71, v63, v61
	;;#ASMEND
	s_nop 0
	;;#ASMSTART
	v_dot2_f32_f16 v61, v72, v64, v61
	;;#ASMEND
	s_nop 0
	;;#ASMSTART
	v_dot2_f32_f16 v61, v73, v65, v61
	;;#ASMEND
	;; [unrolled: 15-line block ×3, first 2 shown]
	ds_read_b128 v[62:65], v39 offset:240
	ds_read_b128 v[66:69], v40 offset:240
	;; [unrolled: 1-line block ×4, first 2 shown]
	s_waitcnt lgkmcnt(2)
	;;#ASMSTART
	v_dot2_f32_f16 v60, v66, v62, v60
	;;#ASMEND
	s_nop 0
	;;#ASMSTART
	v_dot2_f32_f16 v60, v67, v63, v60
	;;#ASMEND
	s_nop 0
	;; [unrolled: 4-line block ×3, first 2 shown]
	;;#ASMSTART
	v_dot2_f32_f16 v60, v69, v65, v60
	;;#ASMEND
	s_waitcnt lgkmcnt(0)
	;;#ASMSTART
	v_dot2_f32_f16 v58, v66, v74, v58
	;;#ASMEND
	s_nop 0
	;;#ASMSTART
	v_dot2_f32_f16 v58, v67, v75, v58
	;;#ASMEND
	v_cmp_nlt_f32_e64 s[4:5], |v60|, s16
	;;#ASMSTART
	v_dot2_f32_f16 v58, v68, v76, v58
	;;#ASMEND
	s_nop 0
	;;#ASMSTART
	v_dot2_f32_f16 v58, v69, v77, v58
	;;#ASMEND
	;;#ASMSTART
	v_dot2_f32_f16 v61, v70, v62, v61
	;;#ASMEND
	s_nop 0
	;;#ASMSTART
	v_dot2_f32_f16 v61, v71, v63, v61
	;;#ASMEND
	s_nop 0
	;;#ASMSTART
	v_dot2_f32_f16 v61, v72, v64, v61
	;;#ASMEND
                                        ; implicit-def: $vgpr64
	s_nop 0
	;;#ASMSTART
	v_dot2_f32_f16 v61, v73, v65, v61
	;;#ASMEND
	;;#ASMSTART
	v_dot2_f32_f16 v59, v70, v74, v59
	;;#ASMEND
	s_nop 0
	;;#ASMSTART
	v_dot2_f32_f16 v59, v71, v75, v59
	;;#ASMEND
	s_nop 0
	;; [unrolled: 4-line block ×3, first 2 shown]
	;;#ASMSTART
	v_dot2_f32_f16 v59, v73, v77, v59
	;;#ASMEND
	s_and_saveexec_b64 s[10:11], s[4:5]
	s_xor_b64 s[4:5], exec, s[10:11]
	s_cbranch_execz .LBB88_10
; %bb.9:                                ;   in Loop: Header=BB88_8 Depth=1
	v_add_f32_e64 v6, |v60|, |v60|
	v_mul_f32_e32 v7, 0x3fb8aa3b, v6
	v_rndne_f32_e32 v62, v7
	v_sub_f32_e32 v63, v7, v62
	v_fma_f32 v7, v6, s17, -v7
	v_fmac_f32_e32 v7, 0x32a5705f, v6
	v_add_f32_e32 v7, v63, v7
	v_cvt_i32_f32_e32 v62, v62
	v_exp_f32_e32 v7, v7
	v_cmp_ngt_f32_e32 vcc, s22, v6
	v_ldexp_f32 v7, v7, v62
	s_nop 0
	v_cndmask_b32_e32 v7, 0, v7, vcc
	v_cmp_nlt_f32_e32 vcc, s23, v6
	s_nop 1
	v_cndmask_b32_e32 v6, v54, v7, vcc
	v_add_f32_e32 v6, 1.0, v6
	v_rcp_f32_e32 v6, v6
	s_nop 0
	v_fma_f32 v64, v6, -2.0, 1.0
.LBB88_10:                              ;   in Loop: Header=BB88_8 Depth=1
	s_andn2_saveexec_b64 s[4:5], s[4:5]
; %bb.11:                               ;   in Loop: Header=BB88_8 Depth=1
	v_mul_f32_e32 v6, v60, v60
	v_fmamk_f32 v7, v6, 0xbbbac73d, v53
	v_fmaak_f32 v7, v6, v7, 0xbd5c1c4e
	v_fmaak_f32 v7, v6, v7, 0x3e088382
	;; [unrolled: 1-line block ×3, first 2 shown]
	v_mul_f32_e64 v7, |v60|, v7
	v_fma_f32 v64, v6, v7, |v60|
; %bb.12:                               ;   in Loop: Header=BB88_8 Depth=1
	s_or_b64 exec, exec, s[4:5]
	v_add_u32_e32 v65, s41, v36
	v_add_u32_e32 v6, v65, v33
	v_cndmask_b32_e64 v7, 0, 1, s[6:7]
	v_cmp_ne_u32_e64 s[4:5], 1, v7
	s_andn2_b64 vcc, exec, s[6:7]
	v_ashrrev_i32_e32 v7, 31, v6
	s_cbranch_vccnz .LBB88_34
; %bb.13:                               ;   in Loop: Header=BB88_8 Depth=1
	v_lshl_add_u64 v[62:63], v[6:7], 1, s[36:37]
	global_load_ushort v62, v[62:63], off
	s_waitcnt vmcnt(0)
	v_cvt_f32_f16_e32 v62, v62
	v_mul_f32_e32 v62, v25, v62
	v_cmp_nlt_f32_e64 s[10:11], |v61|, s16
                                        ; implicit-def: $vgpr66
	s_and_saveexec_b64 s[46:47], s[10:11]
	s_xor_b64 s[10:11], exec, s[46:47]
	s_cbranch_execz .LBB88_15
.LBB88_14:                              ;   in Loop: Header=BB88_8 Depth=1
	v_add_f32_e64 v63, |v61|, |v61|
	v_mul_f32_e32 v66, 0x3fb8aa3b, v63
	v_rndne_f32_e32 v67, v66
	v_sub_f32_e32 v68, v66, v67
	v_fma_f32 v66, v63, s17, -v66
	v_fmac_f32_e32 v66, 0x32a5705f, v63
	v_add_f32_e32 v66, v68, v66
	v_cvt_i32_f32_e32 v67, v67
	v_exp_f32_e32 v66, v66
	v_cmp_ngt_f32_e32 vcc, s22, v63
	v_ldexp_f32 v66, v66, v67
	s_nop 0
	v_cndmask_b32_e32 v66, 0, v66, vcc
	v_cmp_nlt_f32_e32 vcc, s23, v63
	s_nop 1
	v_cndmask_b32_e32 v63, v54, v66, vcc
	v_add_f32_e32 v63, 1.0, v63
	v_rcp_f32_e32 v63, v63
	s_nop 0
	v_fma_f32 v66, v63, -2.0, 1.0
.LBB88_15:                              ;   in Loop: Header=BB88_8 Depth=1
	s_andn2_saveexec_b64 s[10:11], s[10:11]
	s_cbranch_execz .LBB88_18
; %bb.16:                               ;   in Loop: Header=BB88_8 Depth=1
	v_mul_f32_e32 v63, v61, v61
	v_fmamk_f32 v66, v63, 0xbbbac73d, v53
	v_fmaak_f32 v66, v63, v66, 0xbd5c1c4e
	v_fmaak_f32 v66, v63, v66, 0x3e088382
	;; [unrolled: 1-line block ×3, first 2 shown]
	v_mul_f32_e64 v66, |v61|, v66
	v_fma_f32 v66, v63, v66, |v61|
	s_or_b64 exec, exec, s[10:11]
	s_and_b64 vcc, exec, s[4:5]
	s_cbranch_vccz .LBB88_19
.LBB88_17:                              ;   in Loop: Header=BB88_8 Depth=1
	v_mov_b32_e32 v63, 0
	s_branch .LBB88_20
.LBB88_18:                              ;   in Loop: Header=BB88_8 Depth=1
	s_or_b64 exec, exec, s[10:11]
	s_and_b64 vcc, exec, s[4:5]
	s_cbranch_vccnz .LBB88_17
.LBB88_19:                              ;   in Loop: Header=BB88_8 Depth=1
	v_lshl_add_u64 v[6:7], v[6:7], 1, s[36:37]
	global_load_ushort v6, v[6:7], off offset:64
	s_waitcnt vmcnt(0)
	v_cvt_f32_f16_e32 v6, v6
	v_mul_f32_e32 v63, v25, v6
.LBB88_20:                              ;   in Loop: Header=BB88_8 Depth=1
	v_bfi_b32 v7, s43, v64, v60
	v_and_b32_e32 v60, 0x60, v55
	v_bfi_b32 v6, s43, v66, v61
	v_add_u32_e32 v60, 32, v60
	v_xor_b32_e32 v61, 16, v55
	v_fmac_f32_e32 v62, s19, v7
	v_cmp_lt_i32_e32 vcc, v61, v60
	v_fmac_f32_e32 v63, s19, v6
	v_add_f32_e32 v7, 0x40051340, v62
	v_cndmask_b32_e32 v61, v55, v61, vcc
	v_add_f32_e32 v6, 0x40051340, v63
	v_lshlrev_b32_e32 v64, 2, v61
	v_max3_f32 v6, v57, v7, v6
	ds_bpermute_b32 v7, v64, v6
	v_xor_b32_e32 v61, 8, v55
	v_cmp_lt_i32_e32 vcc, v61, v60
	v_cmp_nlt_f32_e64 s[10:11], |v58|, s16
                                        ; implicit-def: $vgpr72
	s_waitcnt lgkmcnt(0)
	v_max_f32_e32 v7, v7, v7
	v_cndmask_b32_e32 v61, v55, v61, vcc
	v_lshlrev_b32_e32 v69, 2, v61
	v_max_f32_e32 v6, v6, v7
	ds_bpermute_b32 v7, v69, v6
	v_xor_b32_e32 v61, 4, v55
	v_cmp_lt_i32_e32 vcc, v61, v60
	s_waitcnt lgkmcnt(0)
	v_max_f32_e32 v7, v7, v7
	v_cndmask_b32_e32 v61, v55, v61, vcc
	v_lshlrev_b32_e32 v68, 2, v61
	v_max_f32_e32 v6, v6, v7
	ds_bpermute_b32 v7, v68, v6
	v_xor_b32_e32 v61, 2, v55
	v_cmp_lt_i32_e32 vcc, v61, v60
	;; [unrolled: 8-line block ×3, first 2 shown]
	s_waitcnt lgkmcnt(0)
	v_max_f32_e32 v7, v7, v7
	v_cndmask_b32_e32 v60, v55, v61, vcc
	v_lshlrev_b32_e32 v66, 2, v60
	v_max_f32_e32 v70, v6, v7
	ds_bpermute_b32 v71, v66, v70
	s_and_saveexec_b64 s[46:47], s[10:11]
	s_xor_b64 s[10:11], exec, s[46:47]
	s_cbranch_execz .LBB88_22
; %bb.21:                               ;   in Loop: Header=BB88_8 Depth=1
	v_add_f32_e64 v6, |v58|, |v58|
	v_mul_f32_e32 v7, 0x3fb8aa3b, v6
	v_rndne_f32_e32 v60, v7
	v_sub_f32_e32 v61, v7, v60
	v_fma_f32 v7, v6, s17, -v7
	v_fmac_f32_e32 v7, 0x32a5705f, v6
	v_add_f32_e32 v7, v61, v7
	v_cvt_i32_f32_e32 v60, v60
	v_exp_f32_e32 v7, v7
	v_cmp_ngt_f32_e32 vcc, s22, v6
	v_ldexp_f32 v7, v7, v60
	s_nop 0
	v_cndmask_b32_e32 v7, 0, v7, vcc
	v_cmp_nlt_f32_e32 vcc, s23, v6
	s_nop 1
	v_cndmask_b32_e32 v6, v54, v7, vcc
	v_add_f32_e32 v6, 1.0, v6
	v_rcp_f32_e32 v6, v6
	s_nop 0
	v_fma_f32 v72, v6, -2.0, 1.0
.LBB88_22:                              ;   in Loop: Header=BB88_8 Depth=1
	s_andn2_saveexec_b64 s[10:11], s[10:11]
; %bb.23:                               ;   in Loop: Header=BB88_8 Depth=1
	v_mul_f32_e32 v6, v58, v58
	v_fmamk_f32 v7, v6, 0xbbbac73d, v53
	v_fmaak_f32 v7, v6, v7, 0xbd5c1c4e
	v_fmaak_f32 v7, v6, v7, 0x3e088382
	;; [unrolled: 1-line block ×3, first 2 shown]
	v_mul_f32_e64 v7, |v58|, v7
	v_fma_f32 v72, v6, v7, |v58|
; %bb.24:                               ;   in Loop: Header=BB88_8 Depth=1
	s_or_b64 exec, exec, s[10:11]
	v_add_u32_e32 v6, v65, v41
	s_and_b64 vcc, exec, s[4:5]
	v_ashrrev_i32_e32 v7, 31, v6
	s_cbranch_vccnz .LBB88_35
; %bb.25:                               ;   in Loop: Header=BB88_8 Depth=1
	v_lshl_add_u64 v[60:61], v[6:7], 1, s[36:37]
	global_load_ushort v60, v[60:61], off
	s_waitcnt vmcnt(0)
	v_cvt_f32_f16_e32 v60, v60
	v_mul_f32_e32 v60, v25, v60
	v_cmp_nlt_f32_e64 s[10:11], |v59|, s16
                                        ; implicit-def: $vgpr65
	s_and_saveexec_b64 s[46:47], s[10:11]
	s_xor_b64 s[10:11], exec, s[46:47]
	s_cbranch_execz .LBB88_27
.LBB88_26:                              ;   in Loop: Header=BB88_8 Depth=1
	v_add_f32_e64 v61, |v59|, |v59|
	v_mul_f32_e32 v65, 0x3fb8aa3b, v61
	v_rndne_f32_e32 v73, v65
	v_sub_f32_e32 v74, v65, v73
	v_fma_f32 v65, v61, s17, -v65
	v_fmac_f32_e32 v65, 0x32a5705f, v61
	v_add_f32_e32 v65, v74, v65
	v_cvt_i32_f32_e32 v73, v73
	v_exp_f32_e32 v65, v65
	v_cmp_ngt_f32_e32 vcc, s22, v61
	v_ldexp_f32 v65, v65, v73
	s_nop 0
	v_cndmask_b32_e32 v65, 0, v65, vcc
	v_cmp_nlt_f32_e32 vcc, s23, v61
	s_nop 1
	v_cndmask_b32_e32 v61, v54, v65, vcc
	v_add_f32_e32 v61, 1.0, v61
	v_rcp_f32_e32 v61, v61
	s_nop 0
	v_fma_f32 v65, v61, -2.0, 1.0
.LBB88_27:                              ;   in Loop: Header=BB88_8 Depth=1
	s_andn2_saveexec_b64 s[10:11], s[10:11]
	s_cbranch_execz .LBB88_30
; %bb.28:                               ;   in Loop: Header=BB88_8 Depth=1
	v_mul_f32_e32 v61, v59, v59
	v_fmamk_f32 v65, v61, 0xbbbac73d, v53
	v_fmaak_f32 v65, v61, v65, 0xbd5c1c4e
	v_fmaak_f32 v65, v61, v65, 0x3e088382
	;; [unrolled: 1-line block ×3, first 2 shown]
	v_mul_f32_e64 v65, |v59|, v65
	v_fma_f32 v65, v61, v65, |v59|
	s_or_b64 exec, exec, s[10:11]
	s_and_b64 vcc, exec, s[4:5]
	s_cbranch_vccz .LBB88_31
.LBB88_29:                              ;   in Loop: Header=BB88_8 Depth=1
	v_mov_b32_e32 v61, 0
	s_branch .LBB88_32
.LBB88_30:                              ;   in Loop: Header=BB88_8 Depth=1
	s_or_b64 exec, exec, s[10:11]
	s_and_b64 vcc, exec, s[4:5]
	s_cbranch_vccnz .LBB88_29
.LBB88_31:                              ;   in Loop: Header=BB88_8 Depth=1
	v_lshl_add_u64 v[6:7], v[6:7], 1, s[36:37]
	global_load_ushort v6, v[6:7], off offset:64
	s_waitcnt vmcnt(0)
	v_cvt_f32_f16_e32 v6, v6
	v_mul_f32_e32 v61, v25, v6
.LBB88_32:                              ;   in Loop: Header=BB88_8 Depth=1
	v_bfi_b32 v6, s43, v65, v59
	v_bfi_b32 v7, s43, v72, v58
	v_fmac_f32_e32 v60, s19, v7
	v_fmac_f32_e32 v61, s19, v6
	v_add_f32_e32 v7, 0x40051340, v60
	v_add_f32_e32 v6, 0x40051340, v61
	v_max3_f32 v6, v56, v7, v6
	ds_bpermute_b32 v7, v64, v6
	s_waitcnt lgkmcnt(1)
	v_max_f32_e32 v58, v71, v71
	s_mul_hi_i32 s5, s41, s2
	s_mul_i32 s4, s41, s2
	s_lshl_b64 s[4:5], s[4:5], 2
	s_waitcnt lgkmcnt(0)
	v_max_f32_e32 v7, v7, v7
	v_max_f32_e32 v7, v6, v7
	ds_bpermute_b32 v59, v69, v7
	v_max_f32_e32 v6, v70, v70
	v_max_f32_e32 v6, v6, v58
	v_sub_f32_e32 v84, v62, v6
	v_sub_f32_e32 v86, v63, v6
	s_waitcnt lgkmcnt(0)
	v_max_f32_e32 v58, v59, v59
	v_max_f32_e32 v7, v7, v58
	ds_bpermute_b32 v58, v68, v7
	v_mul_f32_e32 v59, 0x3fb8aa3b, v84
	v_fma_f32 v62, v84, s17, -v59
	v_rndne_f32_e32 v64, v59
	v_fmac_f32_e32 v62, 0x32a5705f, v84
	s_waitcnt lgkmcnt(0)
	v_max_f32_e32 v58, v58, v58
	v_max_f32_e32 v7, v7, v58
	ds_bpermute_b32 v58, v67, v7
	v_sub_f32_e32 v59, v59, v64
	v_add_f32_e32 v59, v59, v62
	v_cvt_i32_f32_e32 v64, v64
	v_exp_f32_e32 v59, v59
	s_waitcnt lgkmcnt(0)
	v_max_f32_e32 v58, v58, v58
	v_max_f32_e32 v7, v7, v58
	ds_bpermute_b32 v58, v66, v7
	v_ldexp_f32 v85, v59, v64
	s_add_u32 s4, s39, s4
	s_addc_u32 s5, s40, s5
	s_waitcnt lgkmcnt(0)
	v_max_f32_e32 v58, v58, v58
	v_max_f32_e32 v7, v7, v58
	v_mul_f32_e32 v58, 0x3fb8aa3b, v86
	v_fma_f32 v59, v86, s17, -v58
	v_rndne_f32_e32 v62, v58
	v_fmac_f32_e32 v59, 0x32a5705f, v86
	v_sub_f32_e32 v58, v58, v62
	v_add_f32_e32 v58, v58, v59
	v_cvt_i32_f32_e32 v88, v62
	v_lshl_add_u64 v[62:63], v[18:19], 2, s[4:5]
	v_exp_f32_e32 v87, v58
	v_lshl_add_u64 v[58:59], v[16:17], 2, s[4:5]
	v_lshl_add_u64 v[78:79], v[62:63], 0, v[2:3]
	;; [unrolled: 1-line block ×6, first 2 shown]
	s_barrier
	v_lshl_add_u64 v[82:83], v[62:63], 0, v[2:3]
	global_load_dwordx4 v[62:65], v[58:59], off
	global_load_dwordx4 v[66:69], v[78:79], off
	;; [unrolled: 1-line block ×4, first 2 shown]
	v_sub_f32_e32 v57, v57, v6
	v_mul_f32_e32 v78, 0x3fb8aa3b, v57
	v_fma_f32 v79, v57, s17, -v78
	v_rndne_f32_e32 v80, v78
	v_fmac_f32_e32 v79, 0x32a5705f, v57
	v_sub_f32_e32 v78, v78, v80
	v_add_f32_e32 v78, v78, v79
	v_cmp_ngt_f32_e32 vcc, s22, v84
	v_exp_f32_e32 v79, v78
	v_cvt_i32_f32_e32 v80, v80
	v_cndmask_b32_e32 v58, 0, v85, vcc
	v_cmp_nlt_f32_e32 vcc, s23, v84
	v_ldexp_f32 v59, v87, v88
	v_sub_f32_e32 v56, v56, v7
	v_cndmask_b32_e32 v58, v54, v58, vcc
	v_cmp_ngt_f32_e32 vcc, s22, v86
	s_nop 1
	v_cndmask_b32_e32 v59, 0, v59, vcc
	v_cmp_nlt_f32_e32 vcc, s23, v86
	s_nop 1
	v_cndmask_b32_e32 v78, v54, v59, vcc
	v_ldexp_f32 v59, v79, v80
	v_cmp_ngt_f32_e32 vcc, s22, v57
	s_nop 1
	v_cndmask_b32_e32 v59, 0, v59, vcc
	v_cmp_nlt_f32_e32 vcc, s23, v57
	s_nop 1
	v_cndmask_b32_e32 v80, v54, v59, vcc
	v_sub_f32_e32 v59, v60, v7
	v_mul_f32_e32 v60, 0x3fb8aa3b, v59
	v_fma_f32 v79, v59, s17, -v60
	v_rndne_f32_e32 v81, v60
	v_fmac_f32_e32 v79, 0x32a5705f, v59
	v_sub_f32_e32 v60, v60, v81
	v_add_f32_e32 v60, v60, v79
	v_cvt_f16_f32_e32 v57, v80
	v_exp_f32_e32 v60, v60
	v_cvt_i32_f32_e32 v79, v81
	v_cmp_ngt_f32_e32 vcc, s22, v59
	v_mul_u32_u24_e32 v82, 0x10001, v57
	v_pk_mul_f16 v27, v27, v82
	v_ldexp_f32 v57, v60, v79
	v_cndmask_b32_e32 v57, 0, v57, vcc
	v_cmp_nlt_f32_e32 vcc, s23, v59
	s_nop 1
	v_cndmask_b32_e32 v59, v54, v57, vcc
	v_sub_f32_e32 v57, v61, v7
	v_mul_f32_e32 v60, 0x3fb8aa3b, v57
	v_fma_f32 v61, v57, s17, -v60
	v_rndne_f32_e32 v79, v60
	v_fmac_f32_e32 v61, 0x32a5705f, v57
	v_sub_f32_e32 v60, v60, v79
	v_add_f32_e32 v60, v60, v61
	v_cvt_i32_f32_e32 v61, v79
	v_mul_f32_e32 v79, 0x3fb8aa3b, v56
	v_fma_f32 v81, v56, s17, -v79
	v_rndne_f32_e32 v83, v79
	v_fmac_f32_e32 v81, 0x32a5705f, v56
	v_sub_f32_e32 v79, v79, v83
	v_exp_f32_e32 v60, v60
	v_add_f32_e32 v79, v79, v81
	v_exp_f32_e32 v79, v79
	v_cvt_i32_f32_e32 v81, v83
	v_ldexp_f32 v60, v60, v61
	v_cmp_ngt_f32_e32 vcc, s22, v57
	v_ldexp_f32 v61, v79, v81
	s_nop 0
	v_cndmask_b32_e32 v60, 0, v60, vcc
	v_cmp_ngt_f32_e32 vcc, s22, v56
	s_nop 1
	v_cndmask_b32_e32 v61, 0, v61, vcc
	v_cmp_nlt_f32_e32 vcc, s23, v56
	s_nop 1
	v_cndmask_b32_e32 v81, v54, v61, vcc
	v_cvt_f16_f32_e32 v61, v81
	v_cmp_nlt_f32_e32 vcc, s23, v57
	s_nop 1
	v_cndmask_b32_e32 v79, v54, v60, vcc
	v_pk_add_f32 v[56:57], v[58:59], v[78:79]
	s_nop 0
	v_pk_fma_f32 v[4:5], v[4:5], v[80:81], v[56:57]
	v_add_u32_e32 v56, v48, v45
	v_cvt_pk_f16_f32 v57, v58, v59
	v_cvt_pk_f16_f32 v58, v78, v79
	v_mul_u32_u24_e32 v80, 0x10001, v61
	ds_write2_b32 v56, v57, v58 offset1:32
	s_waitcnt vmcnt(3)
	ds_write_b128 v49, v[62:65]
	s_waitcnt vmcnt(2)
	ds_write_b128 v50, v[66:69]
	s_waitcnt vmcnt(1)
	ds_write_b128 v51, v[70:73]
	s_waitcnt vmcnt(0)
	ds_write_b128 v52, v[74:77]
	s_waitcnt lgkmcnt(0)
	s_barrier
	ds_read_b128 v[56:59], v48
	ds_read2_b64 v[60:63], v47 offset1:32
	ds_read_b128 v[64:67], v48 offset:16
	ds_read_b128 v[68:71], v48 offset:32
	;; [unrolled: 1-line block ×3, first 2 shown]
	s_waitcnt lgkmcnt(4)
	v_mul_u32_u24_sdwa v76, v56, s44 dst_sel:DWORD dst_unused:UNUSED_PAD src0_sel:WORD_0 src1_sel:DWORD
	v_mul_u32_u24_sdwa v56, v56, s44 dst_sel:DWORD dst_unused:UNUSED_PAD src0_sel:WORD_1 src1_sel:DWORD
	v_pk_mul_f16 v26, v26, v80
	s_waitcnt lgkmcnt(3)
	v_pk_mul_f16 v77, v60, v76
	v_pk_mul_f16 v60, v60, v56
	v_pk_fma_f16 v29, v29, v82, v77
	v_pk_fma_f16 v28, v28, v80, v60
	;; [unrolled: 1-line block ×4, first 2 shown]
	v_mul_u32_u24_sdwa v61, v57, s44 dst_sel:DWORD dst_unused:UNUSED_PAD src0_sel:WORD_0 src1_sel:DWORD
	v_mul_u32_u24_sdwa v57, v57, s44 dst_sel:DWORD dst_unused:UNUSED_PAD src0_sel:WORD_1 src1_sel:DWORD
	v_pk_fma_f16 v76, v62, v61, v29
	v_pk_fma_f16 v62, v62, v57, v28
	ds_read2_b64 v[26:29], v47 offset0:64 offset1:96
	v_pk_fma_f16 v60, v63, v61, v60
	v_pk_fma_f16 v56, v63, v57, v56
	v_mul_u32_u24_sdwa v57, v58, s44 dst_sel:DWORD dst_unused:UNUSED_PAD src0_sel:WORD_0 src1_sel:DWORD
	v_mul_u32_u24_sdwa v58, v58, s44 dst_sel:DWORD dst_unused:UNUSED_PAD src0_sel:WORD_1 src1_sel:DWORD
	s_waitcnt lgkmcnt(0)
	v_pk_fma_f16 v61, v26, v57, v76
	v_pk_fma_f16 v26, v26, v58, v62
	;; [unrolled: 1-line block ×4, first 2 shown]
	v_mul_u32_u24_sdwa v62, v59, s44 dst_sel:DWORD dst_unused:UNUSED_PAD src0_sel:WORD_0 src1_sel:DWORD
	v_mul_u32_u24_sdwa v63, v59, s44 dst_sel:DWORD dst_unused:UNUSED_PAD src0_sel:WORD_1 src1_sel:DWORD
	ds_read2_b64 v[56:59], v47 offset0:128 offset1:160
	v_pk_fma_f16 v61, v28, v62, v61
	v_pk_fma_f16 v26, v28, v63, v26
	;; [unrolled: 1-line block ×4, first 2 shown]
	v_mul_u32_u24_sdwa v29, v64, s44 dst_sel:DWORD dst_unused:UNUSED_PAD src0_sel:WORD_0 src1_sel:DWORD
	v_mul_u32_u24_sdwa v60, v64, s44 dst_sel:DWORD dst_unused:UNUSED_PAD src0_sel:WORD_1 src1_sel:DWORD
	s_waitcnt lgkmcnt(0)
	v_pk_fma_f16 v61, v56, v29, v61
	v_pk_fma_f16 v26, v56, v60, v26
	;; [unrolled: 1-line block ×4, first 2 shown]
	v_mul_u32_u24_sdwa v60, v65, s44 dst_sel:DWORD dst_unused:UNUSED_PAD src0_sel:WORD_0 src1_sel:DWORD
	v_mul_u32_u24_sdwa v62, v65, s44 dst_sel:DWORD dst_unused:UNUSED_PAD src0_sel:WORD_1 src1_sel:DWORD
	v_pk_fma_f16 v61, v58, v60, v61
	v_pk_fma_f16 v58, v58, v62, v26
	ds_read2_b64 v[26:29], v47 offset0:192 offset1:224
	v_pk_fma_f16 v56, v59, v60, v56
	v_pk_fma_f16 v57, v59, v62, v57
	v_mul_u32_u24_sdwa v59, v66, s44 dst_sel:DWORD dst_unused:UNUSED_PAD src0_sel:WORD_0 src1_sel:DWORD
	v_mul_u32_u24_sdwa v60, v66, s44 dst_sel:DWORD dst_unused:UNUSED_PAD src0_sel:WORD_1 src1_sel:DWORD
	v_add_u32_e32 v64, 0x800, v47
	s_waitcnt lgkmcnt(0)
	v_pk_fma_f16 v61, v26, v59, v61
	v_pk_fma_f16 v26, v26, v60, v58
	v_pk_fma_f16 v62, v27, v59, v56
	v_pk_fma_f16 v27, v27, v60, v57
	ds_read2_b64 v[56:59], v64 offset1:32
	v_mul_u32_u24_sdwa v60, v67, s44 dst_sel:DWORD dst_unused:UNUSED_PAD src0_sel:WORD_0 src1_sel:DWORD
	v_mul_u32_u24_sdwa v63, v67, s44 dst_sel:DWORD dst_unused:UNUSED_PAD src0_sel:WORD_1 src1_sel:DWORD
	v_pk_fma_f16 v61, v28, v60, v61
	v_pk_fma_f16 v26, v28, v63, v26
	;; [unrolled: 1-line block ×4, first 2 shown]
	v_mul_u32_u24_sdwa v29, v68, s44 dst_sel:DWORD dst_unused:UNUSED_PAD src0_sel:WORD_0 src1_sel:DWORD
	v_mul_u32_u24_sdwa v60, v68, s44 dst_sel:DWORD dst_unused:UNUSED_PAD src0_sel:WORD_1 src1_sel:DWORD
	s_waitcnt lgkmcnt(0)
	v_pk_fma_f16 v61, v56, v29, v61
	v_pk_fma_f16 v26, v56, v60, v26
	;; [unrolled: 1-line block ×4, first 2 shown]
	v_mul_u32_u24_sdwa v60, v69, s44 dst_sel:DWORD dst_unused:UNUSED_PAD src0_sel:WORD_0 src1_sel:DWORD
	v_mul_u32_u24_sdwa v62, v69, s44 dst_sel:DWORD dst_unused:UNUSED_PAD src0_sel:WORD_1 src1_sel:DWORD
	v_pk_fma_f16 v61, v58, v60, v61
	v_pk_fma_f16 v58, v58, v62, v26
	ds_read2_b64 v[26:29], v64 offset0:64 offset1:96
	v_pk_fma_f16 v56, v59, v60, v56
	v_pk_fma_f16 v57, v59, v62, v57
	v_mul_u32_u24_sdwa v59, v70, s44 dst_sel:DWORD dst_unused:UNUSED_PAD src0_sel:WORD_0 src1_sel:DWORD
	v_mul_u32_u24_sdwa v60, v70, s44 dst_sel:DWORD dst_unused:UNUSED_PAD src0_sel:WORD_1 src1_sel:DWORD
	s_waitcnt lgkmcnt(0)
	v_pk_fma_f16 v61, v26, v59, v61
	v_pk_fma_f16 v26, v26, v60, v58
	;; [unrolled: 1-line block ×4, first 2 shown]
	ds_read2_b64 v[56:59], v64 offset0:128 offset1:160
	v_mul_u32_u24_sdwa v60, v71, s44 dst_sel:DWORD dst_unused:UNUSED_PAD src0_sel:WORD_0 src1_sel:DWORD
	v_mul_u32_u24_sdwa v63, v71, s44 dst_sel:DWORD dst_unused:UNUSED_PAD src0_sel:WORD_1 src1_sel:DWORD
	v_pk_fma_f16 v61, v28, v60, v61
	v_pk_fma_f16 v26, v28, v63, v26
	;; [unrolled: 1-line block ×4, first 2 shown]
	v_mul_u32_u24_sdwa v29, v72, s44 dst_sel:DWORD dst_unused:UNUSED_PAD src0_sel:WORD_0 src1_sel:DWORD
	v_mul_u32_u24_sdwa v60, v72, s44 dst_sel:DWORD dst_unused:UNUSED_PAD src0_sel:WORD_1 src1_sel:DWORD
	s_waitcnt lgkmcnt(0)
	v_pk_fma_f16 v61, v56, v29, v61
	v_pk_fma_f16 v26, v56, v60, v26
	;; [unrolled: 1-line block ×4, first 2 shown]
	v_mul_u32_u24_sdwa v60, v73, s44 dst_sel:DWORD dst_unused:UNUSED_PAD src0_sel:WORD_0 src1_sel:DWORD
	v_mul_u32_u24_sdwa v62, v73, s44 dst_sel:DWORD dst_unused:UNUSED_PAD src0_sel:WORD_1 src1_sel:DWORD
	v_pk_fma_f16 v61, v58, v60, v61
	v_pk_fma_f16 v58, v58, v62, v26
	ds_read2_b64 v[26:29], v64 offset0:192 offset1:224
	v_pk_fma_f16 v56, v59, v60, v56
	v_pk_fma_f16 v57, v59, v62, v57
	v_mul_u32_u24_sdwa v59, v74, s44 dst_sel:DWORD dst_unused:UNUSED_PAD src0_sel:WORD_0 src1_sel:DWORD
	v_mul_u32_u24_sdwa v60, v74, s44 dst_sel:DWORD dst_unused:UNUSED_PAD src0_sel:WORD_1 src1_sel:DWORD
	s_waitcnt lgkmcnt(0)
	v_pk_fma_f16 v61, v26, v59, v61
	v_pk_fma_f16 v56, v27, v59, v56
	;; [unrolled: 1-line block ×3, first 2 shown]
	v_mul_u32_u24_sdwa v57, v75, s44 dst_sel:DWORD dst_unused:UNUSED_PAD src0_sel:WORD_0 src1_sel:DWORD
	v_pk_fma_f16 v26, v26, v60, v58
	v_pk_fma_f16 v65, v28, v57, v61
	;; [unrolled: 1-line block ×3, first 2 shown]
	ds_read_b128 v[56:59], v48 offset:64
	v_add_u32_e32 v68, 0x1000, v47
	ds_read2_b64 v[60:63], v68 offset1:32
	v_mul_u32_u24_sdwa v64, v75, s44 dst_sel:DWORD dst_unused:UNUSED_PAD src0_sel:WORD_1 src1_sel:DWORD
	v_pk_fma_f16 v66, v28, v64, v26
	v_pk_fma_f16 v64, v29, v64, v27
	ds_read_b128 v[26:29], v48 offset:80
	s_waitcnt lgkmcnt(2)
	v_mul_u32_u24_sdwa v69, v56, s44 dst_sel:DWORD dst_unused:UNUSED_PAD src0_sel:WORD_0 src1_sel:DWORD
	v_mul_u32_u24_sdwa v56, v56, s44 dst_sel:DWORD dst_unused:UNUSED_PAD src0_sel:WORD_1 src1_sel:DWORD
	s_waitcnt lgkmcnt(1)
	v_pk_fma_f16 v65, v60, v69, v65
	v_pk_fma_f16 v60, v60, v56, v66
	v_pk_fma_f16 v69, v61, v69, v67
	v_pk_fma_f16 v56, v61, v56, v64
	v_mul_u32_u24_sdwa v61, v57, s44 dst_sel:DWORD dst_unused:UNUSED_PAD src0_sel:WORD_0 src1_sel:DWORD
	v_pk_fma_f16 v70, v62, v61, v65
	ds_read2_b64 v[64:67], v68 offset0:64 offset1:96
	v_mul_u32_u24_sdwa v57, v57, s44 dst_sel:DWORD dst_unused:UNUSED_PAD src0_sel:WORD_1 src1_sel:DWORD
	v_pk_fma_f16 v60, v62, v57, v60
	v_pk_fma_f16 v61, v63, v61, v69
	;; [unrolled: 1-line block ×3, first 2 shown]
	v_mul_u32_u24_sdwa v57, v58, s44 dst_sel:DWORD dst_unused:UNUSED_PAD src0_sel:WORD_0 src1_sel:DWORD
	v_mul_u32_u24_sdwa v58, v58, s44 dst_sel:DWORD dst_unused:UNUSED_PAD src0_sel:WORD_1 src1_sel:DWORD
	s_waitcnt lgkmcnt(0)
	v_pk_fma_f16 v62, v64, v57, v70
	v_pk_fma_f16 v60, v64, v58, v60
	;; [unrolled: 1-line block ×4, first 2 shown]
	v_mul_u32_u24_sdwa v64, v59, s44 dst_sel:DWORD dst_unused:UNUSED_PAD src0_sel:WORD_0 src1_sel:DWORD
	v_mul_u32_u24_sdwa v65, v59, s44 dst_sel:DWORD dst_unused:UNUSED_PAD src0_sel:WORD_1 src1_sel:DWORD
	ds_read2_b64 v[56:59], v68 offset0:128 offset1:160
	v_pk_fma_f16 v62, v66, v64, v62
	v_pk_fma_f16 v60, v66, v65, v60
	;; [unrolled: 1-line block ×4, first 2 shown]
	v_mul_u32_u24_sdwa v64, v26, s44 dst_sel:DWORD dst_unused:UNUSED_PAD src0_sel:WORD_0 src1_sel:DWORD
	v_mul_u32_u24_sdwa v26, v26, s44 dst_sel:DWORD dst_unused:UNUSED_PAD src0_sel:WORD_1 src1_sel:DWORD
	s_waitcnt lgkmcnt(0)
	v_pk_fma_f16 v62, v56, v64, v62
	v_pk_fma_f16 v56, v56, v26, v60
	v_pk_fma_f16 v64, v57, v64, v61
	v_pk_fma_f16 v26, v57, v26, v63
	v_mul_u32_u24_sdwa v57, v27, s44 dst_sel:DWORD dst_unused:UNUSED_PAD src0_sel:WORD_0 src1_sel:DWORD
	v_pk_fma_f16 v65, v58, v57, v62
	ds_read2_b64 v[60:63], v68 offset0:192 offset1:224
	v_mul_u32_u24_sdwa v27, v27, s44 dst_sel:DWORD dst_unused:UNUSED_PAD src0_sel:WORD_1 src1_sel:DWORD
	v_pk_fma_f16 v56, v58, v27, v56
	v_pk_fma_f16 v57, v59, v57, v64
	;; [unrolled: 1-line block ×3, first 2 shown]
	v_mul_u32_u24_sdwa v27, v28, s44 dst_sel:DWORD dst_unused:UNUSED_PAD src0_sel:WORD_0 src1_sel:DWORD
	v_mul_u32_u24_sdwa v28, v28, s44 dst_sel:DWORD dst_unused:UNUSED_PAD src0_sel:WORD_1 src1_sel:DWORD
	s_waitcnt lgkmcnt(0)
	v_pk_fma_f16 v58, v60, v27, v65
	v_pk_fma_f16 v56, v60, v28, v56
	;; [unrolled: 1-line block ×4, first 2 shown]
	v_mul_u32_u24_sdwa v26, v29, s44 dst_sel:DWORD dst_unused:UNUSED_PAD src0_sel:WORD_0 src1_sel:DWORD
	v_mul_u32_u24_sdwa v61, v29, s44 dst_sel:DWORD dst_unused:UNUSED_PAD src0_sel:WORD_1 src1_sel:DWORD
	v_pk_fma_f16 v64, v62, v26, v58
	v_pk_fma_f16 v66, v63, v26, v27
	ds_read_b128 v[26:29], v48 offset:96
	v_add_u32_e32 v68, 0x1800, v47
	v_pk_fma_f16 v65, v62, v61, v56
	ds_read2_b64 v[56:59], v68 offset1:32
	v_pk_fma_f16 v67, v63, v61, v60
	ds_read_b128 v[60:63], v48 offset:112
	s_waitcnt lgkmcnt(2)
	v_mul_u32_u24_sdwa v69, v26, s44 dst_sel:DWORD dst_unused:UNUSED_PAD src0_sel:WORD_0 src1_sel:DWORD
	v_mul_u32_u24_sdwa v26, v26, s44 dst_sel:DWORD dst_unused:UNUSED_PAD src0_sel:WORD_1 src1_sel:DWORD
	s_waitcnt lgkmcnt(1)
	v_pk_fma_f16 v64, v56, v69, v64
	v_pk_fma_f16 v56, v56, v26, v65
	v_pk_fma_f16 v69, v57, v69, v66
	v_pk_fma_f16 v26, v57, v26, v67
	v_mul_u32_u24_sdwa v57, v27, s44 dst_sel:DWORD dst_unused:UNUSED_PAD src0_sel:WORD_0 src1_sel:DWORD
	v_pk_fma_f16 v70, v58, v57, v64
	ds_read2_b64 v[64:67], v68 offset0:64 offset1:96
	v_mul_u32_u24_sdwa v27, v27, s44 dst_sel:DWORD dst_unused:UNUSED_PAD src0_sel:WORD_1 src1_sel:DWORD
	v_pk_fma_f16 v56, v58, v27, v56
	v_pk_fma_f16 v57, v59, v57, v69
	v_pk_fma_f16 v26, v59, v27, v26
	v_mul_u32_u24_sdwa v27, v28, s44 dst_sel:DWORD dst_unused:UNUSED_PAD src0_sel:WORD_0 src1_sel:DWORD
	v_mul_u32_u24_sdwa v28, v28, s44 dst_sel:DWORD dst_unused:UNUSED_PAD src0_sel:WORD_1 src1_sel:DWORD
	s_waitcnt lgkmcnt(0)
	v_pk_fma_f16 v58, v64, v27, v70
	v_pk_fma_f16 v56, v64, v28, v56
	v_pk_fma_f16 v57, v65, v27, v57
	v_pk_fma_f16 v59, v65, v28, v26
	v_mul_u32_u24_sdwa v64, v29, s44 dst_sel:DWORD dst_unused:UNUSED_PAD src0_sel:WORD_0 src1_sel:DWORD
	v_mul_u32_u24_sdwa v65, v29, s44 dst_sel:DWORD dst_unused:UNUSED_PAD src0_sel:WORD_1 src1_sel:DWORD
	ds_read2_b64 v[26:29], v68 offset0:128 offset1:160
	v_pk_fma_f16 v58, v66, v64, v58
	v_pk_fma_f16 v56, v66, v65, v56
	v_pk_fma_f16 v57, v67, v64, v57
	v_pk_fma_f16 v59, v67, v65, v59
	v_mul_u32_u24_sdwa v64, v60, s44 dst_sel:DWORD dst_unused:UNUSED_PAD src0_sel:WORD_0 src1_sel:DWORD
	v_mul_u32_u24_sdwa v60, v60, s44 dst_sel:DWORD dst_unused:UNUSED_PAD src0_sel:WORD_1 src1_sel:DWORD
	s_waitcnt lgkmcnt(0)
	v_pk_fma_f16 v58, v26, v64, v58
	v_pk_fma_f16 v26, v26, v60, v56
	v_pk_fma_f16 v64, v27, v64, v57
	v_pk_fma_f16 v27, v27, v60, v59
	v_mul_u32_u24_sdwa v60, v61, s44 dst_sel:DWORD dst_unused:UNUSED_PAD src0_sel:WORD_0 src1_sel:DWORD
	v_pk_fma_f16 v65, v28, v60, v58
	ds_read2_b64 v[56:59], v68 offset0:192 offset1:224
	v_mul_u32_u24_sdwa v61, v61, s44 dst_sel:DWORD dst_unused:UNUSED_PAD src0_sel:WORD_1 src1_sel:DWORD
	v_pk_fma_f16 v26, v28, v61, v26
	v_pk_fma_f16 v28, v29, v60, v64
	v_pk_fma_f16 v27, v29, v61, v27
	v_mul_u32_u24_sdwa v29, v62, s44 dst_sel:DWORD dst_unused:UNUSED_PAD src0_sel:WORD_0 src1_sel:DWORD
	v_mul_u32_u24_sdwa v60, v62, s44 dst_sel:DWORD dst_unused:UNUSED_PAD src0_sel:WORD_1 src1_sel:DWORD
	s_waitcnt lgkmcnt(0)
	v_pk_fma_f16 v61, v56, v29, v65
	v_pk_fma_f16 v26, v56, v60, v26
	v_pk_fma_f16 v28, v57, v29, v28
	v_pk_fma_f16 v56, v57, v60, v27
	v_mul_u32_u24_sdwa v27, v63, s44 dst_sel:DWORD dst_unused:UNUSED_PAD src0_sel:WORD_0 src1_sel:DWORD
	v_mul_u32_u24_sdwa v57, v63, s44 dst_sel:DWORD dst_unused:UNUSED_PAD src0_sel:WORD_1 src1_sel:DWORD
	v_pk_fma_f16 v64, v58, v27, v61
	v_pk_fma_f16 v65, v58, v57, v26
	v_pk_fma_f16 v66, v59, v27, v28
	ds_read_b128 v[26:29], v48 offset:128
	v_add_u32_e32 v68, 0x2000, v47
	ds_read2_b64 v[60:63], v68 offset1:32
	v_pk_fma_f16 v67, v59, v57, v56
	ds_read_b128 v[56:59], v48 offset:144
	s_waitcnt lgkmcnt(2)
	v_mul_u32_u24_sdwa v69, v26, s44 dst_sel:DWORD dst_unused:UNUSED_PAD src0_sel:WORD_0 src1_sel:DWORD
	v_mul_u32_u24_sdwa v26, v26, s44 dst_sel:DWORD dst_unused:UNUSED_PAD src0_sel:WORD_1 src1_sel:DWORD
	s_waitcnt lgkmcnt(1)
	v_pk_fma_f16 v64, v60, v69, v64
	v_pk_fma_f16 v60, v60, v26, v65
	v_pk_fma_f16 v69, v61, v69, v66
	v_pk_fma_f16 v26, v61, v26, v67
	v_mul_u32_u24_sdwa v61, v27, s44 dst_sel:DWORD dst_unused:UNUSED_PAD src0_sel:WORD_0 src1_sel:DWORD
	v_pk_fma_f16 v70, v62, v61, v64
	ds_read2_b64 v[64:67], v68 offset0:64 offset1:96
	v_mul_u32_u24_sdwa v27, v27, s44 dst_sel:DWORD dst_unused:UNUSED_PAD src0_sel:WORD_1 src1_sel:DWORD
	v_pk_fma_f16 v60, v62, v27, v60
	v_pk_fma_f16 v61, v63, v61, v69
	v_pk_fma_f16 v26, v63, v27, v26
	v_mul_u32_u24_sdwa v27, v28, s44 dst_sel:DWORD dst_unused:UNUSED_PAD src0_sel:WORD_0 src1_sel:DWORD
	v_mul_u32_u24_sdwa v28, v28, s44 dst_sel:DWORD dst_unused:UNUSED_PAD src0_sel:WORD_1 src1_sel:DWORD
	s_waitcnt lgkmcnt(0)
	v_pk_fma_f16 v62, v64, v27, v70
	v_pk_fma_f16 v60, v64, v28, v60
	v_pk_fma_f16 v61, v65, v27, v61
	v_pk_fma_f16 v63, v65, v28, v26
	v_mul_u32_u24_sdwa v64, v29, s44 dst_sel:DWORD dst_unused:UNUSED_PAD src0_sel:WORD_0 src1_sel:DWORD
	v_mul_u32_u24_sdwa v65, v29, s44 dst_sel:DWORD dst_unused:UNUSED_PAD src0_sel:WORD_1 src1_sel:DWORD
	ds_read2_b64 v[26:29], v68 offset0:128 offset1:160
	v_pk_fma_f16 v62, v66, v64, v62
	v_pk_fma_f16 v60, v66, v65, v60
	v_pk_fma_f16 v61, v67, v64, v61
	v_pk_fma_f16 v63, v67, v65, v63
	v_mul_u32_u24_sdwa v64, v56, s44 dst_sel:DWORD dst_unused:UNUSED_PAD src0_sel:WORD_0 src1_sel:DWORD
	v_mul_u32_u24_sdwa v56, v56, s44 dst_sel:DWORD dst_unused:UNUSED_PAD src0_sel:WORD_1 src1_sel:DWORD
	s_waitcnt lgkmcnt(0)
	v_pk_fma_f16 v62, v26, v64, v62
	v_pk_fma_f16 v26, v26, v56, v60
	v_pk_fma_f16 v64, v27, v64, v61
	v_pk_fma_f16 v27, v27, v56, v63
	v_mul_u32_u24_sdwa v56, v57, s44 dst_sel:DWORD dst_unused:UNUSED_PAD src0_sel:WORD_0 src1_sel:DWORD
	v_pk_fma_f16 v65, v28, v56, v62
	ds_read2_b64 v[60:63], v68 offset0:192 offset1:224
	v_mul_u32_u24_sdwa v57, v57, s44 dst_sel:DWORD dst_unused:UNUSED_PAD src0_sel:WORD_1 src1_sel:DWORD
	v_pk_fma_f16 v26, v28, v57, v26
	v_pk_fma_f16 v28, v29, v56, v64
	v_pk_fma_f16 v27, v29, v57, v27
	v_mul_u32_u24_sdwa v29, v58, s44 dst_sel:DWORD dst_unused:UNUSED_PAD src0_sel:WORD_0 src1_sel:DWORD
	v_mul_u32_u24_sdwa v56, v58, s44 dst_sel:DWORD dst_unused:UNUSED_PAD src0_sel:WORD_1 src1_sel:DWORD
	s_waitcnt lgkmcnt(0)
	v_pk_fma_f16 v57, v60, v29, v65
	v_pk_fma_f16 v26, v60, v56, v26
	v_pk_fma_f16 v28, v61, v29, v28
	v_pk_fma_f16 v60, v61, v56, v27
	v_mul_u32_u24_sdwa v27, v59, s44 dst_sel:DWORD dst_unused:UNUSED_PAD src0_sel:WORD_0 src1_sel:DWORD
	v_mul_u32_u24_sdwa v61, v59, s44 dst_sel:DWORD dst_unused:UNUSED_PAD src0_sel:WORD_1 src1_sel:DWORD
	v_pk_fma_f16 v64, v62, v27, v57
	v_pk_fma_f16 v65, v62, v61, v26
	v_pk_fma_f16 v66, v63, v27, v28
	ds_read_b128 v[26:29], v48 offset:160
	v_add_u32_e32 v68, 0x2800, v47
	;; [unrolled: 60-line block ×4, first 2 shown]
	ds_read2_b64 v[56:59], v68 offset1:32
	v_pk_fma_f16 v67, v63, v61, v60
	ds_read_b128 v[60:63], v48 offset:240
	s_waitcnt lgkmcnt(2)
	v_mul_u32_u24_sdwa v69, v26, s44 dst_sel:DWORD dst_unused:UNUSED_PAD src0_sel:WORD_0 src1_sel:DWORD
	v_mul_u32_u24_sdwa v26, v26, s44 dst_sel:DWORD dst_unused:UNUSED_PAD src0_sel:WORD_1 src1_sel:DWORD
	s_waitcnt lgkmcnt(1)
	v_pk_fma_f16 v64, v56, v69, v64
	v_pk_fma_f16 v56, v56, v26, v65
	;; [unrolled: 1-line block ×4, first 2 shown]
	v_mul_u32_u24_sdwa v57, v27, s44 dst_sel:DWORD dst_unused:UNUSED_PAD src0_sel:WORD_0 src1_sel:DWORD
	v_pk_fma_f16 v70, v58, v57, v64
	ds_read2_b64 v[64:67], v68 offset0:64 offset1:96
	v_mul_u32_u24_sdwa v27, v27, s44 dst_sel:DWORD dst_unused:UNUSED_PAD src0_sel:WORD_1 src1_sel:DWORD
	v_pk_fma_f16 v56, v58, v27, v56
	v_pk_fma_f16 v57, v59, v57, v69
	;; [unrolled: 1-line block ×3, first 2 shown]
	v_mul_u32_u24_sdwa v27, v28, s44 dst_sel:DWORD dst_unused:UNUSED_PAD src0_sel:WORD_0 src1_sel:DWORD
	v_mul_u32_u24_sdwa v28, v28, s44 dst_sel:DWORD dst_unused:UNUSED_PAD src0_sel:WORD_1 src1_sel:DWORD
	s_waitcnt lgkmcnt(0)
	v_pk_fma_f16 v58, v64, v27, v70
	v_pk_fma_f16 v56, v64, v28, v56
	;; [unrolled: 1-line block ×4, first 2 shown]
	v_mul_u32_u24_sdwa v64, v29, s44 dst_sel:DWORD dst_unused:UNUSED_PAD src0_sel:WORD_0 src1_sel:DWORD
	v_mul_u32_u24_sdwa v65, v29, s44 dst_sel:DWORD dst_unused:UNUSED_PAD src0_sel:WORD_1 src1_sel:DWORD
	ds_read2_b64 v[26:29], v68 offset0:128 offset1:160
	v_pk_fma_f16 v58, v66, v64, v58
	v_pk_fma_f16 v56, v66, v65, v56
	;; [unrolled: 1-line block ×4, first 2 shown]
	v_mul_u32_u24_sdwa v64, v60, s44 dst_sel:DWORD dst_unused:UNUSED_PAD src0_sel:WORD_0 src1_sel:DWORD
	v_mul_u32_u24_sdwa v60, v60, s44 dst_sel:DWORD dst_unused:UNUSED_PAD src0_sel:WORD_1 src1_sel:DWORD
	s_waitcnt lgkmcnt(0)
	v_pk_fma_f16 v58, v26, v64, v58
	v_pk_fma_f16 v26, v26, v60, v56
	;; [unrolled: 1-line block ×4, first 2 shown]
	v_mul_u32_u24_sdwa v60, v61, s44 dst_sel:DWORD dst_unused:UNUSED_PAD src0_sel:WORD_0 src1_sel:DWORD
	v_pk_fma_f16 v65, v28, v60, v58
	ds_read2_b64 v[56:59], v68 offset0:192 offset1:224
	s_waitcnt lgkmcnt(0)
	s_barrier
	s_load_dword s4, s[8:9], 0x4
	v_mul_u32_u24_sdwa v61, v61, s44 dst_sel:DWORD dst_unused:UNUSED_PAD src0_sel:WORD_1 src1_sel:DWORD
	v_pk_fma_f16 v26, v28, v61, v26
	v_pk_fma_f16 v28, v29, v60, v64
	;; [unrolled: 1-line block ×3, first 2 shown]
	v_mul_u32_u24_sdwa v29, v62, s44 dst_sel:DWORD dst_unused:UNUSED_PAD src0_sel:WORD_0 src1_sel:DWORD
	v_mul_u32_u24_sdwa v60, v62, s44 dst_sel:DWORD dst_unused:UNUSED_PAD src0_sel:WORD_1 src1_sel:DWORD
	s_waitcnt lgkmcnt(0)
	s_lshl_b32 s4, s4, 6
	v_pk_fma_f16 v61, v56, v29, v65
	v_pk_fma_f16 v26, v56, v60, v26
	;; [unrolled: 1-line block ×4, first 2 shown]
	v_mul_u32_u24_sdwa v27, v63, s44 dst_sel:DWORD dst_unused:UNUSED_PAD src0_sel:WORD_0 src1_sel:DWORD
	v_mul_u32_u24_sdwa v60, v63, s44 dst_sel:DWORD dst_unused:UNUSED_PAD src0_sel:WORD_1 src1_sel:DWORD
	s_add_i32 s41, s4, s41
	v_pk_fma_f16 v29, v58, v27, v61
	v_pk_fma_f16 v28, v58, v60, v26
	;; [unrolled: 1-line block ×3, first 2 shown]
	s_cmp_lt_i32 s41, s15
	v_pk_fma_f16 v26, v59, v60, v57
	s_cbranch_scc0 .LBB88_37
; %bb.33:                               ;   in Loop: Header=BB88_8 Depth=1
	v_mov_b32_e32 v57, v6
	v_mov_b32_e32 v56, v7
	s_branch .LBB88_8
.LBB88_34:                              ;   in Loop: Header=BB88_8 Depth=1
	v_mov_b32_e32 v62, 0
	v_cmp_nlt_f32_e64 s[10:11], |v61|, s16
                                        ; implicit-def: $vgpr66
	s_and_saveexec_b64 s[46:47], s[10:11]
	s_xor_b64 s[10:11], exec, s[46:47]
	s_cbranch_execz .LBB88_15
	s_branch .LBB88_14
.LBB88_35:                              ;   in Loop: Header=BB88_8 Depth=1
	v_mov_b32_e32 v60, 0
	v_cmp_nlt_f32_e64 s[10:11], |v59|, s16
                                        ; implicit-def: $vgpr65
	s_and_saveexec_b64 s[46:47], s[10:11]
	s_xor_b64 s[10:11], exec, s[46:47]
	s_cbranch_execz .LBB88_27
	s_branch .LBB88_26
.LBB88_36:
	v_mov_b32_e32 v6, 0xfeffffff
	v_mov_b32_e32 v7, v6
	;; [unrolled: 1-line block ×7, first 2 shown]
.LBB88_37:
	s_cmp_gt_i32 s38, s41
	s_cbranch_scc1 .LBB88_39
; %bb.38:
	v_mbcnt_hi_u32_b32 v48, -1, v31
	v_and_b32_e32 v2, 0x60, v48
	v_add_u32_e32 v49, 32, v2
	v_xor_b32_e32 v50, 16, v48
	v_xor_b32_e32 v51, 8, v48
	;; [unrolled: 1-line block ×5, first 2 shown]
	s_cbranch_execz .LBB88_40
	s_branch .LBB88_77
.LBB88_39:
                                        ; implicit-def: $vgpr48
                                        ; implicit-def: $vgpr49
                                        ; implicit-def: $vgpr50
                                        ; implicit-def: $vgpr51
                                        ; implicit-def: $vgpr52
                                        ; implicit-def: $vgpr53
                                        ; implicit-def: $vgpr54
.LBB88_40:
	s_mul_hi_i32 s5, s41, s12
	s_mul_i32 s4, s41, s12
	s_sub_i32 s38, s38, s41
	s_lshl_b64 s[4:5], s[4:5], 2
	v_add_u32_e32 v14, v1, v44
	s_mov_b64 s[6:7], src_private_base
	s_add_u32 s8, s13, s4
	v_mul_lo_u32 v10, s12, v14
	s_mov_b32 s4, 0
	s_addc_u32 s9, s14, s5
	v_ashrrev_i32_e32 v11, 31, v10
	s_mov_b32 s6, s4
	v_mov_b32_e32 v9, 0
	v_lshlrev_b32_e32 v8, 2, v0
	s_mov_b32 s5, s4
	v_mov_b32_e32 v40, s6
	v_lshl_add_u64 v[0:1], v[10:11], 2, s[8:9]
	v_mov_b32_e32 v39, s5
	v_mov_b32_e32 v38, s4
	v_lshl_add_u64 v[0:1], v[0:1], 0, v[8:9]
	v_mov_b32_e32 v18, s7
	v_cmp_gt_i32_e64 s[16:17], s38, v14
	v_mov_b32_e32 v19, 0
	scratch_store_dword off, v9, off
	scratch_store_dwordx3 off, v[38:40], off offset:4
	v_cndmask_b32_e64 v1, v18, v1, s[16:17]
	v_cndmask_b32_e64 v0, v19, v0, s[16:17]
	flat_load_dwordx4 v[0:3], v[0:1]
	s_lshl_b32 s10, s12, 4
	v_add_u32_e32 v10, s10, v10
	v_ashrrev_i32_e32 v11, 31, v10
	s_movk_i32 s4, 0x110
	v_add_u32_e32 v15, 16, v14
	v_lshl_add_u64 v[12:13], v[10:11], 2, s[8:9]
	v_mad_u32_u24 v20, v14, s4, v8
	v_lshl_add_u64 v[12:13], v[12:13], 0, v[8:9]
	v_cmp_gt_i32_e64 s[6:7], s38, v15
	scratch_store_dword off, v9, off
	scratch_store_dwordx3 off, v[38:40], off offset:4
	v_cndmask_b32_e64 v13, v18, v13, s[6:7]
	v_cndmask_b32_e64 v12, v19, v12, s[6:7]
	v_add_u32_e32 v10, s10, v10
	v_ashrrev_i32_e32 v11, 31, v10
	v_add_u32_e32 v17, 32, v14
	v_cmp_gt_i32_e64 s[4:5], s38, v17
	v_add_u32_e32 v16, 48, v14
	s_waitcnt vmcnt(0) lgkmcnt(0)
	ds_write_b128 v20, v[0:3]
	flat_load_dwordx4 v[0:3], v[12:13]
	v_lshl_add_u64 v[12:13], v[10:11], 2, s[8:9]
	v_lshl_add_u64 v[12:13], v[12:13], 0, v[8:9]
	v_cndmask_b32_e64 v13, v18, v13, s[4:5]
	v_cndmask_b32_e64 v12, v19, v12, s[4:5]
	scratch_store_dword off, v9, off
	scratch_store_dwordx3 off, v[38:40], off offset:4
	v_add_u32_e32 v10, s10, v10
	v_ashrrev_i32_e32 v11, 31, v10
	v_lshl_add_u64 v[10:11], v[10:11], 2, s[8:9]
	v_lshl_add_u64 v[10:11], v[10:11], 0, v[8:9]
	v_cmp_gt_i32_e64 s[8:9], s38, v16
	s_mov_b32 s10, 0x3f200000
	s_waitcnt vmcnt(0) lgkmcnt(0)
	ds_write_b128 v20, v[0:3] offset:4352
	flat_load_dwordx4 v[0:3], v[12:13]
	v_cndmask_b32_e64 v11, v18, v11, s[8:9]
	v_cndmask_b32_e64 v10, v19, v10, s[8:9]
	scratch_store_dword off, v9, off
	scratch_store_dwordx3 off, v[38:40], off offset:4
	s_waitcnt vmcnt(0) lgkmcnt(0)
	ds_write_b128 v20, v[0:3] offset:8704
	flat_load_dwordx4 v[10:13], v[10:11]
	v_mul_u32_u24_e32 v3, 0x110, v36
	v_mov_b32_e32 v0, v9
	v_mov_b32_e32 v1, v9
	;; [unrolled: 1-line block ×3, first 2 shown]
	s_waitcnt vmcnt(0) lgkmcnt(0)
	ds_write_b128 v20, v[10:13] offset:13056
	s_waitcnt lgkmcnt(0)
	s_barrier
	ds_read_b128 v[10:13], v3
	ds_read_b128 v[18:21], v32 offset:17408
	ds_read_b128 v[38:41], v3 offset:8704
	;; [unrolled: 1-line block ×3, first 2 shown]
	s_waitcnt lgkmcnt(2)
	;;#ASMSTART
	v_dot2_f32_f16 v0, v10, v18, v0
	;;#ASMEND
	s_nop 0
	;;#ASMSTART
	v_dot2_f32_f16 v0, v11, v19, v0
	;;#ASMEND
	s_nop 0
	;; [unrolled: 4-line block ×3, first 2 shown]
	;;#ASMSTART
	v_dot2_f32_f16 v0, v13, v21, v0
	;;#ASMEND
	s_waitcnt lgkmcnt(0)
	;;#ASMSTART
	v_dot2_f32_f16 v1, v10, v48, v1
	;;#ASMEND
	s_nop 0
	;;#ASMSTART
	v_dot2_f32_f16 v1, v11, v49, v1
	;;#ASMEND
	s_nop 0
	;;#ASMSTART
	v_dot2_f32_f16 v1, v12, v50, v1
	;;#ASMEND
	s_nop 0
	;;#ASMSTART
	v_dot2_f32_f16 v1, v13, v51, v1
	;;#ASMEND
	;;#ASMSTART
	v_dot2_f32_f16 v2, v38, v18, v2
	;;#ASMEND
	s_nop 0
	;;#ASMSTART
	v_dot2_f32_f16 v2, v39, v19, v2
	;;#ASMEND
	s_nop 0
	;;#ASMSTART
	v_dot2_f32_f16 v2, v40, v20, v2
	;;#ASMEND
	s_nop 0
	;;#ASMSTART
	v_dot2_f32_f16 v2, v41, v21, v2
	;;#ASMEND
	;; [unrolled: 15-line block ×3, first 2 shown]
	ds_read_b128 v[10:13], v32 offset:17424
	ds_read_b128 v[18:21], v3 offset:16
	ds_read_b128 v[38:41], v3 offset:8720
	ds_read_b128 v[48:51], v32 offset:17680
	s_waitcnt lgkmcnt(2)
	;;#ASMSTART
	v_dot2_f32_f16 v0, v18, v10, v0
	;;#ASMEND
	s_nop 0
	;;#ASMSTART
	v_dot2_f32_f16 v0, v19, v11, v0
	;;#ASMEND
	s_nop 0
	;; [unrolled: 4-line block ×3, first 2 shown]
	;;#ASMSTART
	v_dot2_f32_f16 v0, v21, v13, v0
	;;#ASMEND
	s_waitcnt lgkmcnt(0)
	;;#ASMSTART
	v_dot2_f32_f16 v1, v18, v48, v1
	;;#ASMEND
	s_nop 0
	;;#ASMSTART
	v_dot2_f32_f16 v1, v19, v49, v1
	;;#ASMEND
	s_nop 0
	;;#ASMSTART
	v_dot2_f32_f16 v1, v20, v50, v1
	;;#ASMEND
	s_nop 0
	;;#ASMSTART
	v_dot2_f32_f16 v1, v21, v51, v1
	;;#ASMEND
	;;#ASMSTART
	v_dot2_f32_f16 v2, v38, v10, v2
	;;#ASMEND
	s_nop 0
	;;#ASMSTART
	v_dot2_f32_f16 v2, v39, v11, v2
	;;#ASMEND
	s_nop 0
	;;#ASMSTART
	v_dot2_f32_f16 v2, v40, v12, v2
	;;#ASMEND
	s_nop 0
	;;#ASMSTART
	v_dot2_f32_f16 v2, v41, v13, v2
	;;#ASMEND
	;; [unrolled: 15-line block ×3, first 2 shown]
	ds_read_b128 v[10:13], v32 offset:17440
	ds_read_b128 v[18:21], v3 offset:32
	;; [unrolled: 1-line block ×4, first 2 shown]
	s_waitcnt lgkmcnt(2)
	;;#ASMSTART
	v_dot2_f32_f16 v0, v18, v10, v0
	;;#ASMEND
	s_nop 0
	;;#ASMSTART
	v_dot2_f32_f16 v0, v19, v11, v0
	;;#ASMEND
	s_nop 0
	;; [unrolled: 4-line block ×3, first 2 shown]
	;;#ASMSTART
	v_dot2_f32_f16 v0, v21, v13, v0
	;;#ASMEND
	s_waitcnt lgkmcnt(0)
	;;#ASMSTART
	v_dot2_f32_f16 v1, v18, v48, v1
	;;#ASMEND
	s_nop 0
	;;#ASMSTART
	v_dot2_f32_f16 v1, v19, v49, v1
	;;#ASMEND
	s_nop 0
	;;#ASMSTART
	v_dot2_f32_f16 v1, v20, v50, v1
	;;#ASMEND
	s_nop 0
	;;#ASMSTART
	v_dot2_f32_f16 v1, v21, v51, v1
	;;#ASMEND
	;;#ASMSTART
	v_dot2_f32_f16 v2, v38, v10, v2
	;;#ASMEND
	s_nop 0
	;;#ASMSTART
	v_dot2_f32_f16 v2, v39, v11, v2
	;;#ASMEND
	s_nop 0
	;;#ASMSTART
	v_dot2_f32_f16 v2, v40, v12, v2
	;;#ASMEND
	s_nop 0
	;;#ASMSTART
	v_dot2_f32_f16 v2, v41, v13, v2
	;;#ASMEND
	;; [unrolled: 15-line block ×3, first 2 shown]
	ds_read_b128 v[10:13], v32 offset:17456
	ds_read_b128 v[18:21], v3 offset:48
	;; [unrolled: 1-line block ×4, first 2 shown]
	s_waitcnt lgkmcnt(2)
	;;#ASMSTART
	v_dot2_f32_f16 v0, v18, v10, v0
	;;#ASMEND
	s_nop 0
	;;#ASMSTART
	v_dot2_f32_f16 v0, v19, v11, v0
	;;#ASMEND
	s_nop 0
	;;#ASMSTART
	v_dot2_f32_f16 v0, v20, v12, v0
	;;#ASMEND
	s_nop 0
	;;#ASMSTART
	v_dot2_f32_f16 v0, v21, v13, v0
	;;#ASMEND
	s_waitcnt lgkmcnt(0)
	;;#ASMSTART
	v_dot2_f32_f16 v1, v18, v48, v1
	;;#ASMEND
	s_nop 0
	;;#ASMSTART
	v_dot2_f32_f16 v1, v19, v49, v1
	;;#ASMEND
	s_nop 0
	;;#ASMSTART
	v_dot2_f32_f16 v1, v20, v50, v1
	;;#ASMEND
	s_nop 0
	;;#ASMSTART
	v_dot2_f32_f16 v1, v21, v51, v1
	;;#ASMEND
	;;#ASMSTART
	v_dot2_f32_f16 v2, v38, v10, v2
	;;#ASMEND
	s_nop 0
	;;#ASMSTART
	v_dot2_f32_f16 v2, v39, v11, v2
	;;#ASMEND
	s_nop 0
	;;#ASMSTART
	v_dot2_f32_f16 v2, v40, v12, v2
	;;#ASMEND
	s_nop 0
	;;#ASMSTART
	v_dot2_f32_f16 v2, v41, v13, v2
	;;#ASMEND
	;; [unrolled: 15-line block ×3, first 2 shown]
	ds_read_b128 v[10:13], v32 offset:17472
	ds_read_b128 v[18:21], v3 offset:64
	;; [unrolled: 1-line block ×4, first 2 shown]
	s_waitcnt lgkmcnt(2)
	;;#ASMSTART
	v_dot2_f32_f16 v0, v18, v10, v0
	;;#ASMEND
	s_nop 0
	;;#ASMSTART
	v_dot2_f32_f16 v0, v19, v11, v0
	;;#ASMEND
	s_nop 0
	;; [unrolled: 4-line block ×3, first 2 shown]
	;;#ASMSTART
	v_dot2_f32_f16 v0, v21, v13, v0
	;;#ASMEND
	s_waitcnt lgkmcnt(0)
	;;#ASMSTART
	v_dot2_f32_f16 v1, v18, v48, v1
	;;#ASMEND
	s_nop 0
	;;#ASMSTART
	v_dot2_f32_f16 v1, v19, v49, v1
	;;#ASMEND
	s_nop 0
	;;#ASMSTART
	v_dot2_f32_f16 v1, v20, v50, v1
	;;#ASMEND
	s_nop 0
	;;#ASMSTART
	v_dot2_f32_f16 v1, v21, v51, v1
	;;#ASMEND
	;;#ASMSTART
	v_dot2_f32_f16 v2, v38, v10, v2
	;;#ASMEND
	s_nop 0
	;;#ASMSTART
	v_dot2_f32_f16 v2, v39, v11, v2
	;;#ASMEND
	s_nop 0
	;;#ASMSTART
	v_dot2_f32_f16 v2, v40, v12, v2
	;;#ASMEND
	s_nop 0
	;;#ASMSTART
	v_dot2_f32_f16 v2, v41, v13, v2
	;;#ASMEND
	;; [unrolled: 15-line block ×3, first 2 shown]
	ds_read_b128 v[10:13], v32 offset:17488
	ds_read_b128 v[18:21], v3 offset:80
	;; [unrolled: 1-line block ×4, first 2 shown]
	s_waitcnt lgkmcnt(2)
	;;#ASMSTART
	v_dot2_f32_f16 v0, v18, v10, v0
	;;#ASMEND
	s_nop 0
	;;#ASMSTART
	v_dot2_f32_f16 v0, v19, v11, v0
	;;#ASMEND
	s_nop 0
	;; [unrolled: 4-line block ×3, first 2 shown]
	;;#ASMSTART
	v_dot2_f32_f16 v0, v21, v13, v0
	;;#ASMEND
	s_waitcnt lgkmcnt(0)
	;;#ASMSTART
	v_dot2_f32_f16 v1, v18, v48, v1
	;;#ASMEND
	s_nop 0
	;;#ASMSTART
	v_dot2_f32_f16 v1, v19, v49, v1
	;;#ASMEND
	s_nop 0
	;;#ASMSTART
	v_dot2_f32_f16 v1, v20, v50, v1
	;;#ASMEND
	s_nop 0
	;;#ASMSTART
	v_dot2_f32_f16 v1, v21, v51, v1
	;;#ASMEND
	;;#ASMSTART
	v_dot2_f32_f16 v2, v38, v10, v2
	;;#ASMEND
	s_nop 0
	;;#ASMSTART
	v_dot2_f32_f16 v2, v39, v11, v2
	;;#ASMEND
	s_nop 0
	;;#ASMSTART
	v_dot2_f32_f16 v2, v40, v12, v2
	;;#ASMEND
	s_nop 0
	;;#ASMSTART
	v_dot2_f32_f16 v2, v41, v13, v2
	;;#ASMEND
	;; [unrolled: 15-line block ×3, first 2 shown]
	ds_read_b128 v[10:13], v32 offset:17504
	ds_read_b128 v[18:21], v3 offset:96
	;; [unrolled: 1-line block ×4, first 2 shown]
	s_waitcnt lgkmcnt(2)
	;;#ASMSTART
	v_dot2_f32_f16 v0, v18, v10, v0
	;;#ASMEND
	s_nop 0
	;;#ASMSTART
	v_dot2_f32_f16 v0, v19, v11, v0
	;;#ASMEND
	s_nop 0
	;; [unrolled: 4-line block ×3, first 2 shown]
	;;#ASMSTART
	v_dot2_f32_f16 v0, v21, v13, v0
	;;#ASMEND
	s_waitcnt lgkmcnt(0)
	;;#ASMSTART
	v_dot2_f32_f16 v1, v18, v48, v1
	;;#ASMEND
	s_nop 0
	;;#ASMSTART
	v_dot2_f32_f16 v1, v19, v49, v1
	;;#ASMEND
	s_nop 0
	;;#ASMSTART
	v_dot2_f32_f16 v1, v20, v50, v1
	;;#ASMEND
	s_nop 0
	;;#ASMSTART
	v_dot2_f32_f16 v1, v21, v51, v1
	;;#ASMEND
	;;#ASMSTART
	v_dot2_f32_f16 v2, v38, v10, v2
	;;#ASMEND
	s_nop 0
	;;#ASMSTART
	v_dot2_f32_f16 v2, v39, v11, v2
	;;#ASMEND
	s_nop 0
	;;#ASMSTART
	v_dot2_f32_f16 v2, v40, v12, v2
	;;#ASMEND
	s_nop 0
	;;#ASMSTART
	v_dot2_f32_f16 v2, v41, v13, v2
	;;#ASMEND
	;; [unrolled: 15-line block ×3, first 2 shown]
	ds_read_b128 v[10:13], v32 offset:17520
	ds_read_b128 v[18:21], v3 offset:112
	;; [unrolled: 1-line block ×4, first 2 shown]
	s_waitcnt lgkmcnt(2)
	;;#ASMSTART
	v_dot2_f32_f16 v0, v18, v10, v0
	;;#ASMEND
	s_nop 0
	;;#ASMSTART
	v_dot2_f32_f16 v0, v19, v11, v0
	;;#ASMEND
	s_nop 0
	;; [unrolled: 4-line block ×3, first 2 shown]
	;;#ASMSTART
	v_dot2_f32_f16 v0, v21, v13, v0
	;;#ASMEND
	s_waitcnt lgkmcnt(0)
	;;#ASMSTART
	v_dot2_f32_f16 v1, v18, v48, v1
	;;#ASMEND
	s_nop 0
	;;#ASMSTART
	v_dot2_f32_f16 v1, v19, v49, v1
	;;#ASMEND
	s_nop 0
	;;#ASMSTART
	v_dot2_f32_f16 v1, v20, v50, v1
	;;#ASMEND
	s_nop 0
	;;#ASMSTART
	v_dot2_f32_f16 v1, v21, v51, v1
	;;#ASMEND
	;;#ASMSTART
	v_dot2_f32_f16 v2, v38, v10, v2
	;;#ASMEND
	s_nop 0
	;;#ASMSTART
	v_dot2_f32_f16 v2, v39, v11, v2
	;;#ASMEND
	s_nop 0
	;;#ASMSTART
	v_dot2_f32_f16 v2, v40, v12, v2
	;;#ASMEND
	s_nop 0
	;;#ASMSTART
	v_dot2_f32_f16 v2, v41, v13, v2
	;;#ASMEND
	;; [unrolled: 15-line block ×3, first 2 shown]
	ds_read_b128 v[10:13], v32 offset:17536
	ds_read_b128 v[18:21], v3 offset:128
	;; [unrolled: 1-line block ×4, first 2 shown]
	s_waitcnt lgkmcnt(2)
	;;#ASMSTART
	v_dot2_f32_f16 v0, v18, v10, v0
	;;#ASMEND
	s_nop 0
	;;#ASMSTART
	v_dot2_f32_f16 v0, v19, v11, v0
	;;#ASMEND
	s_nop 0
	;; [unrolled: 4-line block ×3, first 2 shown]
	;;#ASMSTART
	v_dot2_f32_f16 v0, v21, v13, v0
	;;#ASMEND
	s_waitcnt lgkmcnt(0)
	;;#ASMSTART
	v_dot2_f32_f16 v1, v18, v48, v1
	;;#ASMEND
	s_nop 0
	;;#ASMSTART
	v_dot2_f32_f16 v1, v19, v49, v1
	;;#ASMEND
	s_nop 0
	;;#ASMSTART
	v_dot2_f32_f16 v1, v20, v50, v1
	;;#ASMEND
	s_nop 0
	;;#ASMSTART
	v_dot2_f32_f16 v1, v21, v51, v1
	;;#ASMEND
	;;#ASMSTART
	v_dot2_f32_f16 v2, v38, v10, v2
	;;#ASMEND
	s_nop 0
	;;#ASMSTART
	v_dot2_f32_f16 v2, v39, v11, v2
	;;#ASMEND
	s_nop 0
	;;#ASMSTART
	v_dot2_f32_f16 v2, v40, v12, v2
	;;#ASMEND
	s_nop 0
	;;#ASMSTART
	v_dot2_f32_f16 v2, v41, v13, v2
	;;#ASMEND
	;; [unrolled: 15-line block ×3, first 2 shown]
	ds_read_b128 v[10:13], v32 offset:17552
	ds_read_b128 v[18:21], v3 offset:144
	;; [unrolled: 1-line block ×4, first 2 shown]
	s_waitcnt lgkmcnt(2)
	;;#ASMSTART
	v_dot2_f32_f16 v0, v18, v10, v0
	;;#ASMEND
	s_nop 0
	;;#ASMSTART
	v_dot2_f32_f16 v0, v19, v11, v0
	;;#ASMEND
	s_nop 0
	;; [unrolled: 4-line block ×3, first 2 shown]
	;;#ASMSTART
	v_dot2_f32_f16 v0, v21, v13, v0
	;;#ASMEND
	s_waitcnt lgkmcnt(0)
	;;#ASMSTART
	v_dot2_f32_f16 v1, v18, v48, v1
	;;#ASMEND
	s_nop 0
	;;#ASMSTART
	v_dot2_f32_f16 v1, v19, v49, v1
	;;#ASMEND
	s_nop 0
	;;#ASMSTART
	v_dot2_f32_f16 v1, v20, v50, v1
	;;#ASMEND
	s_nop 0
	;;#ASMSTART
	v_dot2_f32_f16 v1, v21, v51, v1
	;;#ASMEND
	;;#ASMSTART
	v_dot2_f32_f16 v2, v38, v10, v2
	;;#ASMEND
	s_nop 0
	;;#ASMSTART
	v_dot2_f32_f16 v2, v39, v11, v2
	;;#ASMEND
	s_nop 0
	;;#ASMSTART
	v_dot2_f32_f16 v2, v40, v12, v2
	;;#ASMEND
	s_nop 0
	;;#ASMSTART
	v_dot2_f32_f16 v2, v41, v13, v2
	;;#ASMEND
	;; [unrolled: 15-line block ×3, first 2 shown]
	ds_read_b128 v[10:13], v32 offset:17568
	ds_read_b128 v[18:21], v3 offset:160
	;; [unrolled: 1-line block ×4, first 2 shown]
	s_waitcnt lgkmcnt(2)
	;;#ASMSTART
	v_dot2_f32_f16 v0, v18, v10, v0
	;;#ASMEND
	s_nop 0
	;;#ASMSTART
	v_dot2_f32_f16 v0, v19, v11, v0
	;;#ASMEND
	s_nop 0
	;; [unrolled: 4-line block ×3, first 2 shown]
	;;#ASMSTART
	v_dot2_f32_f16 v0, v21, v13, v0
	;;#ASMEND
	s_waitcnt lgkmcnt(0)
	;;#ASMSTART
	v_dot2_f32_f16 v1, v18, v48, v1
	;;#ASMEND
	s_nop 0
	;;#ASMSTART
	v_dot2_f32_f16 v1, v19, v49, v1
	;;#ASMEND
	s_nop 0
	;;#ASMSTART
	v_dot2_f32_f16 v1, v20, v50, v1
	;;#ASMEND
	s_nop 0
	;;#ASMSTART
	v_dot2_f32_f16 v1, v21, v51, v1
	;;#ASMEND
	;;#ASMSTART
	v_dot2_f32_f16 v2, v38, v10, v2
	;;#ASMEND
	s_nop 0
	;;#ASMSTART
	v_dot2_f32_f16 v2, v39, v11, v2
	;;#ASMEND
	s_nop 0
	;;#ASMSTART
	v_dot2_f32_f16 v2, v40, v12, v2
	;;#ASMEND
	s_nop 0
	;;#ASMSTART
	v_dot2_f32_f16 v2, v41, v13, v2
	;;#ASMEND
	;; [unrolled: 15-line block ×3, first 2 shown]
	ds_read_b128 v[10:13], v32 offset:17584
	ds_read_b128 v[18:21], v3 offset:176
	;; [unrolled: 1-line block ×4, first 2 shown]
	s_waitcnt lgkmcnt(2)
	;;#ASMSTART
	v_dot2_f32_f16 v0, v18, v10, v0
	;;#ASMEND
	s_nop 0
	;;#ASMSTART
	v_dot2_f32_f16 v0, v19, v11, v0
	;;#ASMEND
	s_nop 0
	;; [unrolled: 4-line block ×3, first 2 shown]
	;;#ASMSTART
	v_dot2_f32_f16 v0, v21, v13, v0
	;;#ASMEND
	s_waitcnt lgkmcnt(0)
	;;#ASMSTART
	v_dot2_f32_f16 v1, v18, v48, v1
	;;#ASMEND
	s_nop 0
	;;#ASMSTART
	v_dot2_f32_f16 v1, v19, v49, v1
	;;#ASMEND
	s_nop 0
	;;#ASMSTART
	v_dot2_f32_f16 v1, v20, v50, v1
	;;#ASMEND
	s_nop 0
	;;#ASMSTART
	v_dot2_f32_f16 v1, v21, v51, v1
	;;#ASMEND
	;;#ASMSTART
	v_dot2_f32_f16 v2, v38, v10, v2
	;;#ASMEND
	s_nop 0
	;;#ASMSTART
	v_dot2_f32_f16 v2, v39, v11, v2
	;;#ASMEND
	s_nop 0
	;;#ASMSTART
	v_dot2_f32_f16 v2, v40, v12, v2
	;;#ASMEND
	s_nop 0
	;;#ASMSTART
	v_dot2_f32_f16 v2, v41, v13, v2
	;;#ASMEND
	;; [unrolled: 15-line block ×3, first 2 shown]
	ds_read_b128 v[10:13], v32 offset:17600
	ds_read_b128 v[18:21], v3 offset:192
	;; [unrolled: 1-line block ×4, first 2 shown]
	s_waitcnt lgkmcnt(2)
	;;#ASMSTART
	v_dot2_f32_f16 v0, v18, v10, v0
	;;#ASMEND
	s_nop 0
	;;#ASMSTART
	v_dot2_f32_f16 v0, v19, v11, v0
	;;#ASMEND
	s_nop 0
	;;#ASMSTART
	v_dot2_f32_f16 v0, v20, v12, v0
	;;#ASMEND
	s_nop 0
	;;#ASMSTART
	v_dot2_f32_f16 v0, v21, v13, v0
	;;#ASMEND
	s_waitcnt lgkmcnt(0)
	;;#ASMSTART
	v_dot2_f32_f16 v1, v18, v48, v1
	;;#ASMEND
	s_nop 0
	;;#ASMSTART
	v_dot2_f32_f16 v1, v19, v49, v1
	;;#ASMEND
	s_nop 0
	;;#ASMSTART
	v_dot2_f32_f16 v1, v20, v50, v1
	;;#ASMEND
	s_nop 0
	;;#ASMSTART
	v_dot2_f32_f16 v1, v21, v51, v1
	;;#ASMEND
	;;#ASMSTART
	v_dot2_f32_f16 v2, v38, v10, v2
	;;#ASMEND
	s_nop 0
	;;#ASMSTART
	v_dot2_f32_f16 v2, v39, v11, v2
	;;#ASMEND
	s_nop 0
	;;#ASMSTART
	v_dot2_f32_f16 v2, v40, v12, v2
	;;#ASMEND
	s_nop 0
	;;#ASMSTART
	v_dot2_f32_f16 v2, v41, v13, v2
	;;#ASMEND
	;; [unrolled: 15-line block ×3, first 2 shown]
	ds_read_b128 v[10:13], v32 offset:17616
	ds_read_b128 v[18:21], v3 offset:208
	;; [unrolled: 1-line block ×4, first 2 shown]
	s_waitcnt lgkmcnt(2)
	;;#ASMSTART
	v_dot2_f32_f16 v0, v18, v10, v0
	;;#ASMEND
	s_nop 0
	;;#ASMSTART
	v_dot2_f32_f16 v0, v19, v11, v0
	;;#ASMEND
	s_nop 0
	;; [unrolled: 4-line block ×3, first 2 shown]
	;;#ASMSTART
	v_dot2_f32_f16 v0, v21, v13, v0
	;;#ASMEND
	s_waitcnt lgkmcnt(0)
	;;#ASMSTART
	v_dot2_f32_f16 v1, v18, v48, v1
	;;#ASMEND
	s_nop 0
	;;#ASMSTART
	v_dot2_f32_f16 v1, v19, v49, v1
	;;#ASMEND
	s_nop 0
	;;#ASMSTART
	v_dot2_f32_f16 v1, v20, v50, v1
	;;#ASMEND
	s_nop 0
	;;#ASMSTART
	v_dot2_f32_f16 v1, v21, v51, v1
	;;#ASMEND
	;;#ASMSTART
	v_dot2_f32_f16 v2, v38, v10, v2
	;;#ASMEND
	s_nop 0
	;;#ASMSTART
	v_dot2_f32_f16 v2, v39, v11, v2
	;;#ASMEND
	s_nop 0
	;;#ASMSTART
	v_dot2_f32_f16 v2, v40, v12, v2
	;;#ASMEND
	s_nop 0
	;;#ASMSTART
	v_dot2_f32_f16 v2, v41, v13, v2
	;;#ASMEND
	;; [unrolled: 15-line block ×3, first 2 shown]
	ds_read_b128 v[10:13], v32 offset:17632
	ds_read_b128 v[18:21], v3 offset:224
	;; [unrolled: 1-line block ×4, first 2 shown]
	s_waitcnt lgkmcnt(2)
	;;#ASMSTART
	v_dot2_f32_f16 v0, v18, v10, v0
	;;#ASMEND
	s_nop 0
	;;#ASMSTART
	v_dot2_f32_f16 v0, v19, v11, v0
	;;#ASMEND
	s_nop 0
	;; [unrolled: 4-line block ×3, first 2 shown]
	;;#ASMSTART
	v_dot2_f32_f16 v0, v21, v13, v0
	;;#ASMEND
	s_waitcnt lgkmcnt(0)
	;;#ASMSTART
	v_dot2_f32_f16 v1, v18, v48, v1
	;;#ASMEND
	s_nop 0
	;;#ASMSTART
	v_dot2_f32_f16 v1, v19, v49, v1
	;;#ASMEND
	s_nop 0
	;;#ASMSTART
	v_dot2_f32_f16 v1, v20, v50, v1
	;;#ASMEND
	s_nop 0
	;;#ASMSTART
	v_dot2_f32_f16 v1, v21, v51, v1
	;;#ASMEND
	;;#ASMSTART
	v_dot2_f32_f16 v2, v38, v10, v2
	;;#ASMEND
	s_nop 0
	;;#ASMSTART
	v_dot2_f32_f16 v2, v39, v11, v2
	;;#ASMEND
	s_nop 0
	;;#ASMSTART
	v_dot2_f32_f16 v2, v40, v12, v2
	;;#ASMEND
	s_nop 0
	;;#ASMSTART
	v_dot2_f32_f16 v2, v41, v13, v2
	;;#ASMEND
	;; [unrolled: 15-line block ×3, first 2 shown]
	ds_read_b128 v[10:13], v3 offset:240
	ds_read_b128 v[18:21], v32 offset:17648
	;; [unrolled: 1-line block ×4, first 2 shown]
	s_waitcnt lgkmcnt(2)
	;;#ASMSTART
	v_dot2_f32_f16 v0, v10, v18, v0
	;;#ASMEND
	s_nop 0
	;;#ASMSTART
	v_dot2_f32_f16 v0, v11, v19, v0
	;;#ASMEND
	s_nop 0
	;; [unrolled: 4-line block ×3, first 2 shown]
	;;#ASMSTART
	v_dot2_f32_f16 v0, v13, v21, v0
	;;#ASMEND
	s_waitcnt lgkmcnt(0)
	;;#ASMSTART
	v_dot2_f32_f16 v1, v10, v48, v1
	;;#ASMEND
	s_nop 0
	;;#ASMSTART
	v_dot2_f32_f16 v1, v11, v49, v1
	;;#ASMEND
	v_cmp_nlt_f32_e64 s[10:11], |v0|, s10
	;;#ASMSTART
	v_dot2_f32_f16 v1, v12, v50, v1
	;;#ASMEND
	s_nop 0
	;;#ASMSTART
	v_dot2_f32_f16 v1, v13, v51, v1
	;;#ASMEND
	;;#ASMSTART
	v_dot2_f32_f16 v2, v38, v18, v2
	;;#ASMEND
	s_nop 0
	;;#ASMSTART
	v_dot2_f32_f16 v2, v39, v19, v2
	;;#ASMEND
	s_nop 0
	;;#ASMSTART
	v_dot2_f32_f16 v2, v40, v20, v2
	;;#ASMEND
	s_nop 0
	;;#ASMSTART
	v_dot2_f32_f16 v2, v41, v21, v2
	;;#ASMEND
	;;#ASMSTART
	v_dot2_f32_f16 v9, v38, v48, v9
	;;#ASMEND
	s_nop 0
	;;#ASMSTART
	v_dot2_f32_f16 v9, v39, v49, v9
	;;#ASMEND
	s_nop 0
	;; [unrolled: 4-line block ×3, first 2 shown]
	v_mov_b32_e32 v3, v9
	;;#ASMSTART
	v_dot2_f32_f16 v3, v41, v51, v3
	;;#ASMEND
                                        ; implicit-def: $vgpr9
	s_and_saveexec_b64 s[12:13], s[10:11]
	s_xor_b64 s[10:11], exec, s[12:13]
	s_cbranch_execz .LBB88_42
; %bb.41:
	v_add_f32_e64 v9, |v0|, |v0|
	v_mul_f32_e32 v10, 0x3fb8aa3b, v9
	s_mov_b32 s12, 0x3fb8aa3b
	v_rndne_f32_e32 v11, v10
	v_sub_f32_e32 v12, v10, v11
	v_fma_f32 v10, v9, s12, -v10
	v_fmamk_f32 v10, v9, 0x32a5705f, v10
	v_add_f32_e32 v10, v12, v10
	v_exp_f32_e32 v10, v10
	v_cvt_i32_f32_e32 v11, v11
	s_mov_b32 s12, 0xc2ce8ed0
	v_cmp_ngt_f32_e32 vcc, s12, v9
	s_mov_b32 s12, 0x42b17218
	v_ldexp_f32 v10, v10, v11
	v_cndmask_b32_e32 v10, 0, v10, vcc
	v_mov_b32_e32 v11, 0x7f800000
	v_cmp_nlt_f32_e32 vcc, s12, v9
	s_nop 1
	v_cndmask_b32_e32 v9, v11, v10, vcc
	v_add_f32_e32 v9, 1.0, v9
	v_rcp_f32_e32 v9, v9
	s_nop 0
	v_fma_f32 v9, v9, -2.0, 1.0
.LBB88_42:
	s_andn2_saveexec_b64 s[10:11], s[10:11]
; %bb.43:
	v_mul_f32_e32 v9, v0, v0
	v_mov_b32_e32 v10, 0x3ca908c9
	v_fmac_f32_e32 v10, 0xbbbac73d, v9
	v_fmaak_f32 v10, v9, v10, 0xbd5c1c4e
	v_fmaak_f32 v10, v9, v10, 0x3e088382
	;; [unrolled: 1-line block ×3, first 2 shown]
	v_mul_f32_e64 v10, |v0|, v10
	v_fma_f32 v9, v9, v10, |v0|
; %bb.44:
	s_or_b64 exec, exec, s[10:11]
	s_cmp_lg_u64 s[36:37], 0
	s_brev_b32 s10, -2
	v_bfi_b32 v0, s10, v9, v0
	s_cselect_b64 s[10:11], -1, 0
	v_cndmask_b32_e64 v9, 0, 1, s[10:11]
	v_add_u32_e32 v12, s41, v33
	v_mul_f32_e32 v0, s19, v0
	v_cmp_gt_i32_e64 s[12:13], s38, v36
	v_cmp_ne_u32_e64 s[10:11], 1, v9
	v_mov_b64_e32 v[10:11], v[6:7]
	s_and_saveexec_b64 s[14:15], s[12:13]
	s_cbranch_execz .LBB88_49
; %bb.45:
	s_and_b64 vcc, exec, s[10:11]
	s_cbranch_vccnz .LBB88_47
; %bb.46:
	v_add_u32_e32 v10, v12, v36
	v_ashrrev_i32_e32 v11, 31, v10
	v_lshl_add_u64 v[10:11], v[10:11], 1, s[36:37]
	global_load_ushort v9, v[10:11], off
	s_waitcnt vmcnt(0)
	v_cvt_f32_f16_e32 v9, v9
	v_mul_f32_e32 v9, v25, v9
	s_branch .LBB88_48
.LBB88_47:
	v_mov_b32_e32 v9, 0
.LBB88_48:
	v_add_f32_e32 v0, v0, v9
	v_add_f32_e32 v9, 0x40051340, v0
	v_max_f32_e32 v10, v6, v6
	v_max_f32_e32 v10, v10, v9
	v_mov_b32_e32 v11, v7
.LBB88_49:
	s_or_b64 exec, exec, s[14:15]
	s_mov_b32 s14, 0x3f200000
	v_cmp_nlt_f32_e64 s[14:15], |v2|, s14
                                        ; implicit-def: $vgpr13
	s_and_saveexec_b64 s[22:23], s[14:15]
	s_xor_b64 s[14:15], exec, s[22:23]
	s_cbranch_execz .LBB88_51
; %bb.50:
	v_add_f32_e64 v9, |v2|, |v2|
	v_mul_f32_e32 v13, 0x3fb8aa3b, v9
	s_mov_b32 s22, 0x3fb8aa3b
	v_rndne_f32_e32 v18, v13
	v_sub_f32_e32 v19, v13, v18
	v_fma_f32 v13, v9, s22, -v13
	v_fmamk_f32 v13, v9, 0x32a5705f, v13
	v_add_f32_e32 v13, v19, v13
	v_exp_f32_e32 v13, v13
	v_cvt_i32_f32_e32 v18, v18
	s_mov_b32 s22, 0xc2ce8ed0
	v_cmp_ngt_f32_e32 vcc, s22, v9
	s_mov_b32 s22, 0x42b17218
	v_ldexp_f32 v13, v13, v18
	v_cndmask_b32_e32 v13, 0, v13, vcc
	v_mov_b32_e32 v18, 0x7f800000
	v_cmp_nlt_f32_e32 vcc, s22, v9
	s_nop 1
	v_cndmask_b32_e32 v9, v18, v13, vcc
	v_add_f32_e32 v9, 1.0, v9
	v_rcp_f32_e32 v9, v9
	s_nop 0
	v_fma_f32 v13, v9, -2.0, 1.0
.LBB88_51:
	s_andn2_saveexec_b64 s[14:15], s[14:15]
; %bb.52:
	v_mul_f32_e32 v9, v2, v2
	v_mov_b32_e32 v13, 0x3ca908c9
	v_fmac_f32_e32 v13, 0xbbbac73d, v9
	v_fmaak_f32 v13, v9, v13, 0xbd5c1c4e
	v_fmaak_f32 v13, v9, v13, 0x3e088382
	;; [unrolled: 1-line block ×3, first 2 shown]
	v_mul_f32_e64 v13, |v2|, v13
	v_fma_f32 v13, v9, v13, |v2|
; %bb.53:
	s_or_b64 exec, exec, s[14:15]
	s_brev_b32 s14, -2
	v_add_u32_e32 v9, 32, v36
	v_bfi_b32 v2, s14, v13, v2
	v_mul_f32_e32 v2, s19, v2
	v_cmp_gt_i32_e64 s[14:15], s38, v9
	s_and_saveexec_b64 s[22:23], s[14:15]
	s_cbranch_execz .LBB88_58
; %bb.54:
	s_and_b64 vcc, exec, s[10:11]
	s_cbranch_vccnz .LBB88_56
; %bb.55:
	v_ashrrev_i32_e32 v13, 31, v12
	v_mov_b32_e32 v37, 0
	v_lshl_add_u64 v[12:13], v[12:13], 0, v[36:37]
	v_lshl_add_u64 v[12:13], v[12:13], 1, s[36:37]
	global_load_ushort v12, v[12:13], off offset:64
	s_waitcnt vmcnt(0)
	v_cvt_f32_f16_e32 v12, v12
	v_mul_f32_e32 v12, v25, v12
	s_branch .LBB88_57
.LBB88_56:
	v_mov_b32_e32 v12, 0
.LBB88_57:
	v_add_f32_e32 v2, v2, v12
	v_add_f32_e32 v12, 0x40051340, v2
	v_max_f32_e32 v10, v10, v10
	v_max_f32_e32 v10, v10, v12
.LBB88_58:
	s_or_b64 exec, exec, s[22:23]
	v_mbcnt_hi_u32_b32 v48, -1, v31
	v_and_b32_e32 v12, 0x60, v48
	v_add_u32_e32 v49, 32, v12
	v_xor_b32_e32 v50, 16, v48
	v_cmp_lt_i32_e32 vcc, v50, v49
	v_xor_b32_e32 v51, 8, v48
	v_xor_b32_e32 v52, 4, v48
	v_cndmask_b32_e32 v12, v48, v50, vcc
	v_lshlrev_b32_e32 v19, 2, v12
	ds_bpermute_b32 v12, v19, v10
	v_cmp_lt_i32_e32 vcc, v51, v49
	v_max_f32_e32 v10, v10, v10
	v_xor_b32_e32 v53, 2, v48
	v_cndmask_b32_e32 v13, v48, v51, vcc
	s_waitcnt lgkmcnt(0)
	v_max_f32_e32 v12, v12, v12
	v_lshlrev_b32_e32 v21, 2, v13
	v_max_f32_e32 v10, v10, v12
	ds_bpermute_b32 v12, v21, v10
	v_cmp_lt_i32_e32 vcc, v52, v49
	v_xor_b32_e32 v54, 1, v48
	s_mov_b32 s22, 0x3f200000
	v_cndmask_b32_e32 v13, v48, v52, vcc
	s_waitcnt lgkmcnt(0)
	v_max_f32_e32 v12, v12, v12
	v_lshlrev_b32_e32 v20, 2, v13
	v_max_f32_e32 v10, v10, v12
	ds_bpermute_b32 v12, v20, v10
	v_cmp_lt_i32_e32 vcc, v53, v49
	v_cmp_nlt_f32_e64 s[22:23], |v1|, s22
                                        ; implicit-def: $vgpr22
	s_waitcnt lgkmcnt(0)
	v_max_f32_e32 v12, v12, v12
	v_cndmask_b32_e32 v13, v48, v53, vcc
	v_lshlrev_b32_e32 v18, 2, v13
	v_max_f32_e32 v12, v10, v12
	ds_bpermute_b32 v13, v18, v12
	v_cmp_lt_i32_e32 vcc, v54, v49
	s_waitcnt lgkmcnt(0)
	v_max_f32_e32 v13, v13, v13
	v_cndmask_b32_e32 v10, v48, v54, vcc
	v_lshlrev_b32_e32 v10, 2, v10
	v_max_f32_e32 v12, v12, v13
	ds_bpermute_b32 v13, v10, v12
	s_and_saveexec_b64 s[44:45], s[22:23]
	s_xor_b64 s[22:23], exec, s[44:45]
	s_cbranch_execz .LBB88_60
; %bb.59:
	v_add_f32_e64 v22, |v1|, |v1|
	v_mul_f32_e32 v23, 0x3fb8aa3b, v22
	s_mov_b32 s43, 0x3fb8aa3b
	v_rndne_f32_e32 v31, v23
	v_sub_f32_e32 v32, v23, v31
	v_fma_f32 v23, v22, s43, -v23
	v_fmamk_f32 v23, v22, 0x32a5705f, v23
	v_add_f32_e32 v23, v32, v23
	v_exp_f32_e32 v23, v23
	v_cvt_i32_f32_e32 v31, v31
	s_mov_b32 s43, 0xc2ce8ed0
	v_cmp_ngt_f32_e32 vcc, s43, v22
	s_mov_b32 s43, 0x42b17218
	v_ldexp_f32 v23, v23, v31
	v_cndmask_b32_e32 v23, 0, v23, vcc
	v_mov_b32_e32 v31, 0x7f800000
	v_cmp_nlt_f32_e32 vcc, s43, v22
	s_nop 1
	v_cndmask_b32_e32 v22, v31, v23, vcc
	v_add_f32_e32 v22, 1.0, v22
	v_rcp_f32_e32 v22, v22
	s_nop 0
	v_fma_f32 v22, v22, -2.0, 1.0
.LBB88_60:
	s_andn2_saveexec_b64 s[22:23], s[22:23]
; %bb.61:
	v_mul_f32_e32 v22, v1, v1
	v_mov_b32_e32 v23, 0x3ca908c9
	v_fmac_f32_e32 v23, 0xbbbac73d, v22
	v_fmaak_f32 v23, v22, v23, 0xbd5c1c4e
	v_fmaak_f32 v23, v22, v23, 0x3e088382
	;; [unrolled: 1-line block ×3, first 2 shown]
	v_mul_f32_e64 v23, |v1|, v23
	v_fma_f32 v22, v22, v23, |v1|
; %bb.62:
	s_or_b64 exec, exec, s[22:23]
	s_waitcnt lgkmcnt(0)
	v_max_f32_e32 v13, v13, v13
	v_max_f32_e32 v12, v12, v12
	;; [unrolled: 1-line block ×3, first 2 shown]
	v_mul_hi_u32 v12, s28, v30
	v_add_u32_e32 v12, v30, v12
	v_lshrrev_b32_e32 v12, s29, v12
	v_mul_lo_u32 v12, v12, s30
	v_sub_u32_e32 v12, v30, v12
	s_brev_b32 s22, -2
	v_mul_lo_u32 v12, v12, s42
	v_bfi_b32 v1, s22, v22, v1
	v_add_u32_e32 v12, s41, v12
	v_mul_f32_e32 v1, s19, v1
	s_and_saveexec_b64 s[22:23], s[12:13]
	s_cbranch_execz .LBB88_67
; %bb.63:
	s_and_b64 vcc, exec, s[10:11]
	s_cbranch_vccnz .LBB88_65
; %bb.64:
	v_add_u32_e32 v22, v12, v36
	v_ashrrev_i32_e32 v23, 31, v22
	v_lshl_add_u64 v[22:23], v[22:23], 1, s[36:37]
	global_load_ushort v13, v[22:23], off
	s_waitcnt vmcnt(0)
	v_cvt_f32_f16_e32 v13, v13
	v_mul_f32_e32 v13, v25, v13
	s_branch .LBB88_66
.LBB88_65:
	v_mov_b32_e32 v13, 0
.LBB88_66:
	v_add_f32_e32 v1, v1, v13
	v_add_f32_e32 v13, 0x40051340, v1
	v_max_f32_e32 v11, v11, v11
	v_max_f32_e32 v11, v11, v13
.LBB88_67:
	s_or_b64 exec, exec, s[22:23]
	s_mov_b32 s12, 0x3f200000
	v_cmp_nlt_f32_e64 s[12:13], |v3|, s12
                                        ; implicit-def: $vgpr13
	s_and_saveexec_b64 s[22:23], s[12:13]
	s_xor_b64 s[12:13], exec, s[22:23]
	s_cbranch_execz .LBB88_69
; %bb.68:
	v_add_f32_e64 v13, |v3|, |v3|
	v_mul_f32_e32 v22, 0x3fb8aa3b, v13
	s_mov_b32 s22, 0x3fb8aa3b
	v_rndne_f32_e32 v23, v22
	v_sub_f32_e32 v30, v22, v23
	v_fma_f32 v22, v13, s22, -v22
	v_fmamk_f32 v22, v13, 0x32a5705f, v22
	v_add_f32_e32 v22, v30, v22
	v_exp_f32_e32 v22, v22
	v_cvt_i32_f32_e32 v23, v23
	s_mov_b32 s22, 0xc2ce8ed0
	v_cmp_ngt_f32_e32 vcc, s22, v13
	s_mov_b32 s22, 0x42b17218
	v_ldexp_f32 v22, v22, v23
	v_cndmask_b32_e32 v22, 0, v22, vcc
	v_mov_b32_e32 v23, 0x7f800000
	v_cmp_nlt_f32_e32 vcc, s22, v13
	s_nop 1
	v_cndmask_b32_e32 v13, v23, v22, vcc
	v_add_f32_e32 v13, 1.0, v13
	v_rcp_f32_e32 v13, v13
	s_nop 0
	v_fma_f32 v13, v13, -2.0, 1.0
.LBB88_69:
	s_andn2_saveexec_b64 s[12:13], s[12:13]
; %bb.70:
	v_mul_f32_e32 v13, v3, v3
	v_mov_b32_e32 v22, 0x3ca908c9
	v_fmac_f32_e32 v22, 0xbbbac73d, v13
	v_fmaak_f32 v22, v13, v22, 0xbd5c1c4e
	v_fmaak_f32 v22, v13, v22, 0x3e088382
	;; [unrolled: 1-line block ×3, first 2 shown]
	v_mul_f32_e64 v22, |v3|, v22
	v_fma_f32 v13, v13, v22, |v3|
; %bb.71:
	s_or_b64 exec, exec, s[12:13]
	s_brev_b32 s12, -2
	v_bfi_b32 v3, s12, v13, v3
	v_mul_f32_e32 v3, s19, v3
	s_and_saveexec_b64 s[12:13], s[14:15]
	s_cbranch_execz .LBB88_76
; %bb.72:
	s_and_b64 vcc, exec, s[10:11]
	s_cbranch_vccnz .LBB88_74
; %bb.73:
	v_ashrrev_i32_e32 v13, 31, v12
	v_mov_b32_e32 v37, 0
	v_lshl_add_u64 v[12:13], v[12:13], 0, v[36:37]
	v_lshl_add_u64 v[12:13], v[12:13], 1, s[36:37]
	global_load_ushort v12, v[12:13], off offset:64
	s_waitcnt vmcnt(0)
	v_cvt_f32_f16_e32 v12, v12
	v_mul_f32_e32 v12, v25, v12
	s_branch .LBB88_75
.LBB88_74:
	v_mov_b32_e32 v12, 0
.LBB88_75:
	v_add_f32_e32 v3, v3, v12
	v_add_f32_e32 v12, 0x40051340, v3
	v_max_f32_e32 v11, v11, v11
	v_max_f32_e32 v11, v11, v12
.LBB88_76:
	s_or_b64 exec, exec, s[12:13]
	ds_bpermute_b32 v12, v19, v11
	v_max_f32_e32 v11, v11, v11
	s_mov_b64 s[14:15], src_private_base
	v_sub_f32_e32 v0, v0, v38
	s_mov_b32 s14, 0x3fb8aa3b
	s_waitcnt lgkmcnt(0)
	v_max_f32_e32 v12, v12, v12
	v_max_f32_e32 v11, v11, v12
	ds_bpermute_b32 v12, v21, v11
	v_mul_f32_e32 v13, 0x3fb8aa3b, v0
	v_fma_f32 v19, v0, s14, -v13
	v_fmac_f32_e32 v19, 0x32a5705f, v0
	v_sub_f32_e32 v2, v2, v38
	s_waitcnt lgkmcnt(0)
	v_max_f32_e32 v12, v12, v12
	v_max_f32_e32 v11, v11, v12
	ds_bpermute_b32 v12, v20, v11
	v_rndne_f32_e32 v20, v13
	v_sub_f32_e32 v13, v13, v20
	v_add_f32_e32 v13, v13, v19
	v_exp_f32_e32 v13, v13
	s_waitcnt lgkmcnt(0)
	v_max_f32_e32 v12, v12, v12
	v_max_f32_e32 v11, v11, v12
	ds_bpermute_b32 v12, v18, v11
	v_cvt_i32_f32_e32 v18, v20
	s_mov_b32 s19, 0xc2ce8ed0
	v_cmp_ngt_f32_e32 vcc, s19, v0
	s_mov_b32 s22, 0x42b17218
	s_waitcnt lgkmcnt(0)
	v_max_f32_e32 v12, v12, v12
	v_max_f32_e32 v11, v11, v12
	ds_bpermute_b32 v10, v10, v11
	v_ldexp_f32 v12, v13, v18
	v_cndmask_b32_e32 v12, 0, v12, vcc
	v_mov_b32_e32 v18, 0x7f800000
	v_cmp_nlt_f32_e32 vcc, s22, v0
	s_waitcnt lgkmcnt(0)
	v_max_f32_e32 v10, v10, v10
	v_max_f32_e32 v39, v11, v10
	v_mul_f32_e32 v10, 0x3fb8aa3b, v2
	v_fma_f32 v11, v2, s14, -v10
	v_rndne_f32_e32 v13, v10
	v_fmac_f32_e32 v11, 0x32a5705f, v2
	v_sub_f32_e32 v10, v10, v13
	v_add_f32_e32 v10, v10, v11
	v_exp_f32_e32 v10, v10
	v_cvt_i32_f32_e32 v11, v13
	v_cndmask_b32_e32 v0, v18, v12, vcc
	v_cmp_gt_u32_e32 vcc, s38, v36
	v_sub_f32_e32 v1, v1, v39
	v_cmp_ngt_f32_e64 s[10:11], s19, v2
	v_cndmask_b32_e32 v19, 0, v0, vcc
	v_ldexp_f32 v0, v10, v11
	v_mul_f32_e32 v10, 0x3fb8aa3b, v1
	v_fma_f32 v11, v1, s14, -v10
	v_rndne_f32_e32 v12, v10
	v_fmac_f32_e32 v11, 0x32a5705f, v1
	v_sub_f32_e32 v10, v10, v12
	v_add_f32_e32 v10, v10, v11
	v_exp_f32_e32 v10, v10
	v_cvt_i32_f32_e32 v11, v12
	v_cndmask_b32_e64 v0, 0, v0, s[10:11]
	v_cmp_nlt_f32_e64 s[10:11], s22, v2
	v_sub_f32_e32 v2, v3, v39
	v_mul_f32_e32 v3, 0x3fb8aa3b, v2
	v_cndmask_b32_e64 v0, v18, v0, s[10:11]
	v_cmp_gt_u32_e64 s[10:11], s38, v9
	v_cmp_ngt_f32_e64 s[12:13], s19, v1
	v_lshlrev_b32_e32 v37, 8, v24
	v_cndmask_b32_e64 v20, 0, v0, s[10:11]
	v_ldexp_f32 v0, v10, v11
	v_fma_f32 v10, v2, s14, -v3
	v_rndne_f32_e32 v11, v3
	v_fmac_f32_e32 v10, 0x32a5705f, v2
	v_sub_f32_e32 v3, v3, v11
	v_add_f32_e32 v3, v3, v10
	v_exp_f32_e32 v3, v3
	v_cvt_i32_f32_e32 v10, v11
	v_cndmask_b32_e64 v0, 0, v0, s[12:13]
	v_cmp_nlt_f32_e64 s[12:13], s22, v1
	s_barrier
	s_nop 0
	v_cndmask_b32_e64 v0, v18, v0, s[12:13]
	v_cndmask_b32_e32 v21, 0, v0, vcc
	v_ldexp_f32 v0, v3, v10
	v_cmp_ngt_f32_e32 vcc, s19, v2
	v_mul_lo_u32 v10, s2, v14
	s_nop 0
	v_cndmask_b32_e32 v0, 0, v0, vcc
	v_cmp_nlt_f32_e32 vcc, s22, v2
	v_cvt_pk_f16_f32 v2, v19, v21
	v_ashrrev_i32_e32 v11, 31, v10
	v_cndmask_b32_e32 v0, v18, v0, vcc
	v_cndmask_b32_e64 v22, 0, v0, s[10:11]
	s_mul_hi_i32 s11, s41, s2
	s_mul_i32 s10, s41, s2
	v_add_u32_e32 v0, 0x5400, v37
	s_lshl_b64 s[10:11], s[10:11], 2
	v_add_u32_e32 v1, v0, v45
	s_add_u32 s10, s39, s10
	ds_write_b32 v1, v2
	v_lshl_add_u32 v0, v9, 2, v0
	v_cvt_pk_f16_f32 v1, v20, v22
	s_addc_u32 s11, s40, s11
	s_mov_b32 s36, 0
	ds_write_b32 v0, v1
	v_lshl_add_u64 v[0:1], v[10:11], 2, s[10:11]
	v_mov_b32_e32 v9, 0
	s_mov_b32 s37, s36
	s_mov_b32 s38, s36
	v_mov_b32_e32 v30, s36
	v_lshl_add_u64 v[0:1], v[0:1], 0, v[8:9]
	v_mov_b32_e32 v31, s37
	v_mov_b32_e32 v32, s38
	v_mov_b32_e32 v23, s15
	v_mov_b32_e32 v24, 0
	scratch_store_dword off, v9, off
	scratch_store_dwordx3 off, v[30:32], off offset:4
	v_cndmask_b32_e64 v1, v23, v1, s[16:17]
	v_cndmask_b32_e64 v0, v24, v0, s[16:17]
	flat_load_dwordx4 v[0:3], v[0:1]
	s_lshl_b32 s2, s2, 4
	v_add_u32_e32 v10, s2, v10
	v_ashrrev_i32_e32 v11, 31, v10
	v_lshl_add_u64 v[12:13], v[10:11], 2, s[10:11]
	v_lshl_or_b32 v14, v14, 8, v8
	v_lshl_add_u64 v[12:13], v[12:13], 0, v[8:9]
	v_cndmask_b32_e64 v13, v23, v13, s[6:7]
	v_cndmask_b32_e64 v12, v24, v12, s[6:7]
	scratch_store_dword off, v9, off
	scratch_store_dwordx3 off, v[30:32], off offset:4
	v_add_u32_e32 v10, s2, v10
	v_ashrrev_i32_e32 v11, 31, v10
	v_sub_f32_e32 v6, v6, v38
	v_cmp_ngt_f32_e32 vcc, s19, v6
	v_add_f32_e32 v40, v19, v20
	v_add_f32_e32 v41, v21, v22
	v_add_u32_e32 v34, 0x800, v47
	v_add_u32_e32 v55, 0x1000, v47
	;; [unrolled: 1-line block ×3, first 2 shown]
	s_waitcnt vmcnt(0) lgkmcnt(0)
	ds_write_b128 v14, v[0:3]
	flat_load_dwordx4 v[0:3], v[12:13]
	v_lshl_add_u64 v[12:13], v[10:11], 2, s[10:11]
	v_lshl_or_b32 v14, v15, 8, v8
	v_lshl_add_u64 v[12:13], v[12:13], 0, v[8:9]
	v_cndmask_b32_e64 v13, v23, v13, s[4:5]
	v_cndmask_b32_e64 v12, v24, v12, s[4:5]
	scratch_store_dword off, v9, off
	scratch_store_dwordx3 off, v[30:32], off offset:4
	v_add_u32_e32 v10, s2, v10
	v_ashrrev_i32_e32 v11, 31, v10
	v_lshl_add_u64 v[10:11], v[10:11], 2, s[10:11]
	v_lshl_add_u64 v[10:11], v[10:11], 0, v[8:9]
	v_cndmask_b32_e64 v11, v23, v11, s[8:9]
	v_cndmask_b32_e64 v10, v24, v10, s[8:9]
	v_cmp_nlt_f32_e64 s[4:5], s22, v6
	s_mov_b32 s2, 0x10001
	s_waitcnt vmcnt(0) lgkmcnt(0)
	ds_write_b128 v14, v[0:3]
	flat_load_dwordx4 v[0:3], v[12:13]
	v_lshl_or_b32 v12, v17, 8, v8
	scratch_store_dword off, v9, off
	scratch_store_dwordx3 off, v[30:32], off offset:4
	v_mul_f32_e32 v9, 0x3fb8aa3b, v6
	v_lshl_or_b32 v8, v16, 8, v8
	s_waitcnt vmcnt(0) lgkmcnt(0)
	ds_write_b128 v12, v[0:3]
	flat_load_dwordx4 v[0:3], v[10:11]
	v_fma_f32 v10, v6, s14, -v9
	v_rndne_f32_e32 v11, v9
	v_fmac_f32_e32 v10, 0x32a5705f, v6
	v_sub_f32_e32 v9, v9, v11
	v_add_f32_e32 v9, v9, v10
	v_cvt_i32_f32_e32 v11, v11
	v_exp_f32_e32 v9, v9
	s_waitcnt vmcnt(0) lgkmcnt(0)
	ds_write_b128 v8, v[0:3]
	v_ldexp_f32 v6, v9, v11
	v_cndmask_b32_e32 v6, 0, v6, vcc
	v_cndmask_b32_e64 v6, v18, v6, s[4:5]
	v_fmac_f32_e32 v40, v4, v6
	v_sub_f32_e32 v4, v7, v39
	v_cvt_f16_f32_e32 v9, v6
	v_mul_f32_e32 v6, 0x3fb8aa3b, v4
	v_fma_f32 v7, v4, s14, -v6
	v_rndne_f32_e32 v10, v6
	v_fmac_f32_e32 v7, 0x32a5705f, v4
	v_sub_f32_e32 v6, v6, v10
	v_add_f32_e32 v6, v6, v7
	v_cvt_i32_f32_e32 v10, v10
	v_exp_f32_e32 v6, v6
	v_cmp_ngt_f32_e32 vcc, s19, v4
	v_cmp_nlt_f32_e64 s[4:5], s22, v4
	v_mul_u32_u24_e32 v35, 0x10001, v9
	v_ldexp_f32 v4, v6, v10
	v_cndmask_b32_e32 v4, 0, v4, vcc
	v_cndmask_b32_e64 v4, v18, v4, s[4:5]
	v_cvt_f16_f32_e32 v6, v4
	v_pk_mul_f16 v73, v27, v35
	v_fmac_f32_e32 v41, v5, v4
	s_waitcnt lgkmcnt(0)
	v_mul_u32_u24_e32 v74, 0x10001, v6
	v_pk_mul_f16 v75, v26, v74
	s_barrier
	ds_read2_b64 v[30:33], v47 offset1:32
	ds_read_b128 v[20:23], v37 offset:21504
	ds_read_b128 v[56:59], v37 offset:21520
	;; [unrolled: 1-line block ×4, first 2 shown]
	ds_read2_b64 v[68:71], v47 offset0:64 offset1:96
	ds_read2_b64 v[24:27], v47 offset0:128 offset1:160
	ds_read2_b64 v[16:19], v47 offset0:192 offset1:224
	ds_read2_b64 v[4:7], v34 offset1:32
	ds_read_b128 v[12:15], v37 offset:21568
	ds_read_b128 v[0:3], v37 offset:21584
	;; [unrolled: 1-line block ×3, first 2 shown]
	s_waitcnt lgkmcnt(10)
	v_mul_u32_u24_sdwa v76, v20, s2 dst_sel:DWORD dst_unused:UNUSED_PAD src0_sel:WORD_0 src1_sel:DWORD
	v_mul_u32_u24_sdwa v77, v20, s2 dst_sel:DWORD dst_unused:UNUSED_PAD src0_sel:WORD_1 src1_sel:DWORD
	v_pk_mul_f16 v20, v30, v76
	v_pk_mul_f16 v30, v30, v77
	v_mul_u32_u24_sdwa v78, v21, s2 dst_sel:DWORD dst_unused:UNUSED_PAD src0_sel:WORD_0 src1_sel:DWORD
	v_mul_u32_u24_sdwa v79, v21, s2 dst_sel:DWORD dst_unused:UNUSED_PAD src0_sel:WORD_1 src1_sel:DWORD
	v_pk_fma_f16 v29, v29, v35, v20
	v_pk_fma_f16 v35, v31, v76, v73
	;; [unrolled: 1-line block ×4, first 2 shown]
	v_mul_u32_u24_sdwa v80, v22, s2 dst_sel:DWORD dst_unused:UNUSED_PAD src0_sel:WORD_0 src1_sel:DWORD
	v_mul_u32_u24_sdwa v81, v22, s2 dst_sel:DWORD dst_unused:UNUSED_PAD src0_sel:WORD_1 src1_sel:DWORD
	v_pk_fma_f16 v30, v33, v78, v35
	v_pk_fma_f16 v29, v32, v78, v29
	;; [unrolled: 1-line block ×4, first 2 shown]
	v_mul_u32_u24_sdwa v82, v23, s2 dst_sel:DWORD dst_unused:UNUSED_PAD src0_sel:WORD_0 src1_sel:DWORD
	v_mul_u32_u24_sdwa v83, v23, s2 dst_sel:DWORD dst_unused:UNUSED_PAD src0_sel:WORD_1 src1_sel:DWORD
	s_waitcnt lgkmcnt(7)
	v_mul_u32_u24_sdwa v100, v64, s2 dst_sel:DWORD dst_unused:UNUSED_PAD src0_sel:WORD_0 src1_sel:DWORD
	v_mul_u32_u24_sdwa v101, v64, s2 dst_sel:DWORD dst_unused:UNUSED_PAD src0_sel:WORD_1 src1_sel:DWORD
	s_waitcnt lgkmcnt(6)
	v_pk_fma_f16 v32, v69, v80, v30
	v_pk_fma_f16 v33, v69, v81, v31
	;; [unrolled: 1-line block ×4, first 2 shown]
	v_mul_u32_u24_sdwa v84, v56, s2 dst_sel:DWORD dst_unused:UNUSED_PAD src0_sel:WORD_0 src1_sel:DWORD
	v_mul_u32_u24_sdwa v85, v56, s2 dst_sel:DWORD dst_unused:UNUSED_PAD src0_sel:WORD_1 src1_sel:DWORD
	v_mul_u32_u24_sdwa v102, v65, s2 dst_sel:DWORD dst_unused:UNUSED_PAD src0_sel:WORD_0 src1_sel:DWORD
	v_mul_u32_u24_sdwa v103, v65, s2 dst_sel:DWORD dst_unused:UNUSED_PAD src0_sel:WORD_1 src1_sel:DWORD
	;; [unrolled: 2-line block ×4, first 2 shown]
	v_pk_fma_f16 v65, v71, v82, v32
	v_pk_fma_f16 v66, v71, v83, v33
	;; [unrolled: 1-line block ×4, first 2 shown]
	v_mul_u32_u24_sdwa v86, v57, s2 dst_sel:DWORD dst_unused:UNUSED_PAD src0_sel:WORD_0 src1_sel:DWORD
	v_mul_u32_u24_sdwa v87, v57, s2 dst_sel:DWORD dst_unused:UNUSED_PAD src0_sel:WORD_1 src1_sel:DWORD
	s_waitcnt lgkmcnt(5)
	v_pk_fma_f16 v68, v25, v84, v65
	v_pk_fma_f16 v25, v25, v85, v66
	;; [unrolled: 1-line block ×4, first 2 shown]
	v_mul_u32_u24_sdwa v88, v58, s2 dst_sel:DWORD dst_unused:UNUSED_PAD src0_sel:WORD_0 src1_sel:DWORD
	v_mul_u32_u24_sdwa v89, v58, s2 dst_sel:DWORD dst_unused:UNUSED_PAD src0_sel:WORD_1 src1_sel:DWORD
	v_mul_u32_u24_sdwa v90, v59, s2 dst_sel:DWORD dst_unused:UNUSED_PAD src0_sel:WORD_0 src1_sel:DWORD
	v_mul_u32_u24_sdwa v91, v59, s2 dst_sel:DWORD dst_unused:UNUSED_PAD src0_sel:WORD_1 src1_sel:DWORD
	ds_read2_b64 v[56:59], v34 offset0:64 offset1:96
	v_pk_fma_f16 v73, v27, v86, v68
	v_pk_fma_f16 v74, v27, v87, v25
	;; [unrolled: 1-line block ×4, first 2 shown]
	s_waitcnt lgkmcnt(5)
	v_pk_fma_f16 v73, v17, v88, v73
	v_pk_fma_f16 v76, v16, v88, v25
	;; [unrolled: 1-line block ×4, first 2 shown]
	v_mul_u32_u24_sdwa v92, v60, s2 dst_sel:DWORD dst_unused:UNUSED_PAD src0_sel:WORD_0 src1_sel:DWORD
	v_mul_u32_u24_sdwa v93, v60, s2 dst_sel:DWORD dst_unused:UNUSED_PAD src0_sel:WORD_1 src1_sel:DWORD
	v_mul_u32_u24_sdwa v94, v61, s2 dst_sel:DWORD dst_unused:UNUSED_PAD src0_sel:WORD_0 src1_sel:DWORD
	v_mul_u32_u24_sdwa v95, v61, s2 dst_sel:DWORD dst_unused:UNUSED_PAD src0_sel:WORD_1 src1_sel:DWORD
	;; [unrolled: 2-line block ×4, first 2 shown]
	ds_read2_b64 v[60:63], v34 offset0:128 offset1:160
	v_pk_fma_f16 v73, v19, v90, v73
	v_pk_fma_f16 v74, v18, v90, v76
	;; [unrolled: 1-line block ×4, first 2 shown]
	s_waitcnt lgkmcnt(5)
	v_pk_fma_f16 v73, v5, v92, v73
	v_pk_fma_f16 v74, v4, v92, v74
	;; [unrolled: 1-line block ×4, first 2 shown]
	ds_read2_b64 v[28:31], v34 offset0:192 offset1:224
	v_pk_fma_f16 v17, v7, v94, v73
	v_pk_fma_f16 v73, v6, v94, v74
	;; [unrolled: 1-line block ×4, first 2 shown]
	s_waitcnt lgkmcnt(2)
	v_pk_fma_f16 v6, v57, v96, v17
	v_pk_fma_f16 v7, v56, v96, v73
	;; [unrolled: 1-line block ×4, first 2 shown]
	ds_read2_b64 v[32:35], v55 offset1:32
	v_mul_u32_u24_sdwa v17, v8, s2 dst_sel:DWORD dst_unused:UNUSED_PAD src0_sel:WORD_0 src1_sel:DWORD
	v_pk_fma_f16 v6, v59, v98, v6
	v_pk_fma_f16 v7, v58, v98, v7
	v_mul_u32_u24_sdwa v56, v8, s2 dst_sel:DWORD dst_unused:UNUSED_PAD src0_sel:WORD_1 src1_sel:DWORD
	v_pk_fma_f16 v8, v59, v99, v5
	v_pk_fma_f16 v57, v58, v99, v4
	v_mul_u32_u24_sdwa v58, v9, s2 dst_sel:DWORD dst_unused:UNUSED_PAD src0_sel:WORD_0 src1_sel:DWORD
	v_mul_u32_u24_sdwa v59, v9, s2 dst_sel:DWORD dst_unused:UNUSED_PAD src0_sel:WORD_1 src1_sel:DWORD
	v_mul_u32_u24_sdwa v73, v10, s2 dst_sel:DWORD dst_unused:UNUSED_PAD src0_sel:WORD_0 src1_sel:DWORD
	v_mul_u32_u24_sdwa v86, v10, s2 dst_sel:DWORD dst_unused:UNUSED_PAD src0_sel:WORD_1 src1_sel:DWORD
	;; [unrolled: 2-line block ×3, first 2 shown]
	s_waitcnt lgkmcnt(2)
	v_pk_fma_f16 v9, v61, v100, v6
	v_pk_fma_f16 v10, v60, v100, v7
	v_pk_fma_f16 v8, v61, v101, v8
	v_pk_fma_f16 v11, v60, v101, v57
	ds_read2_b64 v[64:67], v55 offset0:64 offset1:96
	v_pk_fma_f16 v60, v63, v102, v9
	v_pk_fma_f16 v61, v62, v102, v10
	;; [unrolled: 1-line block ×4, first 2 shown]
	s_waitcnt lgkmcnt(2)
	v_pk_fma_f16 v60, v29, v104, v60
	v_pk_fma_f16 v29, v29, v105, v63
	;; [unrolled: 1-line block ×4, first 2 shown]
	ds_read2_b64 v[68:71], v55 offset0:128 offset1:160
	ds_read2_b64 v[24:27], v55 offset0:192 offset1:224
	v_mul_u32_u24_sdwa v55, v12, s2 dst_sel:DWORD dst_unused:UNUSED_PAD src0_sel:WORD_0 src1_sel:DWORD
	v_mul_u32_u24_sdwa v75, v12, s2 dst_sel:DWORD dst_unused:UNUSED_PAD src0_sel:WORD_1 src1_sel:DWORD
	v_pk_fma_f16 v60, v31, v106, v60
	v_pk_fma_f16 v29, v31, v107, v29
	;; [unrolled: 1-line block ×4, first 2 shown]
	v_mul_u32_u24_sdwa v18, v13, s2 dst_sel:DWORD dst_unused:UNUSED_PAD src0_sel:WORD_0 src1_sel:DWORD
	v_mul_u32_u24_sdwa v19, v13, s2 dst_sel:DWORD dst_unused:UNUSED_PAD src0_sel:WORD_1 src1_sel:DWORD
	s_waitcnt lgkmcnt(3)
	v_pk_fma_f16 v30, v33, v55, v60
	v_pk_fma_f16 v29, v33, v75, v29
	;; [unrolled: 1-line block ×4, first 2 shown]
	v_mul_u32_u24_sdwa v76, v14, s2 dst_sel:DWORD dst_unused:UNUSED_PAD src0_sel:WORD_0 src1_sel:DWORD
	v_mul_u32_u24_sdwa v77, v14, s2 dst_sel:DWORD dst_unused:UNUSED_PAD src0_sel:WORD_1 src1_sel:DWORD
	v_pk_fma_f16 v30, v35, v18, v30
	v_pk_fma_f16 v29, v35, v19, v29
	;; [unrolled: 1-line block ×4, first 2 shown]
	v_mul_u32_u24_sdwa v78, v15, s2 dst_sel:DWORD dst_unused:UNUSED_PAD src0_sel:WORD_0 src1_sel:DWORD
	v_mul_u32_u24_sdwa v79, v15, s2 dst_sel:DWORD dst_unused:UNUSED_PAD src0_sel:WORD_1 src1_sel:DWORD
	s_waitcnt lgkmcnt(2)
	v_pk_fma_f16 v28, v65, v76, v30
	v_pk_fma_f16 v29, v65, v77, v29
	;; [unrolled: 1-line block ×4, first 2 shown]
	ds_read2_b64 v[12:15], v72 offset1:32
	v_mul_u32_u24_sdwa v16, v0, s2 dst_sel:DWORD dst_unused:UNUSED_PAD src0_sel:WORD_0 src1_sel:DWORD
	v_mul_u32_u24_sdwa v74, v0, s2 dst_sel:DWORD dst_unused:UNUSED_PAD src0_sel:WORD_1 src1_sel:DWORD
	v_pk_fma_f16 v28, v67, v78, v28
	v_pk_fma_f16 v29, v67, v79, v29
	;; [unrolled: 1-line block ×4, first 2 shown]
	v_mul_u32_u24_sdwa v80, v1, s2 dst_sel:DWORD dst_unused:UNUSED_PAD src0_sel:WORD_0 src1_sel:DWORD
	v_mul_u32_u24_sdwa v81, v1, s2 dst_sel:DWORD dst_unused:UNUSED_PAD src0_sel:WORD_1 src1_sel:DWORD
	s_waitcnt lgkmcnt(2)
	v_pk_fma_f16 v28, v69, v16, v28
	v_pk_fma_f16 v29, v69, v74, v29
	;; [unrolled: 1-line block ×4, first 2 shown]
	v_mul_u32_u24_sdwa v82, v2, s2 dst_sel:DWORD dst_unused:UNUSED_PAD src0_sel:WORD_0 src1_sel:DWORD
	v_mul_u32_u24_sdwa v83, v2, s2 dst_sel:DWORD dst_unused:UNUSED_PAD src0_sel:WORD_1 src1_sel:DWORD
	v_mul_u32_u24_sdwa v84, v3, s2 dst_sel:DWORD dst_unused:UNUSED_PAD src0_sel:WORD_0 src1_sel:DWORD
	v_mul_u32_u24_sdwa v85, v3, s2 dst_sel:DWORD dst_unused:UNUSED_PAD src0_sel:WORD_1 src1_sel:DWORD
	ds_read2_b64 v[0:3], v72 offset0:64 offset1:96
	v_pk_fma_f16 v19, v71, v80, v28
	v_pk_fma_f16 v28, v71, v81, v29
	;; [unrolled: 1-line block ×4, first 2 shown]
	ds_read_b128 v[20:23], v37 offset:21616
	s_waitcnt lgkmcnt(3)
	v_pk_fma_f16 v19, v25, v82, v19
	v_pk_fma_f16 v25, v25, v83, v28
	;; [unrolled: 1-line block ×4, first 2 shown]
	ds_read2_b64 v[4:7], v72 offset0:128 offset1:160
	v_pk_fma_f16 v19, v27, v84, v19
	v_pk_fma_f16 v24, v27, v85, v25
	;; [unrolled: 1-line block ×4, first 2 shown]
	s_waitcnt lgkmcnt(3)
	v_pk_fma_f16 v19, v13, v17, v19
	v_pk_fma_f16 v13, v13, v56, v24
	;; [unrolled: 1-line block ×4, first 2 shown]
	ds_read2_b64 v[8:11], v72 offset0:192 offset1:224
	v_pk_fma_f16 v17, v15, v58, v19
	v_pk_fma_f16 v13, v15, v59, v13
	;; [unrolled: 1-line block ×4, first 2 shown]
	s_waitcnt lgkmcnt(3)
	v_pk_fma_f16 v14, v1, v73, v17
	v_pk_fma_f16 v1, v1, v86, v13
	;; [unrolled: 1-line block ×4, first 2 shown]
	s_waitcnt lgkmcnt(2)
	v_mul_u32_u24_sdwa v57, v20, s2 dst_sel:DWORD dst_unused:UNUSED_PAD src0_sel:WORD_0 src1_sel:DWORD
	v_mul_u32_u24_sdwa v20, v20, s2 dst_sel:DWORD dst_unused:UNUSED_PAD src0_sel:WORD_1 src1_sel:DWORD
	v_pk_fma_f16 v12, v3, v87, v14
	v_pk_fma_f16 v1, v3, v88, v1
	;; [unrolled: 1-line block ×4, first 2 shown]
	v_mul_u32_u24_sdwa v89, v21, s2 dst_sel:DWORD dst_unused:UNUSED_PAD src0_sel:WORD_0 src1_sel:DWORD
	v_mul_u32_u24_sdwa v21, v21, s2 dst_sel:DWORD dst_unused:UNUSED_PAD src0_sel:WORD_1 src1_sel:DWORD
	s_waitcnt lgkmcnt(1)
	v_pk_fma_f16 v2, v5, v57, v12
	v_pk_fma_f16 v1, v5, v20, v1
	;; [unrolled: 1-line block ×4, first 2 shown]
	v_mul_u32_u24_sdwa v90, v22, s2 dst_sel:DWORD dst_unused:UNUSED_PAD src0_sel:WORD_0 src1_sel:DWORD
	v_mul_u32_u24_sdwa v22, v22, s2 dst_sel:DWORD dst_unused:UNUSED_PAD src0_sel:WORD_1 src1_sel:DWORD
	v_pk_fma_f16 v2, v7, v89, v2
	v_pk_fma_f16 v1, v7, v21, v1
	;; [unrolled: 1-line block ×4, first 2 shown]
	v_mul_u32_u24_sdwa v91, v23, s2 dst_sel:DWORD dst_unused:UNUSED_PAD src0_sel:WORD_0 src1_sel:DWORD
	v_mul_u32_u24_sdwa v23, v23, s2 dst_sel:DWORD dst_unused:UNUSED_PAD src0_sel:WORD_1 src1_sel:DWORD
	s_waitcnt lgkmcnt(0)
	v_pk_fma_f16 v2, v9, v90, v2
	v_pk_fma_f16 v9, v9, v22, v1
	;; [unrolled: 1-line block ×7, first 2 shown]
	ds_read_b128 v[0:3], v37 offset:21632
	v_add_u32_e32 v16, 0x2000, v47
	ds_read2_b64 v[4:7], v16 offset1:32
	v_pk_fma_f16 v15, v11, v23, v9
	ds_read_b128 v[8:11], v37 offset:21648
	s_waitcnt lgkmcnt(2)
	v_mul_u32_u24_sdwa v17, v0, s2 dst_sel:DWORD dst_unused:UNUSED_PAD src0_sel:WORD_0 src1_sel:DWORD
	v_mul_u32_u24_sdwa v0, v0, s2 dst_sel:DWORD dst_unused:UNUSED_PAD src0_sel:WORD_1 src1_sel:DWORD
	s_waitcnt lgkmcnt(1)
	v_pk_fma_f16 v12, v4, v17, v12
	v_pk_fma_f16 v4, v4, v0, v13
	v_pk_fma_f16 v17, v5, v17, v14
	v_pk_fma_f16 v0, v5, v0, v15
	v_mul_u32_u24_sdwa v5, v1, s2 dst_sel:DWORD dst_unused:UNUSED_PAD src0_sel:WORD_0 src1_sel:DWORD
	v_pk_fma_f16 v18, v6, v5, v12
	ds_read2_b64 v[12:15], v16 offset0:64 offset1:96
	v_mul_u32_u24_sdwa v1, v1, s2 dst_sel:DWORD dst_unused:UNUSED_PAD src0_sel:WORD_1 src1_sel:DWORD
	v_pk_fma_f16 v4, v6, v1, v4
	v_pk_fma_f16 v5, v7, v5, v17
	v_pk_fma_f16 v0, v7, v1, v0
	v_mul_u32_u24_sdwa v1, v2, s2 dst_sel:DWORD dst_unused:UNUSED_PAD src0_sel:WORD_0 src1_sel:DWORD
	v_mul_u32_u24_sdwa v2, v2, s2 dst_sel:DWORD dst_unused:UNUSED_PAD src0_sel:WORD_1 src1_sel:DWORD
	s_waitcnt lgkmcnt(0)
	v_pk_fma_f16 v6, v12, v1, v18
	v_pk_fma_f16 v4, v12, v2, v4
	v_pk_fma_f16 v5, v13, v1, v5
	v_pk_fma_f16 v7, v13, v2, v0
	v_mul_u32_u24_sdwa v12, v3, s2 dst_sel:DWORD dst_unused:UNUSED_PAD src0_sel:WORD_0 src1_sel:DWORD
	v_mul_u32_u24_sdwa v13, v3, s2 dst_sel:DWORD dst_unused:UNUSED_PAD src0_sel:WORD_1 src1_sel:DWORD
	ds_read2_b64 v[0:3], v16 offset0:128 offset1:160
	v_pk_fma_f16 v6, v14, v12, v6
	v_pk_fma_f16 v4, v14, v13, v4
	v_pk_fma_f16 v5, v15, v12, v5
	v_pk_fma_f16 v7, v15, v13, v7
	v_mul_u32_u24_sdwa v12, v8, s2 dst_sel:DWORD dst_unused:UNUSED_PAD src0_sel:WORD_0 src1_sel:DWORD
	v_mul_u32_u24_sdwa v8, v8, s2 dst_sel:DWORD dst_unused:UNUSED_PAD src0_sel:WORD_1 src1_sel:DWORD
	s_waitcnt lgkmcnt(0)
	v_pk_fma_f16 v6, v0, v12, v6
	v_pk_fma_f16 v0, v0, v8, v4
	v_pk_fma_f16 v12, v1, v12, v5
	v_pk_fma_f16 v1, v1, v8, v7
	v_mul_u32_u24_sdwa v8, v9, s2 dst_sel:DWORD dst_unused:UNUSED_PAD src0_sel:WORD_0 src1_sel:DWORD
	v_pk_fma_f16 v13, v2, v8, v6
	ds_read2_b64 v[4:7], v16 offset0:192 offset1:224
	v_mul_u32_u24_sdwa v9, v9, s2 dst_sel:DWORD dst_unused:UNUSED_PAD src0_sel:WORD_1 src1_sel:DWORD
	v_pk_fma_f16 v0, v2, v9, v0
	v_pk_fma_f16 v2, v3, v8, v12
	v_pk_fma_f16 v1, v3, v9, v1
	v_mul_u32_u24_sdwa v3, v10, s2 dst_sel:DWORD dst_unused:UNUSED_PAD src0_sel:WORD_0 src1_sel:DWORD
	v_mul_u32_u24_sdwa v8, v10, s2 dst_sel:DWORD dst_unused:UNUSED_PAD src0_sel:WORD_1 src1_sel:DWORD
	s_waitcnt lgkmcnt(0)
	v_pk_fma_f16 v9, v4, v3, v13
	v_pk_fma_f16 v0, v4, v8, v0
	v_pk_fma_f16 v2, v5, v3, v2
	v_pk_fma_f16 v4, v5, v8, v1
	v_mul_u32_u24_sdwa v1, v11, s2 dst_sel:DWORD dst_unused:UNUSED_PAD src0_sel:WORD_0 src1_sel:DWORD
	v_mul_u32_u24_sdwa v5, v11, s2 dst_sel:DWORD dst_unused:UNUSED_PAD src0_sel:WORD_1 src1_sel:DWORD
	v_pk_fma_f16 v12, v6, v1, v9
	v_pk_fma_f16 v13, v6, v5, v0
	v_pk_fma_f16 v14, v7, v1, v2
	ds_read_b128 v[0:3], v37 offset:21664
	v_add_u32_e32 v16, 0x2800, v47
	ds_read2_b64 v[8:11], v16 offset1:32
	v_pk_fma_f16 v15, v7, v5, v4
	ds_read_b128 v[4:7], v37 offset:21680
	s_waitcnt lgkmcnt(2)
	v_mul_u32_u24_sdwa v17, v0, s2 dst_sel:DWORD dst_unused:UNUSED_PAD src0_sel:WORD_0 src1_sel:DWORD
	v_mul_u32_u24_sdwa v0, v0, s2 dst_sel:DWORD dst_unused:UNUSED_PAD src0_sel:WORD_1 src1_sel:DWORD
	s_waitcnt lgkmcnt(1)
	v_pk_fma_f16 v12, v8, v17, v12
	v_pk_fma_f16 v8, v8, v0, v13
	v_pk_fma_f16 v17, v9, v17, v14
	v_pk_fma_f16 v0, v9, v0, v15
	v_mul_u32_u24_sdwa v9, v1, s2 dst_sel:DWORD dst_unused:UNUSED_PAD src0_sel:WORD_0 src1_sel:DWORD
	v_pk_fma_f16 v18, v10, v9, v12
	ds_read2_b64 v[12:15], v16 offset0:64 offset1:96
	v_mul_u32_u24_sdwa v1, v1, s2 dst_sel:DWORD dst_unused:UNUSED_PAD src0_sel:WORD_1 src1_sel:DWORD
	v_pk_fma_f16 v8, v10, v1, v8
	v_pk_fma_f16 v9, v11, v9, v17
	v_pk_fma_f16 v0, v11, v1, v0
	v_mul_u32_u24_sdwa v1, v2, s2 dst_sel:DWORD dst_unused:UNUSED_PAD src0_sel:WORD_0 src1_sel:DWORD
	v_mul_u32_u24_sdwa v2, v2, s2 dst_sel:DWORD dst_unused:UNUSED_PAD src0_sel:WORD_1 src1_sel:DWORD
	s_waitcnt lgkmcnt(0)
	v_pk_fma_f16 v10, v12, v1, v18
	v_pk_fma_f16 v8, v12, v2, v8
	v_pk_fma_f16 v9, v13, v1, v9
	v_pk_fma_f16 v11, v13, v2, v0
	v_mul_u32_u24_sdwa v12, v3, s2 dst_sel:DWORD dst_unused:UNUSED_PAD src0_sel:WORD_0 src1_sel:DWORD
	v_mul_u32_u24_sdwa v13, v3, s2 dst_sel:DWORD dst_unused:UNUSED_PAD src0_sel:WORD_1 src1_sel:DWORD
	ds_read2_b64 v[0:3], v16 offset0:128 offset1:160
	v_pk_fma_f16 v10, v14, v12, v10
	v_pk_fma_f16 v8, v14, v13, v8
	v_pk_fma_f16 v9, v15, v12, v9
	v_pk_fma_f16 v11, v15, v13, v11
	v_mul_u32_u24_sdwa v12, v4, s2 dst_sel:DWORD dst_unused:UNUSED_PAD src0_sel:WORD_0 src1_sel:DWORD
	v_mul_u32_u24_sdwa v4, v4, s2 dst_sel:DWORD dst_unused:UNUSED_PAD src0_sel:WORD_1 src1_sel:DWORD
	s_waitcnt lgkmcnt(0)
	v_pk_fma_f16 v10, v0, v12, v10
	v_pk_fma_f16 v0, v0, v4, v8
	v_pk_fma_f16 v12, v1, v12, v9
	v_pk_fma_f16 v1, v1, v4, v11
	v_mul_u32_u24_sdwa v4, v5, s2 dst_sel:DWORD dst_unused:UNUSED_PAD src0_sel:WORD_0 src1_sel:DWORD
	v_pk_fma_f16 v13, v2, v4, v10
	ds_read2_b64 v[8:11], v16 offset0:192 offset1:224
	v_mul_u32_u24_sdwa v5, v5, s2 dst_sel:DWORD dst_unused:UNUSED_PAD src0_sel:WORD_1 src1_sel:DWORD
	v_pk_fma_f16 v0, v2, v5, v0
	v_pk_fma_f16 v2, v3, v4, v12
	v_pk_fma_f16 v1, v3, v5, v1
	v_mul_u32_u24_sdwa v3, v6, s2 dst_sel:DWORD dst_unused:UNUSED_PAD src0_sel:WORD_0 src1_sel:DWORD
	v_mul_u32_u24_sdwa v4, v6, s2 dst_sel:DWORD dst_unused:UNUSED_PAD src0_sel:WORD_1 src1_sel:DWORD
	s_waitcnt lgkmcnt(0)
	v_pk_fma_f16 v5, v8, v3, v13
	v_pk_fma_f16 v0, v8, v4, v0
	v_pk_fma_f16 v2, v9, v3, v2
	v_pk_fma_f16 v8, v9, v4, v1
	v_mul_u32_u24_sdwa v1, v7, s2 dst_sel:DWORD dst_unused:UNUSED_PAD src0_sel:WORD_0 src1_sel:DWORD
	v_mul_u32_u24_sdwa v9, v7, s2 dst_sel:DWORD dst_unused:UNUSED_PAD src0_sel:WORD_1 src1_sel:DWORD
	v_pk_fma_f16 v12, v10, v1, v5
	v_pk_fma_f16 v13, v10, v9, v0
	v_pk_fma_f16 v14, v11, v1, v2
	ds_read_b128 v[0:3], v37 offset:21696
	v_add_u32_e32 v16, 0x3000, v47
	ds_read2_b64 v[4:7], v16 offset1:32
	v_pk_fma_f16 v15, v11, v9, v8
	ds_read_b128 v[8:11], v37 offset:21712
	s_waitcnt lgkmcnt(2)
	v_mul_u32_u24_sdwa v17, v0, s2 dst_sel:DWORD dst_unused:UNUSED_PAD src0_sel:WORD_0 src1_sel:DWORD
	v_mul_u32_u24_sdwa v0, v0, s2 dst_sel:DWORD dst_unused:UNUSED_PAD src0_sel:WORD_1 src1_sel:DWORD
	s_waitcnt lgkmcnt(1)
	v_pk_fma_f16 v12, v4, v17, v12
	v_pk_fma_f16 v4, v4, v0, v13
	v_pk_fma_f16 v17, v5, v17, v14
	v_pk_fma_f16 v0, v5, v0, v15
	v_mul_u32_u24_sdwa v5, v1, s2 dst_sel:DWORD dst_unused:UNUSED_PAD src0_sel:WORD_0 src1_sel:DWORD
	v_pk_fma_f16 v18, v6, v5, v12
	ds_read2_b64 v[12:15], v16 offset0:64 offset1:96
	v_mul_u32_u24_sdwa v1, v1, s2 dst_sel:DWORD dst_unused:UNUSED_PAD src0_sel:WORD_1 src1_sel:DWORD
	v_pk_fma_f16 v4, v6, v1, v4
	v_pk_fma_f16 v5, v7, v5, v17
	v_pk_fma_f16 v0, v7, v1, v0
	v_mul_u32_u24_sdwa v1, v2, s2 dst_sel:DWORD dst_unused:UNUSED_PAD src0_sel:WORD_0 src1_sel:DWORD
	v_mul_u32_u24_sdwa v2, v2, s2 dst_sel:DWORD dst_unused:UNUSED_PAD src0_sel:WORD_1 src1_sel:DWORD
	s_waitcnt lgkmcnt(0)
	v_pk_fma_f16 v6, v12, v1, v18
	v_pk_fma_f16 v4, v12, v2, v4
	v_pk_fma_f16 v5, v13, v1, v5
	v_pk_fma_f16 v7, v13, v2, v0
	v_mul_u32_u24_sdwa v12, v3, s2 dst_sel:DWORD dst_unused:UNUSED_PAD src0_sel:WORD_0 src1_sel:DWORD
	v_mul_u32_u24_sdwa v13, v3, s2 dst_sel:DWORD dst_unused:UNUSED_PAD src0_sel:WORD_1 src1_sel:DWORD
	ds_read2_b64 v[0:3], v16 offset0:128 offset1:160
	v_pk_fma_f16 v6, v14, v12, v6
	v_pk_fma_f16 v4, v14, v13, v4
	v_pk_fma_f16 v5, v15, v12, v5
	v_pk_fma_f16 v7, v15, v13, v7
	v_mul_u32_u24_sdwa v12, v8, s2 dst_sel:DWORD dst_unused:UNUSED_PAD src0_sel:WORD_0 src1_sel:DWORD
	v_mul_u32_u24_sdwa v8, v8, s2 dst_sel:DWORD dst_unused:UNUSED_PAD src0_sel:WORD_1 src1_sel:DWORD
	s_waitcnt lgkmcnt(0)
	v_pk_fma_f16 v6, v0, v12, v6
	v_pk_fma_f16 v0, v0, v8, v4
	v_pk_fma_f16 v12, v1, v12, v5
	v_pk_fma_f16 v1, v1, v8, v7
	v_mul_u32_u24_sdwa v8, v9, s2 dst_sel:DWORD dst_unused:UNUSED_PAD src0_sel:WORD_0 src1_sel:DWORD
	v_pk_fma_f16 v13, v2, v8, v6
	ds_read2_b64 v[4:7], v16 offset0:192 offset1:224
	v_mul_u32_u24_sdwa v9, v9, s2 dst_sel:DWORD dst_unused:UNUSED_PAD src0_sel:WORD_1 src1_sel:DWORD
	v_pk_fma_f16 v0, v2, v9, v0
	v_pk_fma_f16 v2, v3, v8, v12
	v_pk_fma_f16 v1, v3, v9, v1
	v_mul_u32_u24_sdwa v3, v10, s2 dst_sel:DWORD dst_unused:UNUSED_PAD src0_sel:WORD_0 src1_sel:DWORD
	v_mul_u32_u24_sdwa v8, v10, s2 dst_sel:DWORD dst_unused:UNUSED_PAD src0_sel:WORD_1 src1_sel:DWORD
	s_waitcnt lgkmcnt(0)
	v_pk_fma_f16 v9, v4, v3, v13
	v_pk_fma_f16 v0, v4, v8, v0
	v_pk_fma_f16 v2, v5, v3, v2
	v_pk_fma_f16 v4, v5, v8, v1
	v_mul_u32_u24_sdwa v1, v11, s2 dst_sel:DWORD dst_unused:UNUSED_PAD src0_sel:WORD_0 src1_sel:DWORD
	v_mul_u32_u24_sdwa v5, v11, s2 dst_sel:DWORD dst_unused:UNUSED_PAD src0_sel:WORD_1 src1_sel:DWORD
	v_pk_fma_f16 v12, v6, v1, v9
	v_pk_fma_f16 v13, v6, v5, v0
	v_pk_fma_f16 v14, v7, v1, v2
	ds_read_b128 v[0:3], v37 offset:21728
	v_add_u32_e32 v16, 0x3800, v47
	ds_read2_b64 v[8:11], v16 offset1:32
	v_pk_fma_f16 v15, v7, v5, v4
	ds_read_b128 v[4:7], v37 offset:21744
	s_waitcnt lgkmcnt(2)
	v_mul_u32_u24_sdwa v17, v0, s2 dst_sel:DWORD dst_unused:UNUSED_PAD src0_sel:WORD_0 src1_sel:DWORD
	v_mul_u32_u24_sdwa v0, v0, s2 dst_sel:DWORD dst_unused:UNUSED_PAD src0_sel:WORD_1 src1_sel:DWORD
	s_waitcnt lgkmcnt(1)
	v_pk_fma_f16 v12, v8, v17, v12
	v_pk_fma_f16 v8, v8, v0, v13
	v_pk_fma_f16 v17, v9, v17, v14
	v_pk_fma_f16 v0, v9, v0, v15
	v_mul_u32_u24_sdwa v9, v1, s2 dst_sel:DWORD dst_unused:UNUSED_PAD src0_sel:WORD_0 src1_sel:DWORD
	v_pk_fma_f16 v18, v10, v9, v12
	ds_read2_b64 v[12:15], v16 offset0:64 offset1:96
	v_mul_u32_u24_sdwa v1, v1, s2 dst_sel:DWORD dst_unused:UNUSED_PAD src0_sel:WORD_1 src1_sel:DWORD
	v_pk_fma_f16 v8, v10, v1, v8
	v_pk_fma_f16 v9, v11, v9, v17
	v_pk_fma_f16 v0, v11, v1, v0
	v_mul_u32_u24_sdwa v1, v2, s2 dst_sel:DWORD dst_unused:UNUSED_PAD src0_sel:WORD_0 src1_sel:DWORD
	v_mul_u32_u24_sdwa v2, v2, s2 dst_sel:DWORD dst_unused:UNUSED_PAD src0_sel:WORD_1 src1_sel:DWORD
	s_waitcnt lgkmcnt(0)
	v_pk_fma_f16 v10, v12, v1, v18
	v_pk_fma_f16 v8, v12, v2, v8
	v_pk_fma_f16 v9, v13, v1, v9
	v_pk_fma_f16 v11, v13, v2, v0
	v_mul_u32_u24_sdwa v12, v3, s2 dst_sel:DWORD dst_unused:UNUSED_PAD src0_sel:WORD_0 src1_sel:DWORD
	v_mul_u32_u24_sdwa v13, v3, s2 dst_sel:DWORD dst_unused:UNUSED_PAD src0_sel:WORD_1 src1_sel:DWORD
	ds_read2_b64 v[0:3], v16 offset0:128 offset1:160
	v_pk_fma_f16 v10, v14, v12, v10
	v_pk_fma_f16 v8, v14, v13, v8
	v_pk_fma_f16 v9, v15, v12, v9
	v_pk_fma_f16 v11, v15, v13, v11
	v_mul_u32_u24_sdwa v12, v4, s2 dst_sel:DWORD dst_unused:UNUSED_PAD src0_sel:WORD_0 src1_sel:DWORD
	v_mul_u32_u24_sdwa v4, v4, s2 dst_sel:DWORD dst_unused:UNUSED_PAD src0_sel:WORD_1 src1_sel:DWORD
	s_waitcnt lgkmcnt(0)
	v_pk_fma_f16 v10, v0, v12, v10
	v_pk_fma_f16 v0, v0, v4, v8
	v_pk_fma_f16 v12, v1, v12, v9
	v_pk_fma_f16 v1, v1, v4, v11
	v_mul_u32_u24_sdwa v4, v5, s2 dst_sel:DWORD dst_unused:UNUSED_PAD src0_sel:WORD_0 src1_sel:DWORD
	v_pk_fma_f16 v13, v2, v4, v10
	ds_read2_b64 v[8:11], v16 offset0:192 offset1:224
	v_mul_u32_u24_sdwa v5, v5, s2 dst_sel:DWORD dst_unused:UNUSED_PAD src0_sel:WORD_1 src1_sel:DWORD
	v_pk_fma_f16 v0, v2, v5, v0
	v_pk_fma_f16 v2, v3, v4, v12
	v_pk_fma_f16 v1, v3, v5, v1
	v_mul_u32_u24_sdwa v3, v6, s2 dst_sel:DWORD dst_unused:UNUSED_PAD src0_sel:WORD_0 src1_sel:DWORD
	v_mul_u32_u24_sdwa v4, v6, s2 dst_sel:DWORD dst_unused:UNUSED_PAD src0_sel:WORD_1 src1_sel:DWORD
	s_waitcnt lgkmcnt(0)
	v_pk_fma_f16 v5, v8, v3, v13
	v_pk_fma_f16 v0, v8, v4, v0
	v_pk_fma_f16 v2, v9, v3, v2
	v_pk_fma_f16 v1, v9, v4, v1
	v_mul_u32_u24_sdwa v3, v7, s2 dst_sel:DWORD dst_unused:UNUSED_PAD src0_sel:WORD_0 src1_sel:DWORD
	v_mul_u32_u24_sdwa v4, v7, s2 dst_sel:DWORD dst_unused:UNUSED_PAD src0_sel:WORD_1 src1_sel:DWORD
	v_pk_fma_f16 v29, v10, v3, v5
	v_pk_fma_f16 v28, v10, v4, v0
	v_pk_fma_f16 v27, v11, v3, v2
	v_pk_fma_f16 v26, v11, v4, v1
	v_mov_b64_e32 v[6:7], v[38:39]
	v_mov_b64_e32 v[4:5], v[40:41]
	s_barrier
.LBB88_77:
	v_cmp_lt_i32_e32 vcc, v50, v49
	s_cmp_eq_u64 s[20:21], 0
	s_cselect_b64 s[4:5], -1, 0
	v_cndmask_b32_e32 v0, v48, v50, vcc
	v_lshlrev_b32_e32 v1, 2, v0
	ds_bpermute_b32 v0, v1, v4
	ds_bpermute_b32 v1, v1, v5
	v_cmp_lt_i32_e32 vcc, v51, v49
	s_cmp_lg_u32 s3, 0
	s_cselect_b64 s[6:7], -1, 0
	v_cndmask_b32_e32 v2, v48, v51, vcc
	v_lshlrev_b32_e32 v3, 2, v2
	s_waitcnt lgkmcnt(0)
	v_pk_add_f32 v[0:1], v[4:5], v[0:1]
	ds_bpermute_b32 v2, v3, v0
	ds_bpermute_b32 v3, v3, v1
	v_cmp_lt_i32_e32 vcc, v52, v49
	s_or_b64 s[4:5], s[6:7], s[4:5]
	s_waitcnt lgkmcnt(0)
	v_pk_add_f32 v[0:1], v[0:1], v[2:3]
	v_cndmask_b32_e32 v4, v48, v52, vcc
	v_lshlrev_b32_e32 v4, 2, v4
	ds_bpermute_b32 v2, v4, v0
	ds_bpermute_b32 v3, v4, v1
	v_cmp_lt_i32_e32 vcc, v53, v49
	s_waitcnt lgkmcnt(0)
	v_pk_add_f32 v[0:1], v[0:1], v[2:3]
	v_cndmask_b32_e32 v4, v48, v53, vcc
	v_lshlrev_b32_e32 v4, 2, v4
	ds_bpermute_b32 v2, v4, v0
	ds_bpermute_b32 v3, v4, v1
	v_cmp_lt_i32_e32 vcc, v54, v49
	s_waitcnt lgkmcnt(0)
	v_pk_add_f32 v[0:1], v[0:1], v[2:3]
	v_cndmask_b32_e32 v4, v48, v54, vcc
	v_lshlrev_b32_e32 v4, 2, v4
	ds_bpermute_b32 v2, v4, v0
	ds_bpermute_b32 v3, v4, v1
	s_and_b64 vcc, exec, s[4:5]
	s_waitcnt lgkmcnt(0)
	v_pk_add_f32 v[0:1], v[0:1], v[2:3]
	s_cbranch_vccnz .LBB88_79
; %bb.78:
	s_lshl_b64 s[4:5], s[34:35], 2
	s_add_u32 s4, s20, s4
	s_addc_u32 s5, s21, s5
	v_mov_b32_e32 v2, 0
	global_load_dword v4, v2, s[4:5]
	v_max_f32_e32 v2, v6, v6
	v_max_f32_e32 v3, v7, v7
	s_mov_b32 s2, 0x3fb8aa3b
	s_mov_b32 s4, 0xc2ce8ed0
	;; [unrolled: 1-line block ×3, first 2 shown]
	v_mov_b32_e32 v8, 0x7f800000
	s_waitcnt vmcnt(0)
	v_max_f32_e32 v5, v4, v4
	v_max_f32_e32 v2, v2, v5
	v_max_f32_e32 v3, v3, v5
	v_sub_f32_e32 v5, v6, v2
	v_sub_f32_e32 v6, v4, v2
	;; [unrolled: 1-line block ×3, first 2 shown]
	v_mul_f32_e32 v4, 0x3fb8aa3b, v5
	v_sub_f32_e32 v7, v7, v3
	v_mul_f32_e32 v10, 0x3fb8aa3b, v6
	v_fma_f32 v13, v5, s2, -v4
	v_rndne_f32_e32 v14, v4
	v_mul_f32_e32 v11, 0x3fb8aa3b, v7
	v_fma_f32 v15, v6, s2, -v10
	v_rndne_f32_e32 v16, v10
	v_fmac_f32_e32 v13, 0x32a5705f, v5
	v_sub_f32_e32 v4, v4, v14
	v_mul_f32_e32 v12, 0x3fb8aa3b, v9
	v_fma_f32 v17, v7, s2, -v11
	v_rndne_f32_e32 v18, v11
	v_fmac_f32_e32 v15, 0x32a5705f, v6
	v_sub_f32_e32 v10, v10, v16
	v_add_f32_e32 v4, v4, v13
	v_fma_f32 v19, v9, s2, -v12
	v_rndne_f32_e32 v20, v12
	v_cvt_i32_f32_e32 v14, v14
	v_fmac_f32_e32 v17, 0x32a5705f, v7
	v_sub_f32_e32 v11, v11, v18
	v_add_f32_e32 v10, v10, v15
	v_exp_f32_e32 v4, v4
	v_cvt_i32_f32_e32 v16, v16
	v_fmac_f32_e32 v19, 0x32a5705f, v9
	v_sub_f32_e32 v12, v12, v20
	v_add_f32_e32 v11, v11, v17
	v_exp_f32_e32 v10, v10
	v_cvt_i32_f32_e32 v18, v18
	v_add_f32_e32 v12, v12, v19
	v_exp_f32_e32 v11, v11
	v_cvt_i32_f32_e32 v20, v20
	v_exp_f32_e32 v12, v12
	v_ldexp_f32 v4, v4, v14
	v_cmp_ngt_f32_e32 vcc, s4, v5
	v_ldexp_f32 v10, v10, v16
	v_ldexp_f32 v11, v11, v18
	v_cndmask_b32_e32 v4, 0, v4, vcc
	v_cmp_ngt_f32_e32 vcc, s4, v6
	v_ldexp_f32 v12, v12, v20
	s_nop 0
	v_cndmask_b32_e32 v10, 0, v10, vcc
	v_cmp_ngt_f32_e32 vcc, s4, v7
	s_nop 1
	v_cndmask_b32_e32 v11, 0, v11, vcc
	v_cmp_ngt_f32_e32 vcc, s4, v9
	s_nop 1
	v_cndmask_b32_e32 v12, 0, v12, vcc
	v_cmp_nlt_f32_e32 vcc, s5, v5
	s_nop 1
	v_cndmask_b32_e32 v4, v8, v4, vcc
	v_cmp_nlt_f32_e32 vcc, s5, v6
	;; [unrolled: 3-line block ×3, first 2 shown]
	v_cvt_f16_f32_e32 v10, v4
	s_nop 0
	v_cndmask_b32_e32 v5, v8, v11, vcc
	v_cvt_f16_f32_e32 v11, v5
	v_cmp_nlt_f32_e32 vcc, s5, v9
	s_nop 1
	v_cndmask_b32_e32 v7, v8, v12, vcc
	v_pk_fma_f32 v[0:1], v[0:1], v[4:5], v[6:7]
	v_mul_u32_u24_e32 v4, 0x10001, v10
	v_mul_u32_u24_e32 v5, 0x10001, v11
	v_pk_mul_f16 v29, v29, v4
	v_pk_mul_f16 v27, v27, v4
	;; [unrolled: 1-line block ×4, first 2 shown]
	v_mov_b64_e32 v[6:7], v[2:3]
.LBB88_79:
	v_cmp_gt_i32_e32 vcc, s30, v46
	s_and_saveexec_b64 s[4:5], vcc
	s_cbranch_execz .LBB88_89
; %bb.80:
	s_load_dword s2, s[0:1], 0xd4
	v_mov_b32_e32 v2, 1.0
	s_waitcnt lgkmcnt(0)
	s_cmp_lg_u32 s2, 1
	s_cselect_b64 s[4:5], -1, 0
	s_cmp_eq_u32 s2, 1
	s_cselect_b64 s[0:1], -1, 0
	s_and_b64 vcc, exec, s[4:5]
	s_cbranch_vccnz .LBB88_82
; %bb.81:
	v_div_scale_f32 v2, s[6:7], v0, v0, 1.0
	v_rcp_f32_e32 v3, v2
	v_div_scale_f32 v4, vcc, 1.0, v0, 1.0
	v_fma_f32 v5, -v2, v3, 1.0
	v_fmac_f32_e32 v3, v5, v3
	v_mul_f32_e32 v5, v4, v3
	v_fma_f32 v8, -v2, v5, v4
	v_fmac_f32_e32 v5, v8, v3
	v_fma_f32 v2, -v2, v5, v4
	v_div_fmas_f32 v2, v2, v3, v5
	v_div_fixup_f32 v2, v2, v0, 1.0
.LBB88_82:
	s_mul_i32 s8, s33, s30
	s_add_i32 s8, s8, s18
	v_add_u32_e32 v3, s8, v44
	v_mul_lo_u32 v3, v3, s31
	v_add_u32_e32 v3, s34, v3
	v_cvt_f32_f16_sdwa v11, v29 dst_sel:DWORD dst_unused:UNUSED_PAD src0_sel:WORD_1
	v_cvt_f32_f16_e32 v10, v29
	v_cvt_f32_f16_sdwa v13, v27 dst_sel:DWORD dst_unused:UNUSED_PAD src0_sel:WORD_1
	v_cvt_f32_f16_e32 v12, v27
	v_mul_lo_u32 v3, s2, v3
	v_add_u32_e32 v4, s3, v3
	v_cmp_eq_u32_e32 vcc, 0, v36
	v_lshl_add_u32 v8, v4, 7, v45
	v_mov_b32_e32 v9, 0
	v_lshl_add_u64 v[14:15], v[8:9], 2, s[24:25]
	v_pk_mul_f32 v[8:9], v[2:3], v[10:11] op_sel_hi:[0,1]
	v_pk_mul_f32 v[10:11], v[2:3], v[12:13] op_sel_hi:[0,1]
	s_and_b64 s[4:5], vcc, s[4:5]
	global_store_dwordx4 v[14:15], v[8:11], off
	s_and_saveexec_b64 s[6:7], s[4:5]
	s_cbranch_execz .LBB88_84
; %bb.83:
	v_ashrrev_i32_e32 v5, 31, v4
	v_lshl_add_u64 v[2:3], v[4:5], 3, s[26:27]
	v_mov_b32_e32 v4, v6
	v_mov_b32_e32 v5, v0
	global_store_dwordx2 v[2:3], v[4:5], off
.LBB88_84:
	s_or_b64 exec, exec, s[6:7]
	v_cmp_gt_i32_e32 vcc, s30, v43
	s_and_b64 exec, exec, vcc
	s_cbranch_execz .LBB88_89
; %bb.85:
	s_andn2_b64 vcc, exec, s[0:1]
	v_mov_b32_e32 v0, 1.0
	s_cbranch_vccnz .LBB88_87
; %bb.86:
	v_div_scale_f32 v0, s[0:1], v1, v1, 1.0
	v_rcp_f32_e32 v2, v0
	v_div_scale_f32 v3, vcc, 1.0, v1, 1.0
	v_fma_f32 v4, -v0, v2, 1.0
	v_fmac_f32_e32 v2, v4, v2
	v_mul_f32_e32 v4, v3, v2
	v_fma_f32 v5, -v0, v4, v3
	v_fmac_f32_e32 v4, v5, v2
	v_fma_f32 v0, -v0, v4, v3
	v_div_fmas_f32 v0, v0, v2, v4
	v_div_fixup_f32 v0, v0, v1, 1.0
.LBB88_87:
	v_add_u32_e32 v2, s8, v42
	v_mul_lo_u32 v2, v2, s31
	v_add_u32_e32 v2, s34, v2
	v_cvt_f32_f16_sdwa v9, v28 dst_sel:DWORD dst_unused:UNUSED_PAD src0_sel:WORD_1
	v_cvt_f32_f16_e32 v8, v28
	v_cvt_f32_f16_sdwa v11, v26 dst_sel:DWORD dst_unused:UNUSED_PAD src0_sel:WORD_1
	v_cvt_f32_f16_e32 v10, v26
	v_mul_lo_u32 v2, s2, v2
	v_add_u32_e32 v2, s3, v2
	v_lshl_add_u32 v4, v2, 7, v45
	v_mov_b32_e32 v5, 0
	v_lshl_add_u64 v[4:5], v[4:5], 2, s[24:25]
	v_pk_mul_f32 v[8:9], v[0:1], v[8:9] op_sel_hi:[0,1]
	v_pk_mul_f32 v[10:11], v[0:1], v[10:11] op_sel_hi:[0,1]
	global_store_dwordx4 v[4:5], v[8:11], off
	s_and_b64 exec, exec, s[4:5]
	s_cbranch_execz .LBB88_89
; %bb.88:
	v_ashrrev_i32_e32 v3, 31, v2
	v_lshl_add_u64 v[2:3], v[2:3], 3, s[26:27]
	v_mov_b32_e32 v0, v7
	global_store_dwordx2 v[2:3], v[0:1], off
.LBB88_89:
	s_endpgm
	.section	.rodata,"a",@progbits
	.p2align	6, 0x0
	.amdhsa_kernel _ZL15flash_attn_tileILi128ELi128ELi16ELi1ELb1EEvPKcS1_S1_S1_S1_PKiPfP15HIP_vector_typeIfLj2EEffffjfiS5_IjLj3EEiiiiiiiiiiiliiliiiiil
		.amdhsa_group_segment_fixed_size 23552
		.amdhsa_private_segment_fixed_size 32
		.amdhsa_kernarg_size 464
		.amdhsa_user_sgpr_count 2
		.amdhsa_user_sgpr_dispatch_ptr 0
		.amdhsa_user_sgpr_queue_ptr 0
		.amdhsa_user_sgpr_kernarg_segment_ptr 1
		.amdhsa_user_sgpr_dispatch_id 0
		.amdhsa_user_sgpr_kernarg_preload_length 0
		.amdhsa_user_sgpr_kernarg_preload_offset 0
		.amdhsa_user_sgpr_private_segment_size 0
		.amdhsa_uses_dynamic_stack 0
		.amdhsa_enable_private_segment 1
		.amdhsa_system_sgpr_workgroup_id_x 1
		.amdhsa_system_sgpr_workgroup_id_y 1
		.amdhsa_system_sgpr_workgroup_id_z 1
		.amdhsa_system_sgpr_workgroup_info 0
		.amdhsa_system_vgpr_workitem_id 1
		.amdhsa_next_free_vgpr 108
		.amdhsa_next_free_sgpr 91
		.amdhsa_accum_offset 108
		.amdhsa_reserve_vcc 1
		.amdhsa_float_round_mode_32 0
		.amdhsa_float_round_mode_16_64 0
		.amdhsa_float_denorm_mode_32 3
		.amdhsa_float_denorm_mode_16_64 3
		.amdhsa_dx10_clamp 1
		.amdhsa_ieee_mode 1
		.amdhsa_fp16_overflow 0
		.amdhsa_tg_split 0
		.amdhsa_exception_fp_ieee_invalid_op 0
		.amdhsa_exception_fp_denorm_src 0
		.amdhsa_exception_fp_ieee_div_zero 0
		.amdhsa_exception_fp_ieee_overflow 0
		.amdhsa_exception_fp_ieee_underflow 0
		.amdhsa_exception_fp_ieee_inexact 0
		.amdhsa_exception_int_div_zero 0
	.end_amdhsa_kernel
	.section	.text._ZL15flash_attn_tileILi128ELi128ELi16ELi1ELb1EEvPKcS1_S1_S1_S1_PKiPfP15HIP_vector_typeIfLj2EEffffjfiS5_IjLj3EEiiiiiiiiiiiliiliiiiil,"axG",@progbits,_ZL15flash_attn_tileILi128ELi128ELi16ELi1ELb1EEvPKcS1_S1_S1_S1_PKiPfP15HIP_vector_typeIfLj2EEffffjfiS5_IjLj3EEiiiiiiiiiiiliiliiiiil,comdat
.Lfunc_end88:
	.size	_ZL15flash_attn_tileILi128ELi128ELi16ELi1ELb1EEvPKcS1_S1_S1_S1_PKiPfP15HIP_vector_typeIfLj2EEffffjfiS5_IjLj3EEiiiiiiiiiiiliiliiiiil, .Lfunc_end88-_ZL15flash_attn_tileILi128ELi128ELi16ELi1ELb1EEvPKcS1_S1_S1_S1_PKiPfP15HIP_vector_typeIfLj2EEffffjfiS5_IjLj3EEiiiiiiiiiiiliiliiiiil
                                        ; -- End function
	.set _ZL15flash_attn_tileILi128ELi128ELi16ELi1ELb1EEvPKcS1_S1_S1_S1_PKiPfP15HIP_vector_typeIfLj2EEffffjfiS5_IjLj3EEiiiiiiiiiiiliiliiiiil.num_vgpr, 108
	.set _ZL15flash_attn_tileILi128ELi128ELi16ELi1ELb1EEvPKcS1_S1_S1_S1_PKiPfP15HIP_vector_typeIfLj2EEffffjfiS5_IjLj3EEiiiiiiiiiiiliiliiiiil.num_agpr, 0
	.set _ZL15flash_attn_tileILi128ELi128ELi16ELi1ELb1EEvPKcS1_S1_S1_S1_PKiPfP15HIP_vector_typeIfLj2EEffffjfiS5_IjLj3EEiiiiiiiiiiiliiliiiiil.numbered_sgpr, 48
	.set _ZL15flash_attn_tileILi128ELi128ELi16ELi1ELb1EEvPKcS1_S1_S1_S1_PKiPfP15HIP_vector_typeIfLj2EEffffjfiS5_IjLj3EEiiiiiiiiiiiliiliiiiil.num_named_barrier, 0
	.set _ZL15flash_attn_tileILi128ELi128ELi16ELi1ELb1EEvPKcS1_S1_S1_S1_PKiPfP15HIP_vector_typeIfLj2EEffffjfiS5_IjLj3EEiiiiiiiiiiiliiliiiiil.private_seg_size, 32
	.set _ZL15flash_attn_tileILi128ELi128ELi16ELi1ELb1EEvPKcS1_S1_S1_S1_PKiPfP15HIP_vector_typeIfLj2EEffffjfiS5_IjLj3EEiiiiiiiiiiiliiliiiiil.uses_vcc, 1
	.set _ZL15flash_attn_tileILi128ELi128ELi16ELi1ELb1EEvPKcS1_S1_S1_S1_PKiPfP15HIP_vector_typeIfLj2EEffffjfiS5_IjLj3EEiiiiiiiiiiiliiliiiiil.uses_flat_scratch, 0
	.set _ZL15flash_attn_tileILi128ELi128ELi16ELi1ELb1EEvPKcS1_S1_S1_S1_PKiPfP15HIP_vector_typeIfLj2EEffffjfiS5_IjLj3EEiiiiiiiiiiiliiliiiiil.has_dyn_sized_stack, 0
	.set _ZL15flash_attn_tileILi128ELi128ELi16ELi1ELb1EEvPKcS1_S1_S1_S1_PKiPfP15HIP_vector_typeIfLj2EEffffjfiS5_IjLj3EEiiiiiiiiiiiliiliiiiil.has_recursion, 0
	.set _ZL15flash_attn_tileILi128ELi128ELi16ELi1ELb1EEvPKcS1_S1_S1_S1_PKiPfP15HIP_vector_typeIfLj2EEffffjfiS5_IjLj3EEiiiiiiiiiiiliiliiiiil.has_indirect_call, 0
	.section	.AMDGPU.csdata,"",@progbits
; Kernel info:
; codeLenInByte = 28012
; TotalNumSgprs: 54
; NumVgprs: 108
; NumAgprs: 0
; TotalNumVgprs: 108
; ScratchSize: 32
; MemoryBound: 0
; FloatMode: 240
; IeeeMode: 1
; LDSByteSize: 23552 bytes/workgroup (compile time only)
; SGPRBlocks: 12
; VGPRBlocks: 13
; NumSGPRsForWavesPerEU: 97
; NumVGPRsForWavesPerEU: 108
; AccumOffset: 108
; Occupancy: 4
; WaveLimiterHint : 1
; COMPUTE_PGM_RSRC2:SCRATCH_EN: 1
; COMPUTE_PGM_RSRC2:USER_SGPR: 2
; COMPUTE_PGM_RSRC2:TRAP_HANDLER: 0
; COMPUTE_PGM_RSRC2:TGID_X_EN: 1
; COMPUTE_PGM_RSRC2:TGID_Y_EN: 1
; COMPUTE_PGM_RSRC2:TGID_Z_EN: 1
; COMPUTE_PGM_RSRC2:TIDIG_COMP_CNT: 1
; COMPUTE_PGM_RSRC3_GFX90A:ACCUM_OFFSET: 26
; COMPUTE_PGM_RSRC3_GFX90A:TG_SPLIT: 0
	.section	.text._ZL15flash_attn_tileILi128ELi128ELi8ELi1ELb1EEvPKcS1_S1_S1_S1_PKiPfP15HIP_vector_typeIfLj2EEffffjfiS5_IjLj3EEiiiiiiiiiiiliiliiiiil,"axG",@progbits,_ZL15flash_attn_tileILi128ELi128ELi8ELi1ELb1EEvPKcS1_S1_S1_S1_PKiPfP15HIP_vector_typeIfLj2EEffffjfiS5_IjLj3EEiiiiiiiiiiiliiliiiiil,comdat
	.globl	_ZL15flash_attn_tileILi128ELi128ELi8ELi1ELb1EEvPKcS1_S1_S1_S1_PKiPfP15HIP_vector_typeIfLj2EEffffjfiS5_IjLj3EEiiiiiiiiiiiliiliiiiil ; -- Begin function _ZL15flash_attn_tileILi128ELi128ELi8ELi1ELb1EEvPKcS1_S1_S1_S1_PKiPfP15HIP_vector_typeIfLj2EEffffjfiS5_IjLj3EEiiiiiiiiiiiliiliiiiil
	.p2align	8
	.type	_ZL15flash_attn_tileILi128ELi128ELi8ELi1ELb1EEvPKcS1_S1_S1_S1_PKiPfP15HIP_vector_typeIfLj2EEffffjfiS5_IjLj3EEiiiiiiiiiiiliiliiiiil,@function
_ZL15flash_attn_tileILi128ELi128ELi8ELi1ELb1EEvPKcS1_S1_S1_S1_PKiPfP15HIP_vector_typeIfLj2EEffffjfiS5_IjLj3EEiiiiiiiiiiiliiliiiiil: ; @_ZL15flash_attn_tileILi128ELi128ELi8ELi1ELb1EEvPKcS1_S1_S1_S1_PKiPfP15HIP_vector_typeIfLj2EEffffjfiS5_IjLj3EEiiiiiiiiiiiliiliiiiil
; %bb.0:
	s_load_dwordx4 s[24:27], s[0:1], 0x5c
	s_load_dwordx2 s[38:39], s[0:1], 0x80
	s_load_dwordx2 s[40:41], s[0:1], 0xb8
	s_mov_b64 s[36:37], 0
	s_waitcnt lgkmcnt(0)
	v_cvt_f32_u32_e32 v1, s27
	s_sub_i32 s5, 0, s27
	v_rcp_iflag_f32_e32 v1, v1
	s_nop 0
	v_mul_f32_e32 v1, 0x4f7ffffe, v1
	v_cvt_u32_f32_e32 v1, v1
	s_nop 0
	v_readfirstlane_b32 s6, v1
	s_mul_i32 s5, s5, s6
	s_mul_hi_u32 s5, s6, s5
	s_add_i32 s6, s6, s5
	s_mul_hi_u32 s5, s4, s6
	s_mul_i32 s6, s5, s27
	s_sub_i32 s6, s4, s6
	s_add_i32 s7, s5, 1
	s_sub_i32 s8, s6, s27
	s_cmp_ge_u32 s6, s27
	s_cselect_b32 s5, s7, s5
	s_cselect_b32 s6, s8, s6
	s_add_i32 s7, s5, 1
	s_cmp_ge_u32 s6, s27
	s_cselect_b32 s33, s7, s5
	s_abs_i32 s5, s39
	v_cvt_f32_u32_e32 v1, s5
	s_mul_i32 s8, s33, s27
	s_sub_i32 s9, 0, s5
	s_sub_i32 s34, s4, s8
	v_rcp_iflag_f32_e32 v1, v1
	s_abs_i32 s7, s27
	s_xor_b32 s6, s27, s39
	s_ashr_i32 s6, s6, 31
	v_mul_f32_e32 v1, 0x4f7ffffe, v1
	v_cvt_u32_f32_e32 v1, v1
	s_nop 0
	v_readfirstlane_b32 s4, v1
	s_mul_i32 s9, s9, s4
	s_mul_hi_u32 s8, s4, s9
	s_add_i32 s4, s4, s8
	s_mul_hi_u32 s4, s7, s4
	s_mul_i32 s8, s4, s5
	s_sub_i32 s7, s7, s8
	s_add_i32 s9, s4, 1
	s_sub_i32 s8, s7, s5
	s_cmp_ge_u32 s7, s5
	s_cselect_b32 s4, s9, s4
	s_cselect_b32 s7, s8, s7
	s_add_i32 s8, s4, 1
	s_cmp_ge_u32 s7, s5
	s_cselect_b32 s4, s8, s4
	s_xor_b32 s4, s4, s6
	s_sub_i32 s43, s4, s6
	s_abs_i32 s39, s43
	v_cvt_f32_u32_e32 v1, s39
	s_load_dwordx16 s[8:23], s[0:1], 0x0
	s_sub_i32 s4, 0, s39
	s_abs_i32 s42, s34
	v_rcp_iflag_f32_e32 v1, v1
	s_nop 0
	v_mul_f32_e32 v1, 0x4f7ffffe, v1
	v_cvt_u32_f32_e32 v1, v1
	s_nop 0
	v_readfirstlane_b32 s5, v1
	s_mul_i32 s4, s4, s5
	s_mul_hi_u32 s4, s5, s4
	s_add_i32 s4, s5, s4
	s_waitcnt lgkmcnt(0)
	s_cmp_eq_u64 s[14:15], 0
	s_cbranch_scc1 .LBB89_2
; %bb.1:
	s_abs_i32 s5, s40
	v_cvt_f32_u32_e32 v1, s5
	s_sub_i32 s30, 0, s5
	s_abs_i32 s29, s33
	s_ashr_i32 s28, s33, 31
	v_rcp_iflag_f32_e32 v1, v1
	s_load_dwordx2 s[6:7], s[0:1], 0xc8
	v_mul_f32_e32 v1, 0x4f7ffffe, v1
	v_cvt_u32_f32_e32 v1, v1
	s_nop 0
	v_readfirstlane_b32 s31, v1
	s_mul_i32 s30, s30, s31
	s_mul_hi_u32 s30, s31, s30
	s_add_i32 s31, s31, s30
	s_mul_hi_u32 s30, s29, s31
	s_mul_i32 s30, s30, s5
	s_sub_i32 s29, s29, s30
	s_sub_i32 s30, s29, s5
	s_cmp_ge_u32 s29, s5
	s_cselect_b32 s29, s30, s29
	s_sub_i32 s30, s29, s5
	s_cmp_ge_u32 s29, s5
	s_cselect_b32 s5, s30, s29
	s_xor_b32 s5, s5, s28
	s_sub_i32 s5, s5, s28
	s_ashr_i32 s28, s5, 31
	s_waitcnt lgkmcnt(0)
	s_mul_hi_u32 s29, s6, s5
	s_mul_i32 s28, s6, s28
	s_mul_i32 s7, s7, s5
	s_add_i32 s28, s29, s28
	s_add_i32 s28, s28, s7
	s_mul_i32 s5, s6, s5
	s_add_u32 s36, s14, s5
	s_addc_u32 s37, s15, s28
.LBB89_2:
	s_load_dwordx4 s[28:31], s[0:1], 0x40
	s_load_dwordx2 s[14:15], s[0:1], 0x50
	s_mul_hi_u32 s40, s42, s4
	v_mov_b32_e32 v31, 1.0
	s_waitcnt lgkmcnt(0)
	v_cmp_le_f32_e64 s[4:5], s29, 0
	s_and_b64 vcc, exec, s[4:5]
	s_cbranch_vccnz .LBB89_4
; %bb.3:
	v_mov_b32_e32 v1, s14
	v_sub_co_u32_e32 v1, vcc, s34, v1
	v_mov_b32_e32 v2, s31
	v_mov_b32_e32 v3, s30
	s_add_i32 s4, s34, 1
	v_lshlrev_b32_e32 v1, 1, v1
	v_cndmask_b32_e32 v2, v2, v3, vcc
	v_or_b32_e32 v1, 1, v1
	v_mov_b32_e32 v3, s4
	v_cndmask_b32_e32 v1, v1, v3, vcc
	v_cvt_f32_i32_e32 v1, v1
	v_cmp_neq_f32_e32 vcc, 1.0, v2
	s_mov_b32 s4, 0x3f2aaaab
	s_movk_i32 s6, 0x204
	v_cndmask_b32_e32 v1, 1.0, v1, vcc
	v_cmp_neq_f32_e32 vcc, 0, v1
	s_mov_b32 s5, 0x42b17218
	s_mov_b32 s7, 0x3fb8aa3b
	v_cndmask_b32_e32 v18, 1.0, v2, vcc
	v_frexp_mant_f32_e64 v2, |v18|
	v_cmp_gt_f32_e32 vcc, s4, v2
	s_mov_b32 s4, 0x3f317218
	s_brev_b32 s14, -2
	v_cndmask_b32_e64 v3, 1.0, 2.0, vcc
	v_mul_f32_e32 v2, v2, v3
	v_add_f32_e32 v5, 1.0, v2
	v_rcp_f32_e32 v10, v5
	v_add_f32_e32 v3, -1.0, v5
	v_sub_f32_e32 v7, v2, v3
	v_add_f32_e32 v3, -1.0, v2
	v_mul_f32_e32 v11, v3, v10
	v_mul_f32_e32 v4, v5, v11
	v_fma_f32 v6, v11, v5, -v4
	v_fmac_f32_e32 v6, v11, v7
	v_add_f32_e32 v2, v4, v6
	v_sub_f32_e32 v5, v3, v2
	v_pk_add_f32 v[8:9], v[2:3], v[4:5] neg_lo:[0,1] neg_hi:[0,1]
	v_mov_b32_e32 v7, v2
	v_pk_add_f32 v[2:3], v[8:9], v[6:7] neg_lo:[0,1] neg_hi:[0,1]
	v_mov_b32_e32 v6, 0x3e91f4c4
	v_add_f32_e32 v2, v2, v3
	v_add_f32_e32 v2, v5, v2
	v_mul_f32_e32 v3, v10, v2
	v_add_f32_e32 v2, v11, v3
	v_sub_f32_e32 v4, v2, v11
	v_sub_f32_e32 v12, v3, v4
	v_mul_f32_e32 v3, v2, v2
	v_fma_f32 v5, v2, v2, -v3
	v_add_f32_e32 v4, v12, v12
	v_fmac_f32_e32 v5, v2, v4
	v_add_f32_e32 v4, v3, v5
	v_fmac_f32_e32 v6, 0x3e76c4e1, v4
	v_fmaak_f32 v6, v4, v6, 0x3ecccdef
	v_sub_f32_e32 v3, v4, v3
	v_sub_f32_e32 v13, v5, v3
	v_mul_f32_e32 v3, v4, v6
	v_fma_f32 v5, v4, v6, -v3
	v_fmac_f32_e32 v5, v13, v6
	v_add_f32_e32 v6, v3, v5
	v_add_f32_e32 v7, 0x3f2aaaaa, v6
	v_sub_f32_e32 v3, v6, v3
	v_sub_f32_e32 v3, v5, v3
	v_add_f32_e32 v5, 0xbf2aaaaa, v7
	v_add_f32_e32 v3, 0x31739010, v3
	v_sub_f32_e32 v5, v6, v5
	v_pk_mul_f32 v[8:9], v[2:3], v[4:5]
	v_pk_add_f32 v[10:11], v[2:3], v[4:5]
	v_fma_f32 v6, v4, v2, -v8
	v_fmac_f32_e32 v6, v4, v12
	v_mov_b32_e32 v9, v11
	v_fmac_f32_e32 v6, v13, v2
	v_pk_add_f32 v[4:5], v[8:9], v[6:7]
	v_ldexp_f32 v14, v12, 1
	v_sub_f32_e32 v3, v4, v8
	v_sub_f32_e32 v3, v6, v3
	;; [unrolled: 1-line block ×3, first 2 shown]
	v_add_f32_e32 v9, v11, v6
	v_pk_mul_f32 v[6:7], v[4:5], v[4:5] op_sel:[0,1] op_sel_hi:[1,0]
	v_cvt_f64_f32_e64 v[10:11], |v18|
	v_frexp_exp_i32_f64_e32 v7, v[10:11]
	v_subbrev_co_u32_e32 v7, vcc, 0, v7, vcc
	v_cvt_f32_i32_e32 v7, v7
	v_fma_f32 v8, v4, v5, -v6
	v_fmac_f32_e32 v8, v4, v9
	v_fmac_f32_e32 v8, v3, v5
	v_mul_f32_e32 v4, 0x3f317218, v7
	v_fma_f32 v3, v7, s4, -v4
	v_fmamk_f32 v10, v7, 0xb102e308, v3
	v_ldexp_f32 v11, v2, 1
	v_add_f32_e32 v5, v6, v8
	v_pk_add_f32 v[2:3], v[4:5], v[10:11]
	v_mov_b32_e32 v12, v5
	v_mov_b32_e32 v13, v3
	;; [unrolled: 1-line block ×3, first 2 shown]
	v_pk_add_f32 v[6:7], v[12:13], v[6:7] neg_lo:[0,1] neg_hi:[0,1]
	v_mov_b32_e32 v9, v5
	v_pk_add_f32 v[6:7], v[8:9], v[6:7] neg_lo:[0,1] neg_hi:[0,1]
	v_mov_b32_e32 v11, v2
	v_add_f32_e32 v5, v14, v6
	v_add_f32_e32 v5, v5, v7
	v_pk_add_f32 v[6:7], v[2:3], v[4:5] neg_lo:[0,1] neg_hi:[0,1]
	v_pk_add_f32 v[8:9], v[2:3], v[4:5]
	v_mov_b32_e32 v16, v3
	v_mov_b32_e32 v7, v9
	v_pk_add_f32 v[12:13], v[10:11], v[6:7] neg_lo:[0,1] neg_hi:[0,1]
	v_pk_add_f32 v[6:7], v[10:11], v[6:7]
	v_mov_b32_e32 v4, v5
	v_pk_add_f32 v[10:11], v[6:7], v[2:3] op_sel:[1,0] op_sel_hi:[0,1] neg_lo:[0,1] neg_hi:[0,1]
	v_pk_add_f32 v[14:15], v[8:9], v[10:11] op_sel_hi:[1,0] neg_lo:[0,1] neg_hi:[0,1]
	v_mov_b32_e32 v8, v9
	v_mov_b32_e32 v9, v7
	;; [unrolled: 1-line block ×3, first 2 shown]
	v_pk_add_f32 v[8:9], v[8:9], v[16:17] neg_lo:[0,1] neg_hi:[0,1]
	v_mov_b32_e32 v5, v2
	v_pk_add_f32 v[2:3], v[4:5], v[8:9] neg_lo:[0,1] neg_hi:[0,1]
	v_mov_b32_e32 v14, v12
	v_pk_add_f32 v[4:5], v[14:15], v[2:3]
	v_mov_b32_e32 v13, v7
	v_pk_add_f32 v[8:9], v[4:5], v[4:5] op_sel:[0,1] op_sel_hi:[1,0]
	s_mov_b32 s4, 0x7f800000
	v_pk_add_f32 v[6:7], v[6:7], v[8:9] op_sel:[1,0] op_sel_hi:[0,1]
	v_mov_b32_e32 v5, v6
	v_pk_add_f32 v[10:11], v[4:5], v[12:13] neg_lo:[0,1] neg_hi:[0,1]
	v_mov_b32_e32 v3, v8
	v_sub_f32_e32 v4, v4, v10
	v_pk_add_f32 v[2:3], v[2:3], v[10:11] neg_lo:[0,1] neg_hi:[0,1]
	v_sub_f32_e32 v4, v12, v4
	v_add_f32_e32 v2, v2, v4
	v_add_f32_e32 v2, v2, v3
	;; [unrolled: 1-line block ×3, first 2 shown]
	v_sub_f32_e32 v4, v3, v6
	v_sub_f32_e32 v2, v2, v4
	v_mul_f32_e32 v4, v1, v3
	v_fma_f32 v3, v1, v3, -v4
	v_fmac_f32_e32 v3, v1, v2
	v_add_f32_e32 v2, v4, v3
	v_cmp_class_f32_e64 vcc, v4, s6
	v_sub_f32_e32 v5, v2, v4
	v_sub_f32_e32 v3, v3, v5
	v_cndmask_b32_e32 v2, v2, v4, vcc
	v_mov_b32_e32 v4, 0x37000000
	v_cmp_eq_f32_e32 vcc, s5, v2
	v_cmp_class_f32_e64 s[30:31], v18, s6
	s_nop 0
	v_cndmask_b32_e32 v4, 0, v4, vcc
	v_sub_f32_e32 v5, v2, v4
	v_mul_f32_e32 v6, 0x3fb8aa3b, v5
	v_fma_f32 v7, v5, s7, -v6
	v_rndne_f32_e32 v8, v6
	v_fmamk_f32 v7, v5, 0x32a5705f, v7
	v_sub_f32_e32 v6, v6, v8
	v_add_f32_e32 v6, v6, v7
	v_exp_f32_e32 v6, v6
	v_cvt_i32_f32_e32 v7, v8
	v_cmp_neq_f32_e64 vcc, |v2|, s4
	s_mov_b32 s4, 0xc2ce8ed0
	s_nop 0
	v_cndmask_b32_e32 v2, 0, v3, vcc
	v_ldexp_f32 v3, v6, v7
	v_cmp_ngt_f32_e32 vcc, s4, v5
	v_add_f32_e32 v2, v4, v2
	v_mov_b32_e32 v4, 0x7f800000
	v_cndmask_b32_e32 v3, 0, v3, vcc
	v_cmp_nlt_f32_e32 vcc, s5, v5
	v_mov_b32_e32 v5, 0x7fc00000
	s_nop 0
	v_cndmask_b32_e32 v3, v4, v3, vcc
	v_fma_f32 v2, v3, v2, v3
	v_cmp_class_f32_e64 vcc, v3, s6
	v_cmp_gt_f32_e64 s[6:7], 0, v1
	s_nop 0
	v_cndmask_b32_e32 v2, v2, v3, vcc
	v_trunc_f32_e32 v3, v1
	v_cmp_eq_f32_e32 vcc, v3, v1
	v_mul_f32_e32 v3, 0.5, v1
	v_trunc_f32_e32 v6, v3
	v_cmp_neq_f32_e64 s[4:5], v6, v3
	s_and_b64 s[4:5], vcc, s[4:5]
	s_nop 0
	v_cndmask_b32_e64 v3, 1.0, v18, s[4:5]
	v_bfi_b32 v2, s14, v2, v3
	v_cndmask_b32_e32 v3, v5, v2, vcc
	v_cmp_gt_f32_e32 vcc, 0, v18
	s_nop 1
	v_cndmask_b32_e32 v2, v2, v3, vcc
	v_cmp_eq_f32_e32 vcc, 0, v18
	s_xor_b64 s[6:7], s[6:7], vcc
	v_cndmask_b32_e64 v1, v4, 0, s[6:7]
	v_cndmask_b32_e64 v3, 0, v18, s[4:5]
	v_bfi_b32 v1, s14, v1, v3
	s_or_b64 vcc, vcc, s[30:31]
	v_cndmask_b32_e32 v1, v2, v1, vcc
	v_cmp_o_f32_e32 vcc, v18, v18
	s_nop 1
	v_cndmask_b32_e32 v31, v5, v1, vcc
.LBB89_4:
	s_load_dwordx4 s[44:47], s[0:1], 0x70
	v_bfe_u32 v30, v0, 10, 10
	s_ashr_i32 s35, s34, 31
	s_ashr_i32 s4, s43, 31
	v_lshl_add_u32 v26, s2, 3, v30
	s_waitcnt lgkmcnt(0)
	s_mul_i32 s5, s33, s46
	s_ashr_i32 s7, s5, 31
	s_mul_i32 s6, s34, s45
	s_add_u32 s5, s8, s5
	v_mul_hi_u32 v1, s24, v26
	s_addc_u32 s7, s9, s7
	s_ashr_i32 s8, s6, 31
	v_add_u32_e32 v1, v26, v1
	s_add_u32 s6, s5, s6
	v_lshrrev_b32_e32 v1, s25, v1
	s_addc_u32 s7, s7, s8
	v_mul_lo_u32 v1, v1, s26
	s_ashr_i32 s45, s44, 31
	v_sub_u32_e32 v1, v26, v1
	s_lshr_b64 s[8:9], s[44:45], 2
	v_mad_u64_u32 v[2:3], s[8:9], s8, v1, 0
	v_mov_b32_e32 v4, v3
	s_lshr_b32 s5, s45, 2
	v_mad_u64_u32 v[4:5], s[8:9], s5, v1, v[4:5]
	v_mov_b32_e32 v3, v4
	v_and_b32_e32 v4, 0x3ff, v0
	v_lshl_add_u64 v[2:3], v[2:3], 2, s[6:7]
	v_lshlrev_b32_e32 v6, 4, v4
	v_mov_b32_e32 v7, 0
	v_lshl_add_u64 v[2:3], v[2:3], 0, v[6:7]
	global_load_dwordx4 v[8:11], v[2:3], off
	v_mov_b32_e32 v0, 0x4400
	v_lshlrev_b32_e32 v28, 3, v4
	v_lshl_add_u32 v5, v30, 8, v0
	v_add_u32_e32 v0, v5, v28
	s_cmp_eq_u64 s[18:19], 0
	s_waitcnt vmcnt(0)
	v_fma_mixlo_f16 v2, s28, v8, 0
	v_fma_mixlo_f16 v3, s28, v10, 0
	v_mov_b32_e32 v8, v11
	v_and_b32_e32 v6, 0xffff, v2
	v_and_b32_e32 v10, 0xffff, v3
	v_pk_mul_f32 v[2:3], s[28:29], v[8:9] op_sel_hi:[0,1]
	v_cvt_pk_f16_f32 v2, v2, v3
	v_lshlrev_b32_e32 v3, 16, v2
	v_and_b32_e32 v2, 0xffff0000, v2
	v_or_b32_e32 v2, v2, v6
	v_or3_b32 v3, v3, v10, 0
	v_or3_b32 v2, 0, 0, v2
	ds_write_b64 v0, v[2:3]
	s_waitcnt lgkmcnt(0)
	s_barrier
	s_cbranch_scc1 .LBB89_6
; %bb.5:
	s_load_dword s5, s[0:1], 0xd0
	s_mov_b32 s7, 0
	s_waitcnt lgkmcnt(0)
	s_mul_i32 s5, s5, s33
	s_add_i32 s6, s5, s2
	s_lshl_b64 s[6:7], s[6:7], 2
	s_add_u32 s6, s18, s6
	s_addc_u32 s7, s19, s7
	s_load_dword s38, s[6:7], 0x0
.LBB89_6:
	s_nop 0
	s_load_dwordx2 s[6:7], s[0:1], 0x8c
	s_load_dwordx4 s[28:31], s[0:1], 0x98
	s_ashr_i32 s5, s33, 31
	s_ashr_i32 s14, s41, 1
	s_load_dwordx2 s[8:9], s[0:1], 0xa8
	s_waitcnt lgkmcnt(0)
	s_ashr_i32 s18, s6, 2
	s_mul_hi_u32 s6, s28, s33
	s_mul_i32 s19, s28, s5
	s_add_i32 s6, s6, s19
	s_mul_i32 s19, s29, s33
	s_ashr_i32 s2, s30, 2
	s_add_i32 s6, s6, s19
	s_mul_i32 s19, s28, s33
	s_add_u32 s10, s10, s19
	s_addc_u32 s6, s11, s6
	s_mul_i32 s11, s40, s39
	s_sub_i32 s11, s42, s11
	s_xor_b32 s4, s35, s4
	s_add_i32 s19, s40, 1
	s_sub_i32 s24, s11, s39
	s_cmp_ge_u32 s11, s39
	s_cselect_b32 s19, s19, s40
	s_cselect_b32 s11, s24, s11
	s_add_i32 s24, s19, 1
	s_cmp_ge_u32 s11, s39
	s_cselect_b32 s11, s24, s19
	s_xor_b32 s11, s11, s4
	s_sub_i32 s4, s11, s4
	s_mul_i32 s7, s4, s7
	s_ashr_i32 s11, s7, 31
	s_add_u32 s19, s10, s7
	s_addc_u32 s28, s6, s11
	s_mul_hi_u32 s6, s8, s33
	s_mul_i32 s5, s8, s5
	s_add_i32 s5, s6, s5
	s_mul_i32 s6, s9, s33
	s_add_i32 s5, s5, s6
	s_mul_i32 s6, s8, s33
	s_add_u32 s6, s12, s6
	s_mul_i32 s4, s4, s31
	s_addc_u32 s5, s13, s5
	s_ashr_i32 s7, s4, 31
	s_add_u32 s24, s6, s4
	v_lshlrev_b32_e32 v27, 2, v4
	s_addc_u32 s25, s5, s7
	s_lshl_b32 s29, s3, 6
	s_sub_i32 s12, s38, 64
	s_cmp_ge_i32 s29, s12
	v_lshrrev_b32_e32 v33, 4, v4
	v_and_b32_e32 v0, 60, v27
	v_mbcnt_lo_u32_b32 v32, -1, 0
	s_cbranch_scc1 .LBB89_23
; %bb.7:
	v_lshl_add_u32 v2, v30, 1, v33
	v_lshlrev_b32_e32 v6, 2, v0
	s_movk_i32 s4, 0x110
	v_mad_u32_u24 v34, v2, s4, v6
	v_mul_lo_u32 v8, s18, v2
	s_lshl_b32 s4, s18, 4
	v_add_u32_e32 v10, s4, v8
	v_add_u32_e32 v12, s4, v10
	;; [unrolled: 1-line block ×3, first 2 shown]
	s_cmp_lg_u64 s[36:37], 0
	v_mad_u64_u32 v[16:17], s[4:5], v1, s14, v[4:5]
	s_cselect_b64 s[6:7], -1, 0
	v_mul_lo_u32 v18, s2, v2
	s_lshl_b32 s4, s2, 4
	v_add_u32_e32 v20, s4, v18
	v_mov_b32_e32 v7, 0x4c00
	v_add_u32_e32 v22, s4, v20
	v_mov_b32_e32 v3, 0
	v_lshl_add_u32 v39, v30, 7, v7
	v_lshl_or_b32 v41, v2, 8, v6
	v_add_u32_e32 v24, s4, v22
	s_add_u32 s8, s0, 0xd0
	v_ashrrev_i32_e32 v9, 31, v8
	v_add_u32_e32 v35, 0x1100, v34
	v_ashrrev_i32_e32 v11, 31, v10
	v_add_u32_e32 v36, 0x2200, v34
	;; [unrolled: 2-line block ×3, first 2 shown]
	v_ashrrev_i32_e32 v15, 31, v14
	v_mul_u32_u24_e32 v38, 0x110, v4
	v_lshl_add_u32 v40, v4, 1, v39
	v_ashrrev_i32_e32 v19, 31, v18
	v_add_u32_e32 v42, 0x1000, v41
	v_ashrrev_i32_e32 v21, 31, v20
	v_add_u32_e32 v43, 0x2000, v41
	;; [unrolled: 2-line block ×3, first 2 shown]
	v_ashrrev_i32_e32 v25, 31, v24
	s_addc_u32 s9, s1, 0
	v_mov_b32_e32 v49, 0xfeffffff
	v_lshlrev_b32_e32 v2, 2, v0
	s_mov_b32 s13, 0x3f200000
	s_mov_b32 s30, 0x3fb8aa3b
	;; [unrolled: 1-line block ×4, first 2 shown]
	v_mov_b32_e32 v45, 0x3ca908c9
	s_brev_b32 s40, -2
	s_mov_b32 s41, 0x10001
	v_mov_b32_e32 v46, 0x7f800000
	v_mbcnt_hi_u32_b32 v47, -1, v32
	v_mov_b32_e32 v29, v3
	v_mov_b32_e32 v17, v3
	;; [unrolled: 1-line block ×3, first 2 shown]
                                        ; implicit-def: $vgpr6
                                        ; implicit-def: $vgpr6
                                        ; implicit-def: $vgpr6
.LBB89_8:                               ; =>This Inner Loop Header: Depth=1
	s_mul_hi_i32 s5, s29, s18
	s_mul_i32 s4, s29, s18
	s_lshl_b64 s[4:5], s[4:5], 2
	s_add_u32 s4, s19, s4
	s_addc_u32 s5, s28, s5
	v_lshl_add_u64 v[6:7], v[8:9], 2, s[4:5]
	v_lshl_add_u64 v[6:7], v[6:7], 0, v[2:3]
	;; [unrolled: 1-line block ×4, first 2 shown]
	global_load_dwordx4 v[50:53], v[6:7], off
	global_load_dwordx4 v[54:57], v[58:59], off
	v_lshl_add_u64 v[6:7], v[12:13], 2, s[4:5]
	v_lshl_add_u64 v[6:7], v[6:7], 0, v[2:3]
	;; [unrolled: 1-line block ×4, first 2 shown]
	global_load_dwordx4 v[58:61], v[6:7], off
	global_load_dwordx4 v[62:65], v[66:67], off
	s_waitcnt vmcnt(3)
	ds_write_b128 v34, v[50:53]
	s_waitcnt vmcnt(2)
	ds_write_b128 v35, v[54:57]
	;; [unrolled: 2-line block ×4, first 2 shown]
	s_waitcnt lgkmcnt(0)
	s_barrier
	ds_read_b128 v[52:55], v38
	ds_read_b128 v[56:59], v5
	v_mov_b32_e32 v50, 0
	ds_read_b128 v[60:63], v38 offset:8704
	s_waitcnt lgkmcnt(1)
	;;#ASMSTART
	v_dot2_f32_f16 v50, v52, v56, v50
	;;#ASMEND
	s_nop 0
	;;#ASMSTART
	v_dot2_f32_f16 v50, v53, v57, v50
	;;#ASMEND
	v_mov_b32_e32 v51, 0
	;;#ASMSTART
	v_dot2_f32_f16 v50, v54, v58, v50
	;;#ASMEND
	s_nop 0
	;;#ASMSTART
	v_dot2_f32_f16 v50, v55, v59, v50
	;;#ASMEND
	s_waitcnt lgkmcnt(0)
	;;#ASMSTART
	v_dot2_f32_f16 v51, v60, v56, v51
	;;#ASMEND
	s_nop 0
	;;#ASMSTART
	v_dot2_f32_f16 v51, v61, v57, v51
	;;#ASMEND
	s_nop 0
	;;#ASMSTART
	v_dot2_f32_f16 v51, v62, v58, v51
	;;#ASMEND
	s_nop 0
	;;#ASMSTART
	v_dot2_f32_f16 v51, v63, v59, v51
	;;#ASMEND
	ds_read_b128 v[52:55], v38 offset:16
	ds_read_b128 v[56:59], v5 offset:16
	ds_read_b128 v[60:63], v38 offset:8720
	s_waitcnt lgkmcnt(1)
	;;#ASMSTART
	v_dot2_f32_f16 v50, v52, v56, v50
	;;#ASMEND
	s_nop 0
	;;#ASMSTART
	v_dot2_f32_f16 v50, v53, v57, v50
	;;#ASMEND
	s_nop 0
	;;#ASMSTART
	v_dot2_f32_f16 v50, v54, v58, v50
	;;#ASMEND
	s_nop 0
	;;#ASMSTART
	v_dot2_f32_f16 v50, v55, v59, v50
	;;#ASMEND
	s_waitcnt lgkmcnt(0)
	;;#ASMSTART
	v_dot2_f32_f16 v51, v60, v56, v51
	;;#ASMEND
	s_nop 0
	;;#ASMSTART
	v_dot2_f32_f16 v51, v61, v57, v51
	;;#ASMEND
	s_nop 0
	;;#ASMSTART
	v_dot2_f32_f16 v51, v62, v58, v51
	;;#ASMEND
	s_nop 0
	;;#ASMSTART
	v_dot2_f32_f16 v51, v63, v59, v51
	;;#ASMEND
	ds_read_b128 v[52:55], v38 offset:32
	ds_read_b128 v[56:59], v5 offset:32
	ds_read_b128 v[60:63], v38 offset:8736
	s_waitcnt lgkmcnt(1)
	;;#ASMSTART
	v_dot2_f32_f16 v50, v52, v56, v50
	;;#ASMEND
	s_nop 0
	;;#ASMSTART
	v_dot2_f32_f16 v50, v53, v57, v50
	;;#ASMEND
	s_nop 0
	;; [unrolled: 35-line block ×14, first 2 shown]
	;;#ASMSTART
	v_dot2_f32_f16 v50, v54, v58, v50
	;;#ASMEND
	s_nop 0
	;;#ASMSTART
	v_dot2_f32_f16 v50, v55, v59, v50
	;;#ASMEND
	s_waitcnt lgkmcnt(0)
	;;#ASMSTART
	v_dot2_f32_f16 v51, v60, v56, v51
	;;#ASMEND
	s_nop 0
	;;#ASMSTART
	v_dot2_f32_f16 v51, v61, v57, v51
	;;#ASMEND
	s_nop 0
	;; [unrolled: 4-line block ×3, first 2 shown]
	;;#ASMSTART
	v_dot2_f32_f16 v51, v63, v59, v51
	;;#ASMEND
	ds_read_b128 v[52:55], v38 offset:240
	ds_read_b128 v[56:59], v5 offset:240
	;; [unrolled: 1-line block ×3, first 2 shown]
	s_waitcnt lgkmcnt(1)
	;;#ASMSTART
	v_dot2_f32_f16 v50, v52, v56, v50
	;;#ASMEND
	s_nop 0
	;;#ASMSTART
	v_dot2_f32_f16 v50, v53, v57, v50
	;;#ASMEND
                                        ; implicit-def: $vgpr53
	s_nop 0
	;;#ASMSTART
	v_dot2_f32_f16 v50, v54, v58, v50
	;;#ASMEND
	s_nop 0
	;;#ASMSTART
	v_dot2_f32_f16 v50, v55, v59, v50
	;;#ASMEND
	s_waitcnt lgkmcnt(0)
	;;#ASMSTART
	v_dot2_f32_f16 v51, v60, v56, v51
	;;#ASMEND
	s_nop 0
	;;#ASMSTART
	v_dot2_f32_f16 v51, v61, v57, v51
	;;#ASMEND
	v_cmp_nlt_f32_e64 s[4:5], |v50|, s13
	;;#ASMSTART
	v_dot2_f32_f16 v51, v62, v58, v51
	;;#ASMEND
	s_nop 0
	;;#ASMSTART
	v_dot2_f32_f16 v51, v63, v59, v51
	;;#ASMEND
	s_and_saveexec_b64 s[10:11], s[4:5]
	s_xor_b64 s[4:5], exec, s[10:11]
	s_cbranch_execz .LBB89_10
; %bb.9:                                ;   in Loop: Header=BB89_8 Depth=1
	v_add_f32_e64 v6, |v50|, |v50|
	v_mul_f32_e32 v7, 0x3fb8aa3b, v6
	v_rndne_f32_e32 v52, v7
	v_sub_f32_e32 v53, v7, v52
	v_fma_f32 v7, v6, s30, -v7
	v_fmac_f32_e32 v7, 0x32a5705f, v6
	v_add_f32_e32 v7, v53, v7
	v_cvt_i32_f32_e32 v52, v52
	v_exp_f32_e32 v7, v7
	v_cmp_ngt_f32_e32 vcc, s31, v6
	v_ldexp_f32 v7, v7, v52
	s_nop 0
	v_cndmask_b32_e32 v7, 0, v7, vcc
	v_cmp_nlt_f32_e32 vcc, s39, v6
	s_nop 1
	v_cndmask_b32_e32 v6, v46, v7, vcc
	v_add_f32_e32 v6, 1.0, v6
	v_rcp_f32_e32 v6, v6
	s_nop 0
	v_fma_f32 v53, v6, -2.0, 1.0
.LBB89_10:                              ;   in Loop: Header=BB89_8 Depth=1
	s_andn2_saveexec_b64 s[4:5], s[4:5]
; %bb.11:                               ;   in Loop: Header=BB89_8 Depth=1
	v_mul_f32_e32 v6, v50, v50
	v_fmamk_f32 v7, v6, 0xbbbac73d, v45
	v_fmaak_f32 v7, v6, v7, 0xbd5c1c4e
	v_fmaak_f32 v7, v6, v7, 0x3e088382
	;; [unrolled: 1-line block ×3, first 2 shown]
	v_mul_f32_e64 v7, |v50|, v7
	v_fma_f32 v53, v6, v7, |v50|
; %bb.12:                               ;   in Loop: Header=BB89_8 Depth=1
	s_or_b64 exec, exec, s[4:5]
	v_add_u32_e32 v6, s29, v16
	v_cndmask_b32_e64 v7, 0, 1, s[6:7]
	v_cmp_ne_u32_e64 s[4:5], 1, v7
	s_andn2_b64 vcc, exec, s[6:7]
	v_ashrrev_i32_e32 v7, 31, v6
	s_cbranch_vccnz .LBB89_22
; %bb.13:                               ;   in Loop: Header=BB89_8 Depth=1
	v_lshl_add_u64 v[54:55], v[6:7], 1, s[36:37]
	global_load_ushort v52, v[54:55], off
	s_waitcnt vmcnt(0)
	v_cvt_f32_f16_e32 v52, v52
	v_mul_f32_e32 v52, v31, v52
	v_cmp_nlt_f32_e64 s[10:11], |v51|, s13
                                        ; implicit-def: $vgpr54
	s_and_saveexec_b64 s[42:43], s[10:11]
	s_xor_b64 s[10:11], exec, s[42:43]
	s_cbranch_execz .LBB89_15
.LBB89_14:                              ;   in Loop: Header=BB89_8 Depth=1
	v_add_f32_e64 v54, |v51|, |v51|
	v_mul_f32_e32 v55, 0x3fb8aa3b, v54
	v_rndne_f32_e32 v56, v55
	v_sub_f32_e32 v57, v55, v56
	v_fma_f32 v55, v54, s30, -v55
	v_fmac_f32_e32 v55, 0x32a5705f, v54
	v_add_f32_e32 v55, v57, v55
	v_cvt_i32_f32_e32 v56, v56
	v_exp_f32_e32 v55, v55
	v_cmp_ngt_f32_e32 vcc, s31, v54
	v_ldexp_f32 v55, v55, v56
	s_nop 0
	v_cndmask_b32_e32 v55, 0, v55, vcc
	v_cmp_nlt_f32_e32 vcc, s39, v54
	s_nop 1
	v_cndmask_b32_e32 v54, v46, v55, vcc
	v_add_f32_e32 v54, 1.0, v54
	v_rcp_f32_e32 v54, v54
	s_nop 0
	v_fma_f32 v54, v54, -2.0, 1.0
.LBB89_15:                              ;   in Loop: Header=BB89_8 Depth=1
	s_andn2_saveexec_b64 s[10:11], s[10:11]
	s_cbranch_execz .LBB89_18
; %bb.16:                               ;   in Loop: Header=BB89_8 Depth=1
	v_mul_f32_e32 v54, v51, v51
	v_fmamk_f32 v55, v54, 0xbbbac73d, v45
	v_fmaak_f32 v55, v54, v55, 0xbd5c1c4e
	v_fmaak_f32 v55, v54, v55, 0x3e088382
	;; [unrolled: 1-line block ×3, first 2 shown]
	v_mul_f32_e64 v55, |v51|, v55
	v_fma_f32 v54, v54, v55, |v51|
	s_or_b64 exec, exec, s[10:11]
	s_and_b64 vcc, exec, s[4:5]
	s_cbranch_vccz .LBB89_19
.LBB89_17:                              ;   in Loop: Header=BB89_8 Depth=1
	v_mov_b32_e32 v7, 0
	s_branch .LBB89_20
.LBB89_18:                              ;   in Loop: Header=BB89_8 Depth=1
	s_or_b64 exec, exec, s[10:11]
	s_and_b64 vcc, exec, s[4:5]
	s_cbranch_vccnz .LBB89_17
.LBB89_19:                              ;   in Loop: Header=BB89_8 Depth=1
	v_lshl_add_u64 v[6:7], v[6:7], 1, s[36:37]
	global_load_ushort v6, v[6:7], off offset:64
	s_waitcnt vmcnt(0)
	v_cvt_f32_f16_e32 v6, v6
	v_mul_f32_e32 v7, v31, v6
.LBB89_20:                              ;   in Loop: Header=BB89_8 Depth=1
	v_bfi_b32 v6, s40, v54, v51
	v_and_b32_e32 v51, 0x60, v47
	v_bfi_b32 v50, s40, v53, v50
	v_add_u32_e32 v53, 32, v51
	v_xor_b32_e32 v51, 4, v47
	v_cmp_lt_i32_e32 vcc, v51, v53
	v_fmac_f32_e32 v52, s15, v50
	v_fmac_f32_e32 v7, s15, v6
	v_cndmask_b32_e32 v76, v47, v51, vcc
	v_xor_b32_e32 v51, 16, v47
	v_cmp_lt_i32_e32 vcc, v51, v53
	v_add_f32_e32 v50, 0x40051340, v52
	v_add_f32_e32 v6, 0x40051340, v7
	v_cndmask_b32_e32 v51, v47, v51, vcc
	v_max3_f32 v6, v49, v50, v6
	v_lshlrev_b32_e32 v50, 2, v51
	ds_bpermute_b32 v50, v50, v6
	s_mul_hi_i32 s5, s29, s2
	s_mul_i32 s4, s29, s2
	v_xor_b32_e32 v51, 8, v47
	s_lshl_b64 s[4:5], s[4:5], 2
	v_cmp_lt_i32_e32 vcc, v51, v53
	s_add_u32 s4, s24, s4
	s_waitcnt lgkmcnt(0)
	v_max_f32_e32 v50, v50, v50
	v_cndmask_b32_e32 v51, v47, v51, vcc
	s_addc_u32 s5, s25, s5
	v_lshlrev_b32_e32 v51, 2, v51
	v_max_f32_e32 v6, v6, v50
	v_lshl_add_u64 v[54:55], v[20:21], 2, s[4:5]
	ds_bpermute_b32 v77, v51, v6
	v_lshl_add_u64 v[50:51], v[18:19], 2, s[4:5]
	v_lshl_add_u64 v[70:71], v[54:55], 0, v[2:3]
	;; [unrolled: 1-line block ×6, first 2 shown]
	s_waitcnt lgkmcnt(0)
	s_barrier
	v_lshl_add_u64 v[74:75], v[54:55], 0, v[2:3]
	global_load_dwordx4 v[54:57], v[50:51], off
	global_load_dwordx4 v[58:61], v[70:71], off
	;; [unrolled: 1-line block ×4, first 2 shown]
	v_max_f32_e32 v51, v77, v77
	v_lshlrev_b32_e32 v50, 2, v76
	v_max_f32_e32 v6, v6, v51
	ds_bpermute_b32 v50, v50, v6
	v_xor_b32_e32 v51, 2, v47
	v_cmp_lt_i32_e32 vcc, v51, v53
	s_waitcnt lgkmcnt(0)
	v_max_f32_e32 v50, v50, v50
	v_cndmask_b32_e32 v51, v47, v51, vcc
	v_lshlrev_b32_e32 v51, 2, v51
	v_max_f32_e32 v6, v6, v50
	ds_bpermute_b32 v50, v51, v6
	v_xor_b32_e32 v51, 1, v47
	v_cmp_lt_i32_e32 vcc, v51, v53
	s_waitcnt lgkmcnt(0)
	v_max_f32_e32 v50, v50, v50
	v_cndmask_b32_e32 v51, v47, v51, vcc
	v_lshlrev_b32_e32 v51, 2, v51
	v_max_f32_e32 v6, v6, v50
	ds_bpermute_b32 v50, v51, v6
	s_waitcnt lgkmcnt(0)
	v_max_f32_e32 v50, v50, v50
	v_max_f32_e32 v6, v6, v50
	v_sub_f32_e32 v50, v52, v6
	v_mul_f32_e32 v51, 0x3fb8aa3b, v50
	v_fma_f32 v52, v50, s30, -v51
	v_rndne_f32_e32 v53, v51
	v_fmac_f32_e32 v52, 0x32a5705f, v50
	v_sub_f32_e32 v51, v51, v53
	v_add_f32_e32 v51, v51, v52
	v_exp_f32_e32 v51, v51
	v_cvt_i32_f32_e32 v52, v53
	v_sub_f32_e32 v7, v7, v6
	v_sub_f32_e32 v49, v49, v6
	v_cmp_ngt_f32_e32 vcc, s31, v50
	v_ldexp_f32 v51, v51, v52
	v_mul_f32_e32 v52, 0x3fb8aa3b, v7
	v_fma_f32 v53, v7, s30, -v52
	v_rndne_f32_e32 v70, v52
	v_fmac_f32_e32 v53, 0x32a5705f, v7
	v_sub_f32_e32 v52, v52, v70
	v_add_f32_e32 v52, v52, v53
	v_exp_f32_e32 v52, v52
	v_cvt_i32_f32_e32 v53, v70
	v_cndmask_b32_e32 v51, 0, v51, vcc
	v_cmp_nlt_f32_e32 vcc, s39, v50
	v_ldexp_f32 v52, v52, v53
	v_mul_f32_e32 v53, 0x3fb8aa3b, v49
	v_fma_f32 v70, v49, s30, -v53
	v_rndne_f32_e32 v71, v53
	v_fmac_f32_e32 v70, 0x32a5705f, v49
	v_sub_f32_e32 v53, v53, v71
	v_add_f32_e32 v53, v53, v70
	v_exp_f32_e32 v53, v53
	v_cvt_i32_f32_e32 v70, v71
	v_cndmask_b32_e32 v50, v46, v51, vcc
	v_cmp_ngt_f32_e32 vcc, s31, v7
	v_cvt_f16_f32_e32 v51, v50
	s_nop 0
	v_cndmask_b32_e32 v52, 0, v52, vcc
	v_cmp_nlt_f32_e32 vcc, s39, v7
	v_ldexp_f32 v7, v53, v70
	s_nop 0
	v_cndmask_b32_e32 v52, v46, v52, vcc
	v_cmp_ngt_f32_e32 vcc, s31, v49
	s_nop 1
	v_cndmask_b32_e32 v7, 0, v7, vcc
	v_cmp_nlt_f32_e32 vcc, s39, v49
	s_nop 1
	v_cndmask_b32_e32 v49, v46, v7, vcc
	v_cvt_f16_f32_e32 v53, v49
	v_add_f32_e32 v7, v50, v52
	v_cvt_f16_f32_e32 v50, v52
	v_fmac_f32_e32 v7, v48, v49
	v_mul_u32_u24_e32 v70, 0x10001, v53
	ds_write_b16 v40, v51
	ds_write_b16 v40, v50 offset:64
	s_waitcnt vmcnt(3)
	ds_write_b128 v41, v[54:57]
	s_waitcnt vmcnt(2)
	ds_write_b128 v42, v[58:61]
	;; [unrolled: 2-line block ×4, first 2 shown]
	s_waitcnt lgkmcnt(0)
	s_barrier
	ds_read_b128 v[48:51], v39
	ds_read2_b64 v[52:55], v28 offset1:32
	ds_read_b128 v[56:59], v39 offset:16
	ds_read_b128 v[60:63], v39 offset:32
	;; [unrolled: 1-line block ×3, first 2 shown]
	s_waitcnt lgkmcnt(4)
	v_mul_u32_u24_sdwa v68, v48, s41 dst_sel:DWORD dst_unused:UNUSED_PAD src0_sel:WORD_0 src1_sel:DWORD
	s_waitcnt lgkmcnt(3)
	v_pk_mul_f16 v52, v52, v68
	v_mul_u32_u24_sdwa v48, v48, s41 dst_sel:DWORD dst_unused:UNUSED_PAD src0_sel:WORD_1 src1_sel:DWORD
	v_pk_fma_f16 v29, v29, v70, v52
	v_pk_mul_f16 v52, v53, v68
	v_pk_fma_f16 v29, v54, v48, v29
	v_pk_fma_f16 v17, v17, v70, v52
	ds_read2_b64 v[68:71], v28 offset0:64 offset1:96
	v_pk_fma_f16 v17, v55, v48, v17
	v_mul_u32_u24_sdwa v48, v49, s41 dst_sel:DWORD dst_unused:UNUSED_PAD src0_sel:WORD_0 src1_sel:DWORD
	ds_read2_b64 v[52:55], v28 offset0:128 offset1:160
	s_waitcnt lgkmcnt(1)
	v_pk_fma_f16 v29, v68, v48, v29
	v_pk_fma_f16 v17, v69, v48, v17
	v_mul_u32_u24_sdwa v48, v49, s41 dst_sel:DWORD dst_unused:UNUSED_PAD src0_sel:WORD_1 src1_sel:DWORD
	v_pk_fma_f16 v29, v70, v48, v29
	v_pk_fma_f16 v17, v71, v48, v17
	ds_read2_b64 v[68:71], v28 offset0:192 offset1:224
	v_mul_u32_u24_sdwa v48, v50, s41 dst_sel:DWORD dst_unused:UNUSED_PAD src0_sel:WORD_0 src1_sel:DWORD
	s_waitcnt lgkmcnt(1)
	v_pk_fma_f16 v29, v52, v48, v29
	v_pk_fma_f16 v17, v53, v48, v17
	v_mul_u32_u24_sdwa v48, v50, s41 dst_sel:DWORD dst_unused:UNUSED_PAD src0_sel:WORD_1 src1_sel:DWORD
	v_pk_fma_f16 v29, v54, v48, v29
	v_pk_fma_f16 v17, v55, v48, v17
	v_mul_u32_u24_sdwa v48, v51, s41 dst_sel:DWORD dst_unused:UNUSED_PAD src0_sel:WORD_0 src1_sel:DWORD
	s_waitcnt lgkmcnt(0)
	v_pk_fma_f16 v29, v68, v48, v29
	v_add_u32_e32 v68, 0x800, v28
	ds_read2_b64 v[52:55], v68 offset1:32
	v_pk_fma_f16 v17, v69, v48, v17
	v_mul_u32_u24_sdwa v48, v51, s41 dst_sel:DWORD dst_unused:UNUSED_PAD src0_sel:WORD_1 src1_sel:DWORD
	v_pk_fma_f16 v29, v70, v48, v29
	v_pk_fma_f16 v17, v71, v48, v17
	v_mul_u32_u24_sdwa v48, v56, s41 dst_sel:DWORD dst_unused:UNUSED_PAD src0_sel:WORD_0 src1_sel:DWORD
	s_waitcnt lgkmcnt(0)
	v_pk_fma_f16 v29, v52, v48, v29
	v_pk_fma_f16 v17, v53, v48, v17
	ds_read2_b64 v[48:51], v68 offset0:64 offset1:96
	v_mul_u32_u24_sdwa v52, v56, s41 dst_sel:DWORD dst_unused:UNUSED_PAD src0_sel:WORD_1 src1_sel:DWORD
	v_pk_fma_f16 v29, v54, v52, v29
	v_pk_fma_f16 v17, v55, v52, v17
	v_mul_u32_u24_sdwa v52, v57, s41 dst_sel:DWORD dst_unused:UNUSED_PAD src0_sel:WORD_0 src1_sel:DWORD
	s_waitcnt lgkmcnt(0)
	v_pk_fma_f16 v29, v48, v52, v29
	v_pk_fma_f16 v17, v49, v52, v17
	ds_read2_b64 v[52:55], v68 offset0:128 offset1:160
	;; [unrolled: 8-line block ×3, first 2 shown]
	v_mul_u32_u24_sdwa v52, v58, s41 dst_sel:DWORD dst_unused:UNUSED_PAD src0_sel:WORD_1 src1_sel:DWORD
	v_pk_fma_f16 v29, v54, v52, v29
	v_pk_fma_f16 v17, v55, v52, v17
	v_mul_u32_u24_sdwa v52, v59, s41 dst_sel:DWORD dst_unused:UNUSED_PAD src0_sel:WORD_0 src1_sel:DWORD
	v_add_u32_e32 v56, 0x1000, v28
	s_waitcnt lgkmcnt(0)
	v_pk_fma_f16 v29, v48, v52, v29
	v_pk_fma_f16 v17, v49, v52, v17
	ds_read2_b64 v[52:55], v56 offset1:32
	v_mul_u32_u24_sdwa v48, v59, s41 dst_sel:DWORD dst_unused:UNUSED_PAD src0_sel:WORD_1 src1_sel:DWORD
	v_pk_fma_f16 v29, v50, v48, v29
	v_pk_fma_f16 v17, v51, v48, v17
	v_mul_u32_u24_sdwa v48, v60, s41 dst_sel:DWORD dst_unused:UNUSED_PAD src0_sel:WORD_0 src1_sel:DWORD
	s_waitcnt lgkmcnt(0)
	v_pk_fma_f16 v29, v52, v48, v29
	v_pk_fma_f16 v17, v53, v48, v17
	ds_read2_b64 v[48:51], v56 offset0:64 offset1:96
	v_mul_u32_u24_sdwa v52, v60, s41 dst_sel:DWORD dst_unused:UNUSED_PAD src0_sel:WORD_1 src1_sel:DWORD
	v_pk_fma_f16 v29, v54, v52, v29
	v_pk_fma_f16 v17, v55, v52, v17
	v_mul_u32_u24_sdwa v52, v61, s41 dst_sel:DWORD dst_unused:UNUSED_PAD src0_sel:WORD_0 src1_sel:DWORD
	s_waitcnt lgkmcnt(0)
	v_pk_fma_f16 v29, v48, v52, v29
	v_pk_fma_f16 v17, v49, v52, v17
	ds_read2_b64 v[52:55], v56 offset0:128 offset1:160
	;; [unrolled: 8-line block ×3, first 2 shown]
	v_mul_u32_u24_sdwa v52, v62, s41 dst_sel:DWORD dst_unused:UNUSED_PAD src0_sel:WORD_1 src1_sel:DWORD
	v_pk_fma_f16 v29, v54, v52, v29
	v_pk_fma_f16 v17, v55, v52, v17
	v_mul_u32_u24_sdwa v52, v63, s41 dst_sel:DWORD dst_unused:UNUSED_PAD src0_sel:WORD_0 src1_sel:DWORD
	v_add_u32_e32 v56, 0x1800, v28
	s_waitcnt lgkmcnt(0)
	v_pk_fma_f16 v29, v48, v52, v29
	v_pk_fma_f16 v17, v49, v52, v17
	ds_read2_b64 v[52:55], v56 offset1:32
	v_mul_u32_u24_sdwa v48, v63, s41 dst_sel:DWORD dst_unused:UNUSED_PAD src0_sel:WORD_1 src1_sel:DWORD
	v_pk_fma_f16 v29, v50, v48, v29
	v_pk_fma_f16 v17, v51, v48, v17
	v_mul_u32_u24_sdwa v48, v64, s41 dst_sel:DWORD dst_unused:UNUSED_PAD src0_sel:WORD_0 src1_sel:DWORD
	s_waitcnt lgkmcnt(0)
	v_pk_fma_f16 v29, v52, v48, v29
	v_pk_fma_f16 v17, v53, v48, v17
	ds_read2_b64 v[48:51], v56 offset0:64 offset1:96
	v_mul_u32_u24_sdwa v52, v64, s41 dst_sel:DWORD dst_unused:UNUSED_PAD src0_sel:WORD_1 src1_sel:DWORD
	v_pk_fma_f16 v29, v54, v52, v29
	v_pk_fma_f16 v17, v55, v52, v17
	v_mul_u32_u24_sdwa v52, v65, s41 dst_sel:DWORD dst_unused:UNUSED_PAD src0_sel:WORD_0 src1_sel:DWORD
	s_waitcnt lgkmcnt(0)
	v_pk_fma_f16 v29, v48, v52, v29
	v_pk_fma_f16 v17, v49, v52, v17
	ds_read2_b64 v[52:55], v56 offset0:128 offset1:160
	;; [unrolled: 8-line block ×3, first 2 shown]
	v_mul_u32_u24_sdwa v52, v66, s41 dst_sel:DWORD dst_unused:UNUSED_PAD src0_sel:WORD_1 src1_sel:DWORD
	v_pk_fma_f16 v29, v54, v52, v29
	v_pk_fma_f16 v17, v55, v52, v17
	v_mul_u32_u24_sdwa v52, v67, s41 dst_sel:DWORD dst_unused:UNUSED_PAD src0_sel:WORD_0 src1_sel:DWORD
	s_waitcnt lgkmcnt(0)
	v_pk_fma_f16 v29, v48, v52, v29
	v_pk_fma_f16 v17, v49, v52, v17
	v_add_u32_e32 v64, 0x2000, v28
	ds_read_b128 v[52:55], v39 offset:64
	ds_read2_b64 v[56:59], v64 offset1:32
	v_mul_u32_u24_sdwa v48, v67, s41 dst_sel:DWORD dst_unused:UNUSED_PAD src0_sel:WORD_1 src1_sel:DWORD
	v_pk_fma_f16 v29, v50, v48, v29
	v_pk_fma_f16 v17, v51, v48, v17
	s_waitcnt lgkmcnt(1)
	v_mul_u32_u24_sdwa v60, v52, s41 dst_sel:DWORD dst_unused:UNUSED_PAD src0_sel:WORD_0 src1_sel:DWORD
	s_waitcnt lgkmcnt(0)
	v_pk_fma_f16 v29, v56, v60, v29
	v_pk_fma_f16 v17, v57, v60, v17
	ds_read2_b64 v[60:63], v64 offset0:64 offset1:96
	v_mul_u32_u24_sdwa v52, v52, s41 dst_sel:DWORD dst_unused:UNUSED_PAD src0_sel:WORD_1 src1_sel:DWORD
	v_pk_fma_f16 v29, v58, v52, v29
	v_pk_fma_f16 v17, v59, v52, v17
	v_mul_u32_u24_sdwa v52, v53, s41 dst_sel:DWORD dst_unused:UNUSED_PAD src0_sel:WORD_0 src1_sel:DWORD
	ds_read2_b64 v[56:59], v64 offset0:128 offset1:160
	s_waitcnt lgkmcnt(1)
	v_pk_fma_f16 v29, v60, v52, v29
	v_pk_fma_f16 v17, v61, v52, v17
	v_mul_u32_u24_sdwa v52, v53, s41 dst_sel:DWORD dst_unused:UNUSED_PAD src0_sel:WORD_1 src1_sel:DWORD
	v_pk_fma_f16 v29, v62, v52, v29
	v_pk_fma_f16 v17, v63, v52, v17
	ds_read2_b64 v[60:63], v64 offset0:192 offset1:224
	v_mul_u32_u24_sdwa v52, v54, s41 dst_sel:DWORD dst_unused:UNUSED_PAD src0_sel:WORD_0 src1_sel:DWORD
	s_waitcnt lgkmcnt(1)
	v_pk_fma_f16 v29, v56, v52, v29
	v_pk_fma_f16 v17, v57, v52, v17
	v_mul_u32_u24_sdwa v52, v54, s41 dst_sel:DWORD dst_unused:UNUSED_PAD src0_sel:WORD_1 src1_sel:DWORD
	v_pk_fma_f16 v29, v58, v52, v29
	v_pk_fma_f16 v17, v59, v52, v17
	v_mul_u32_u24_sdwa v52, v55, s41 dst_sel:DWORD dst_unused:UNUSED_PAD src0_sel:WORD_0 src1_sel:DWORD
	ds_read_b128 v[48:51], v39 offset:80
	s_waitcnt lgkmcnt(1)
	v_pk_fma_f16 v29, v60, v52, v29
	v_add_u32_e32 v60, 0x2800, v28
	ds_read2_b64 v[56:59], v60 offset1:32
	v_pk_fma_f16 v17, v61, v52, v17
	v_mul_u32_u24_sdwa v52, v55, s41 dst_sel:DWORD dst_unused:UNUSED_PAD src0_sel:WORD_1 src1_sel:DWORD
	v_pk_fma_f16 v29, v62, v52, v29
	v_pk_fma_f16 v17, v63, v52, v17
	s_waitcnt lgkmcnt(1)
	v_mul_u32_u24_sdwa v52, v48, s41 dst_sel:DWORD dst_unused:UNUSED_PAD src0_sel:WORD_0 src1_sel:DWORD
	s_waitcnt lgkmcnt(0)
	v_pk_fma_f16 v29, v56, v52, v29
	v_pk_fma_f16 v17, v57, v52, v17
	ds_read2_b64 v[52:55], v60 offset0:64 offset1:96
	v_mul_u32_u24_sdwa v48, v48, s41 dst_sel:DWORD dst_unused:UNUSED_PAD src0_sel:WORD_1 src1_sel:DWORD
	v_pk_fma_f16 v29, v58, v48, v29
	v_pk_fma_f16 v17, v59, v48, v17
	v_mul_u32_u24_sdwa v48, v49, s41 dst_sel:DWORD dst_unused:UNUSED_PAD src0_sel:WORD_0 src1_sel:DWORD
	ds_read2_b64 v[56:59], v60 offset0:128 offset1:160
	s_waitcnt lgkmcnt(1)
	v_pk_fma_f16 v29, v52, v48, v29
	v_pk_fma_f16 v17, v53, v48, v17
	v_mul_u32_u24_sdwa v48, v49, s41 dst_sel:DWORD dst_unused:UNUSED_PAD src0_sel:WORD_1 src1_sel:DWORD
	v_pk_fma_f16 v29, v54, v48, v29
	v_pk_fma_f16 v17, v55, v48, v17
	ds_read2_b64 v[52:55], v60 offset0:192 offset1:224
	v_mul_u32_u24_sdwa v48, v50, s41 dst_sel:DWORD dst_unused:UNUSED_PAD src0_sel:WORD_0 src1_sel:DWORD
	s_waitcnt lgkmcnt(1)
	v_pk_fma_f16 v29, v56, v48, v29
	v_pk_fma_f16 v17, v57, v48, v17
	v_mul_u32_u24_sdwa v48, v50, s41 dst_sel:DWORD dst_unused:UNUSED_PAD src0_sel:WORD_1 src1_sel:DWORD
	v_pk_fma_f16 v29, v58, v48, v29
	v_pk_fma_f16 v17, v59, v48, v17
	v_mul_u32_u24_sdwa v48, v51, s41 dst_sel:DWORD dst_unused:UNUSED_PAD src0_sel:WORD_0 src1_sel:DWORD
	s_waitcnt lgkmcnt(0)
	v_pk_fma_f16 v29, v52, v48, v29
	v_pk_fma_f16 v17, v53, v48, v17
	v_mul_u32_u24_sdwa v52, v51, s41 dst_sel:DWORD dst_unused:UNUSED_PAD src0_sel:WORD_1 src1_sel:DWORD
	v_add_u32_e32 v64, 0x3000, v28
	ds_read_b128 v[48:51], v39 offset:96
	ds_read2_b64 v[56:59], v64 offset1:32
	v_pk_fma_f16 v29, v54, v52, v29
	v_pk_fma_f16 v17, v55, v52, v17
	ds_read_b128 v[52:55], v39 offset:112
	s_waitcnt lgkmcnt(2)
	v_mul_u32_u24_sdwa v60, v48, s41 dst_sel:DWORD dst_unused:UNUSED_PAD src0_sel:WORD_0 src1_sel:DWORD
	s_waitcnt lgkmcnt(1)
	v_pk_fma_f16 v29, v56, v60, v29
	v_pk_fma_f16 v17, v57, v60, v17
	ds_read2_b64 v[60:63], v64 offset0:64 offset1:96
	v_mul_u32_u24_sdwa v48, v48, s41 dst_sel:DWORD dst_unused:UNUSED_PAD src0_sel:WORD_1 src1_sel:DWORD
	v_pk_fma_f16 v29, v58, v48, v29
	v_pk_fma_f16 v17, v59, v48, v17
	v_mul_u32_u24_sdwa v48, v49, s41 dst_sel:DWORD dst_unused:UNUSED_PAD src0_sel:WORD_0 src1_sel:DWORD
	ds_read2_b64 v[56:59], v64 offset0:128 offset1:160
	s_waitcnt lgkmcnt(1)
	v_pk_fma_f16 v29, v60, v48, v29
	v_pk_fma_f16 v17, v61, v48, v17
	v_mul_u32_u24_sdwa v48, v49, s41 dst_sel:DWORD dst_unused:UNUSED_PAD src0_sel:WORD_1 src1_sel:DWORD
	v_pk_fma_f16 v29, v62, v48, v29
	v_pk_fma_f16 v17, v63, v48, v17
	ds_read2_b64 v[60:63], v64 offset0:192 offset1:224
	v_mul_u32_u24_sdwa v48, v50, s41 dst_sel:DWORD dst_unused:UNUSED_PAD src0_sel:WORD_0 src1_sel:DWORD
	s_waitcnt lgkmcnt(1)
	v_pk_fma_f16 v29, v56, v48, v29
	v_pk_fma_f16 v17, v57, v48, v17
	v_mul_u32_u24_sdwa v48, v50, s41 dst_sel:DWORD dst_unused:UNUSED_PAD src0_sel:WORD_1 src1_sel:DWORD
	v_pk_fma_f16 v29, v58, v48, v29
	v_pk_fma_f16 v17, v59, v48, v17
	v_mul_u32_u24_sdwa v48, v51, s41 dst_sel:DWORD dst_unused:UNUSED_PAD src0_sel:WORD_0 src1_sel:DWORD
	s_waitcnt lgkmcnt(0)
	v_pk_fma_f16 v29, v60, v48, v29
	v_add_u32_e32 v60, 0x3800, v28
	ds_read2_b64 v[56:59], v60 offset1:32
	v_pk_fma_f16 v17, v61, v48, v17
	v_mul_u32_u24_sdwa v48, v51, s41 dst_sel:DWORD dst_unused:UNUSED_PAD src0_sel:WORD_1 src1_sel:DWORD
	v_pk_fma_f16 v29, v62, v48, v29
	v_pk_fma_f16 v17, v63, v48, v17
	v_mul_u32_u24_sdwa v48, v52, s41 dst_sel:DWORD dst_unused:UNUSED_PAD src0_sel:WORD_0 src1_sel:DWORD
	s_waitcnt lgkmcnt(0)
	v_pk_fma_f16 v29, v56, v48, v29
	v_pk_fma_f16 v17, v57, v48, v17
	ds_read2_b64 v[48:51], v60 offset0:64 offset1:96
	v_mul_u32_u24_sdwa v52, v52, s41 dst_sel:DWORD dst_unused:UNUSED_PAD src0_sel:WORD_1 src1_sel:DWORD
	v_pk_fma_f16 v29, v58, v52, v29
	v_pk_fma_f16 v17, v59, v52, v17
	ds_read2_b64 v[56:59], v60 offset0:128 offset1:160
	v_mul_u32_u24_sdwa v52, v53, s41 dst_sel:DWORD dst_unused:UNUSED_PAD src0_sel:WORD_0 src1_sel:DWORD
	s_waitcnt lgkmcnt(1)
	v_pk_fma_f16 v29, v48, v52, v29
	v_pk_fma_f16 v17, v49, v52, v17
	v_mul_u32_u24_sdwa v48, v53, s41 dst_sel:DWORD dst_unused:UNUSED_PAD src0_sel:WORD_1 src1_sel:DWORD
	v_pk_fma_f16 v29, v50, v48, v29
	v_pk_fma_f16 v17, v51, v48, v17
	v_mul_u32_u24_sdwa v48, v54, s41 dst_sel:DWORD dst_unused:UNUSED_PAD src0_sel:WORD_0 src1_sel:DWORD
	s_waitcnt lgkmcnt(0)
	v_pk_fma_f16 v29, v56, v48, v29
	v_pk_fma_f16 v17, v57, v48, v17
	v_mul_u32_u24_sdwa v48, v54, s41 dst_sel:DWORD dst_unused:UNUSED_PAD src0_sel:WORD_1 src1_sel:DWORD
	v_pk_fma_f16 v29, v58, v48, v29
	v_pk_fma_f16 v17, v59, v48, v17
	ds_read2_b64 v[48:51], v60 offset0:192 offset1:224
	s_waitcnt lgkmcnt(0)
	s_barrier
	s_load_dword s4, s[8:9], 0x4
	v_mul_u32_u24_sdwa v52, v55, s41 dst_sel:DWORD dst_unused:UNUSED_PAD src0_sel:WORD_0 src1_sel:DWORD
	v_pk_fma_f16 v29, v48, v52, v29
	v_pk_fma_f16 v17, v49, v52, v17
	v_mul_u32_u24_sdwa v48, v55, s41 dst_sel:DWORD dst_unused:UNUSED_PAD src0_sel:WORD_1 src1_sel:DWORD
	s_waitcnt lgkmcnt(0)
	s_lshl_b32 s4, s4, 6
	s_add_i32 s29, s4, s29
	v_pk_fma_f16 v29, v50, v48, v29
	s_cmp_lt_i32 s29, s12
	v_pk_fma_f16 v17, v51, v48, v17
	s_cbranch_scc0 .LBB89_24
; %bb.21:                               ;   in Loop: Header=BB89_8 Depth=1
	v_mov_b32_e32 v49, v6
	v_mov_b32_e32 v48, v7
	s_branch .LBB89_8
.LBB89_22:                              ;   in Loop: Header=BB89_8 Depth=1
	v_mov_b32_e32 v52, 0
	v_cmp_nlt_f32_e64 s[10:11], |v51|, s13
                                        ; implicit-def: $vgpr54
	s_and_saveexec_b64 s[42:43], s[10:11]
	s_xor_b64 s[10:11], exec, s[42:43]
	s_cbranch_execz .LBB89_15
	s_branch .LBB89_14
.LBB89_23:
	v_mov_b32_e32 v17, 0
	v_mov_b32_e32 v6, 0xfeffffff
	;; [unrolled: 1-line block ×3, first 2 shown]
.LBB89_24:
	s_cmp_gt_i32 s38, s29
	s_cbranch_scc1 .LBB89_26
; %bb.25:
	v_mbcnt_hi_u32_b32 v14, -1, v32
	v_and_b32_e32 v2, 0x60, v14
	v_add_u32_e32 v15, 32, v2
	v_xor_b32_e32 v18, 16, v14
	v_xor_b32_e32 v16, 8, v14
	;; [unrolled: 1-line block ×5, first 2 shown]
	s_cbranch_execz .LBB89_27
	s_branch .LBB89_46
.LBB89_26:
                                        ; implicit-def: $vgpr14
                                        ; implicit-def: $vgpr15
                                        ; implicit-def: $vgpr18
                                        ; implicit-def: $vgpr16
                                        ; implicit-def: $vgpr19
                                        ; implicit-def: $vgpr20
                                        ; implicit-def: $vgpr21
.LBB89_27:
	s_mul_hi_i32 s5, s29, s18
	s_mul_i32 s4, s29, s18
	s_sub_i32 s30, s38, s29
	s_lshl_b64 s[4:5], s[4:5], 2
	v_lshl_add_u32 v10, v30, 1, v33
	s_mov_b64 s[6:7], src_private_base
	s_add_u32 s8, s19, s4
	v_mul_lo_u32 v2, s18, v10
	s_mov_b32 s4, 0
	s_addc_u32 s9, s28, s5
	v_ashrrev_i32_e32 v3, 31, v2
	s_mov_b32 s6, s4
	v_mov_b32_e32 v9, 0
	v_lshlrev_b32_e32 v8, 2, v0
	s_mov_b32 s5, s4
	v_mov_b32_e32 v36, s6
	v_lshl_add_u64 v[12:13], v[2:3], 2, s[8:9]
	v_mov_b32_e32 v35, s5
	v_mov_b32_e32 v34, s4
	v_lshl_add_u64 v[12:13], v[12:13], 0, v[8:9]
	v_mov_b32_e32 v0, s7
	v_cmp_gt_i32_e64 s[12:13], s30, v10
	v_mov_b32_e32 v16, 0
	scratch_store_dword off, v9, off
	scratch_store_dwordx3 off, v[34:36], off offset:4
	v_cndmask_b32_e64 v13, v0, v13, s[12:13]
	v_cndmask_b32_e64 v12, v16, v12, s[12:13]
	flat_load_dwordx4 v[12:15], v[12:13]
	s_lshl_b32 s10, s18, 4
	v_add_u32_e32 v2, s10, v2
	v_ashrrev_i32_e32 v3, 31, v2
	s_movk_i32 s4, 0x110
	v_add_u32_e32 v11, 16, v10
	v_lshl_add_u64 v[18:19], v[2:3], 2, s[8:9]
	v_mad_u32_u24 v22, v10, s4, v8
	v_lshl_add_u64 v[18:19], v[18:19], 0, v[8:9]
	v_cmp_gt_i32_e64 s[6:7], s30, v11
	scratch_store_dword off, v9, off
	scratch_store_dwordx3 off, v[34:36], off offset:4
	v_cndmask_b32_e64 v19, v0, v19, s[6:7]
	v_cndmask_b32_e64 v18, v16, v18, s[6:7]
	v_add_u32_e32 v2, s10, v2
	v_ashrrev_i32_e32 v3, 31, v2
	s_waitcnt vmcnt(0) lgkmcnt(0)
	ds_write_b128 v22, v[12:15]
	flat_load_dwordx4 v[18:21], v[18:19]
	v_add_u32_e32 v12, 32, v10
	v_lshl_add_u64 v[14:15], v[2:3], 2, s[8:9]
	v_lshl_add_u64 v[14:15], v[14:15], 0, v[8:9]
	v_cmp_gt_i32_e64 s[4:5], s30, v12
	scratch_store_dword off, v9, off
	scratch_store_dwordx3 off, v[34:36], off offset:4
	v_cndmask_b32_e64 v15, v0, v15, s[4:5]
	v_cndmask_b32_e64 v14, v16, v14, s[4:5]
	v_add_u32_e32 v2, s10, v2
	v_ashrrev_i32_e32 v3, 31, v2
	v_add_u32_e32 v13, 48, v10
	v_lshl_add_u64 v[2:3], v[2:3], 2, s[8:9]
	v_lshl_add_u64 v[2:3], v[2:3], 0, v[8:9]
	v_cmp_gt_i32_e64 s[8:9], s30, v13
	s_mov_b32 s10, 0x3f200000
	s_waitcnt vmcnt(0) lgkmcnt(0)
	ds_write_b128 v22, v[18:21] offset:4352
	flat_load_dwordx4 v[18:21], v[14:15]
	v_cndmask_b32_e64 v3, v0, v3, s[8:9]
	v_cndmask_b32_e64 v2, v16, v2, s[8:9]
	scratch_store_dword off, v9, off
	scratch_store_dwordx3 off, v[34:36], off offset:4
	v_mov_b32_e32 v0, v9
	s_waitcnt vmcnt(0) lgkmcnt(0)
	ds_write_b128 v22, v[18:21] offset:8704
	flat_load_dwordx4 v[18:21], v[2:3]
	v_mul_u32_u24_e32 v2, 0x110, v4
                                        ; implicit-def: $vgpr3
	s_waitcnt vmcnt(0) lgkmcnt(0)
	ds_write_b128 v22, v[18:21] offset:13056
	s_waitcnt lgkmcnt(0)
	s_barrier
	ds_read_b128 v[18:21], v2
	ds_read_b128 v[22:25], v5
	ds_read_b128 v[34:37], v2 offset:8704
	s_waitcnt lgkmcnt(1)
	;;#ASMSTART
	v_dot2_f32_f16 v0, v18, v22, v0
	;;#ASMEND
	s_nop 0
	;;#ASMSTART
	v_dot2_f32_f16 v0, v19, v23, v0
	;;#ASMEND
	s_nop 0
	;;#ASMSTART
	v_dot2_f32_f16 v0, v20, v24, v0
	;;#ASMEND
	s_nop 0
	;;#ASMSTART
	v_dot2_f32_f16 v0, v21, v25, v0
	;;#ASMEND
	s_waitcnt lgkmcnt(0)
	;;#ASMSTART
	v_dot2_f32_f16 v9, v34, v22, v9
	;;#ASMEND
	s_nop 0
	;;#ASMSTART
	v_dot2_f32_f16 v9, v35, v23, v9
	;;#ASMEND
	s_nop 0
	;;#ASMSTART
	v_dot2_f32_f16 v9, v36, v24, v9
	;;#ASMEND
	s_nop 0
	;;#ASMSTART
	v_dot2_f32_f16 v9, v37, v25, v9
	;;#ASMEND
	ds_read_b128 v[18:21], v2 offset:16
	ds_read_b128 v[22:25], v5 offset:16
	ds_read_b128 v[34:37], v2 offset:8720
	s_waitcnt lgkmcnt(1)
	;;#ASMSTART
	v_dot2_f32_f16 v0, v18, v22, v0
	;;#ASMEND
	s_nop 0
	;;#ASMSTART
	v_dot2_f32_f16 v0, v19, v23, v0
	;;#ASMEND
	s_nop 0
	;;#ASMSTART
	v_dot2_f32_f16 v0, v20, v24, v0
	;;#ASMEND
	s_nop 0
	;;#ASMSTART
	v_dot2_f32_f16 v0, v21, v25, v0
	;;#ASMEND
	s_waitcnt lgkmcnt(0)
	;;#ASMSTART
	v_dot2_f32_f16 v9, v34, v22, v9
	;;#ASMEND
	s_nop 0
	;;#ASMSTART
	v_dot2_f32_f16 v9, v35, v23, v9
	;;#ASMEND
	s_nop 0
	;;#ASMSTART
	v_dot2_f32_f16 v9, v36, v24, v9
	;;#ASMEND
	s_nop 0
	;;#ASMSTART
	v_dot2_f32_f16 v9, v37, v25, v9
	;;#ASMEND
	ds_read_b128 v[18:21], v2 offset:32
	ds_read_b128 v[22:25], v5 offset:32
	;; [unrolled: 35-line block ×15, first 2 shown]
	ds_read_b128 v[34:37], v2 offset:8944
	s_waitcnt lgkmcnt(1)
	;;#ASMSTART
	v_dot2_f32_f16 v0, v18, v22, v0
	;;#ASMEND
	s_nop 0
	;;#ASMSTART
	v_dot2_f32_f16 v0, v19, v23, v0
	;;#ASMEND
	s_nop 0
	;; [unrolled: 4-line block ×3, first 2 shown]
	;;#ASMSTART
	v_dot2_f32_f16 v0, v21, v25, v0
	;;#ASMEND
	s_waitcnt lgkmcnt(0)
	;;#ASMSTART
	v_dot2_f32_f16 v9, v34, v22, v9
	;;#ASMEND
	s_nop 0
	;;#ASMSTART
	v_dot2_f32_f16 v9, v35, v23, v9
	;;#ASMEND
	v_cmp_nlt_f32_e64 s[10:11], |v0|, s10
	;;#ASMSTART
	v_dot2_f32_f16 v9, v36, v24, v9
	;;#ASMEND
	s_nop 0
	;;#ASMSTART
	v_dot2_f32_f16 v9, v37, v25, v9
	;;#ASMEND
	s_and_saveexec_b64 s[18:19], s[10:11]
	s_xor_b64 s[10:11], exec, s[18:19]
	s_cbranch_execz .LBB89_29
; %bb.28:
	v_add_f32_e64 v2, |v0|, |v0|
	v_mul_f32_e32 v3, 0x3fb8aa3b, v2
	s_mov_b32 s18, 0x3fb8aa3b
	v_rndne_f32_e32 v5, v3
	v_sub_f32_e32 v14, v3, v5
	v_fma_f32 v3, v2, s18, -v3
	v_fmamk_f32 v3, v2, 0x32a5705f, v3
	v_add_f32_e32 v3, v14, v3
	v_exp_f32_e32 v3, v3
	v_cvt_i32_f32_e32 v5, v5
	s_mov_b32 s18, 0xc2ce8ed0
	v_cmp_ngt_f32_e32 vcc, s18, v2
	s_mov_b32 s18, 0x42b17218
	v_ldexp_f32 v3, v3, v5
	v_cndmask_b32_e32 v3, 0, v3, vcc
	v_mov_b32_e32 v5, 0x7f800000
	v_cmp_nlt_f32_e32 vcc, s18, v2
	s_nop 1
	v_cndmask_b32_e32 v2, v5, v3, vcc
	v_add_f32_e32 v2, 1.0, v2
	v_rcp_f32_e32 v2, v2
	s_nop 0
	v_fma_f32 v3, v2, -2.0, 1.0
.LBB89_29:
	s_andn2_saveexec_b64 s[10:11], s[10:11]
; %bb.30:
	v_mul_f32_e32 v2, v0, v0
	v_mov_b32_e32 v3, 0x3ca908c9
	v_fmac_f32_e32 v3, 0xbbbac73d, v2
	v_fmaak_f32 v3, v2, v3, 0xbd5c1c4e
	v_fmaak_f32 v3, v2, v3, 0x3e088382
	;; [unrolled: 1-line block ×3, first 2 shown]
	v_mul_f32_e64 v3, |v0|, v3
	v_fma_f32 v3, v2, v3, |v0|
; %bb.31:
	s_or_b64 exec, exec, s[10:11]
	s_cmp_lg_u64 s[36:37], 0
	s_brev_b32 s10, -2
	v_mul_lo_u32 v1, v1, s14
	v_bfi_b32 v0, s10, v3, v0
	s_cselect_b64 s[10:11], -1, 0
	v_add_u32_e32 v2, s29, v1
	v_cndmask_b32_e64 v1, 0, 1, s[10:11]
	v_mul_f32_e32 v0, s15, v0
	v_cmp_gt_i32_e32 vcc, s30, v4
	v_cmp_ne_u32_e64 s[10:11], 1, v1
	v_mov_b32_e32 v19, v6
	s_and_saveexec_b64 s[18:19], vcc
	s_cbranch_execz .LBB89_36
; %bb.32:
	s_and_b64 vcc, exec, s[10:11]
	s_cbranch_vccnz .LBB89_34
; %bb.33:
	v_add_u32_e32 v14, v2, v4
	v_ashrrev_i32_e32 v15, 31, v14
	v_lshl_add_u64 v[14:15], v[14:15], 1, s[36:37]
	global_load_ushort v1, v[14:15], off
	s_waitcnt vmcnt(0)
	v_cvt_f32_f16_e32 v1, v1
	v_mul_f32_e32 v1, v31, v1
	s_branch .LBB89_35
.LBB89_34:
	v_mov_b32_e32 v1, 0
.LBB89_35:
	v_add_f32_e32 v0, v0, v1
	v_add_f32_e32 v1, 0x40051340, v0
	v_max_f32_e32 v3, v6, v6
	v_max_f32_e32 v19, v3, v1
.LBB89_36:
	s_or_b64 exec, exec, s[18:19]
	s_mov_b32 s14, 0x3f200000
	v_cmp_nlt_f32_e64 s[18:19], |v9|, s14
                                        ; implicit-def: $vgpr1
	s_and_saveexec_b64 s[38:39], s[18:19]
	s_xor_b64 s[18:19], exec, s[38:39]
	s_cbranch_execz .LBB89_38
; %bb.37:
	v_add_f32_e64 v1, |v9|, |v9|
	v_mul_f32_e32 v3, 0x3fb8aa3b, v1
	s_mov_b32 s14, 0x3fb8aa3b
	v_rndne_f32_e32 v5, v3
	v_sub_f32_e32 v14, v3, v5
	v_fma_f32 v3, v1, s14, -v3
	v_fmamk_f32 v3, v1, 0x32a5705f, v3
	v_add_f32_e32 v3, v14, v3
	v_exp_f32_e32 v3, v3
	v_cvt_i32_f32_e32 v5, v5
	s_mov_b32 s14, 0xc2ce8ed0
	v_cmp_ngt_f32_e32 vcc, s14, v1
	s_mov_b32 s14, 0x42b17218
	v_ldexp_f32 v3, v3, v5
	v_cndmask_b32_e32 v3, 0, v3, vcc
	v_mov_b32_e32 v5, 0x7f800000
	v_cmp_nlt_f32_e32 vcc, s14, v1
	s_nop 1
	v_cndmask_b32_e32 v1, v5, v3, vcc
	v_add_f32_e32 v1, 1.0, v1
	v_rcp_f32_e32 v1, v1
	s_nop 0
	v_fma_f32 v1, v1, -2.0, 1.0
.LBB89_38:
	s_andn2_saveexec_b64 s[18:19], s[18:19]
; %bb.39:
	v_mul_f32_e32 v1, v9, v9
	v_mov_b32_e32 v3, 0x3ca908c9
	v_fmac_f32_e32 v3, 0xbbbac73d, v1
	v_fmaak_f32 v3, v1, v3, 0xbd5c1c4e
	v_fmaak_f32 v3, v1, v3, 0x3e088382
	v_fmaak_f32 v3, v1, v3, 0xbeaaaa99
	v_mul_f32_e64 v3, |v9|, v3
	v_fma_f32 v1, v1, v3, |v9|
; %bb.40:
	s_or_b64 exec, exec, s[18:19]
	s_brev_b32 s14, -2
	v_add_u32_e32 v22, 32, v4
	v_bfi_b32 v1, s14, v1, v9
	v_mul_f32_e32 v1, s15, v1
	v_cmp_gt_i32_e32 vcc, s30, v22
	s_and_saveexec_b64 s[14:15], vcc
	s_cbranch_execz .LBB89_45
; %bb.41:
	s_and_b64 vcc, exec, s[10:11]
	s_cbranch_vccnz .LBB89_43
; %bb.42:
	v_ashrrev_i32_e32 v3, 31, v2
	v_mov_b32_e32 v5, 0
	v_lshl_add_u64 v[2:3], v[2:3], 0, v[4:5]
	v_lshl_add_u64 v[2:3], v[2:3], 1, s[36:37]
	global_load_ushort v2, v[2:3], off offset:64
	s_waitcnt vmcnt(0)
	v_cvt_f32_f16_e32 v2, v2
	v_mul_f32_e32 v2, v31, v2
	s_branch .LBB89_44
.LBB89_43:
	v_mov_b32_e32 v2, 0
.LBB89_44:
	v_add_f32_e32 v1, v1, v2
	v_add_f32_e32 v2, 0x40051340, v1
	v_max_f32_e32 v3, v19, v19
	v_max_f32_e32 v19, v3, v2
.LBB89_45:
	s_or_b64 exec, exec, s[14:15]
	v_mbcnt_hi_u32_b32 v14, -1, v32
	v_and_b32_e32 v2, 0x60, v14
	v_add_u32_e32 v15, 32, v2
	v_xor_b32_e32 v18, 16, v14
	v_cmp_lt_i32_e32 vcc, v18, v15
	v_xor_b32_e32 v16, 8, v14
	v_max_f32_e32 v5, v19, v19
	v_cndmask_b32_e32 v2, v14, v18, vcc
	v_lshlrev_b32_e32 v2, 2, v2
	ds_bpermute_b32 v2, v2, v19
	v_cmp_lt_i32_e32 vcc, v16, v15
	v_xor_b32_e32 v19, 4, v14
	v_xor_b32_e32 v20, 2, v14
	v_cndmask_b32_e32 v3, v14, v16, vcc
	s_waitcnt lgkmcnt(0)
	v_max_f32_e32 v2, v2, v2
	v_lshlrev_b32_e32 v3, 2, v3
	v_max_f32_e32 v2, v5, v2
	ds_bpermute_b32 v3, v3, v2
	v_cmp_lt_i32_e32 vcc, v19, v15
	v_xor_b32_e32 v21, 1, v14
	s_mov_b32 s15, 0x3fb8aa3b
	v_cndmask_b32_e32 v5, v14, v19, vcc
	s_waitcnt lgkmcnt(0)
	v_max_f32_e32 v3, v3, v3
	v_lshlrev_b32_e32 v5, 2, v5
	v_max_f32_e32 v2, v2, v3
	ds_bpermute_b32 v3, v5, v2
	v_cmp_lt_i32_e32 vcc, v20, v15
	s_mov_b64 s[10:11], src_private_base
	s_mov_b32 s10, 0xc2ce8ed0
	v_cndmask_b32_e32 v5, v14, v20, vcc
	s_waitcnt lgkmcnt(0)
	v_max_f32_e32 v3, v3, v3
	v_lshlrev_b32_e32 v5, 2, v5
	v_max_f32_e32 v2, v2, v3
	ds_bpermute_b32 v3, v5, v2
	v_cmp_lt_i32_e32 vcc, v21, v15
	s_mov_b32 s14, 0x42b17218
	s_movk_i32 s18, 0x4c00
	v_cndmask_b32_e32 v5, v14, v21, vcc
	s_waitcnt lgkmcnt(0)
	v_max_f32_e32 v3, v3, v3
	v_lshlrev_b32_e32 v5, 2, v5
	v_max_f32_e32 v2, v2, v3
	ds_bpermute_b32 v3, v5, v2
	s_mul_hi_i32 s19, s29, s2
	s_mov_b32 s28, 0
	s_waitcnt lgkmcnt(0)
	s_barrier
	v_max_f32_e32 v3, v3, v3
	v_max_f32_e32 v31, v2, v3
	v_sub_f32_e32 v0, v0, v31
	v_mul_f32_e32 v2, 0x3fb8aa3b, v0
	v_fma_f32 v3, v0, s15, -v2
	v_rndne_f32_e32 v5, v2
	v_fmac_f32_e32 v3, 0x32a5705f, v0
	v_sub_f32_e32 v2, v2, v5
	v_add_f32_e32 v2, v2, v3
	v_exp_f32_e32 v2, v2
	v_cvt_i32_f32_e32 v3, v5
	v_cmp_ngt_f32_e32 vcc, s10, v0
	v_lshlrev_b32_e32 v5, 7, v30
	v_mov_b32_e32 v30, 0x7f800000
	v_ldexp_f32 v2, v2, v3
	v_cndmask_b32_e32 v2, 0, v2, vcc
	v_cmp_nlt_f32_e32 vcc, s14, v0
	v_sub_f32_e32 v1, v1, v31
	s_nop 0
	v_cndmask_b32_e32 v0, v30, v2, vcc
	v_mul_f32_e32 v2, 0x3fb8aa3b, v1
	v_fma_f32 v3, v1, s15, -v2
	v_rndne_f32_e32 v9, v2
	v_fmac_f32_e32 v3, 0x32a5705f, v1
	v_sub_f32_e32 v2, v2, v9
	v_add_f32_e32 v2, v2, v3
	v_exp_f32_e32 v2, v2
	v_cvt_i32_f32_e32 v3, v9
	v_cmp_gt_u32_e32 vcc, s30, v4
	v_mov_b32_e32 v9, 0
	v_mov_b32_e32 v34, s11
	v_cndmask_b32_e32 v32, 0, v0, vcc
	v_ldexp_f32 v2, v2, v3
	v_cmp_ngt_f32_e32 vcc, s10, v1
	v_cvt_f16_f32_e32 v0, v32
	v_mov_b32_e32 v35, 0
	v_cndmask_b32_e32 v2, 0, v2, vcc
	v_cmp_nlt_f32_e32 vcc, s14, v1
	v_lshl_or_b32 v12, v12, 8, v8
	v_sub_f32_e32 v6, v6, v31
	v_cndmask_b32_e32 v1, v30, v2, vcc
	v_cmp_gt_u32_e32 vcc, s30, v22
	v_lshlrev_b32_e32 v2, 1, v4
	v_add3_u32 v2, v5, s18, v2
	v_cndmask_b32_e32 v33, 0, v1, vcc
	s_mul_i32 s18, s29, s2
	v_cvt_f16_f32_e32 v1, v33
	s_lshl_b64 s[18:19], s[18:19], 2
	s_add_u32 s18, s24, s18
	v_mul_lo_u32 v22, s2, v10
	s_addc_u32 s19, s25, s19
	v_ashrrev_i32_e32 v23, 31, v22
	s_mov_b32 s30, s28
	ds_write_b16 v2, v0
	ds_write_b16 v2, v1 offset:64
	v_lshl_add_u64 v[0:1], v[22:23], 2, s[18:19]
	s_mov_b32 s29, s28
	v_mov_b32_e32 v38, s30
	v_lshl_add_u64 v[0:1], v[0:1], 0, v[8:9]
	v_mov_b32_e32 v37, s29
	v_mov_b32_e32 v36, s28
	scratch_store_dword off, v9, off
	scratch_store_dwordx3 off, v[36:38], off offset:4
	v_cndmask_b32_e64 v1, v34, v1, s[12:13]
	v_cndmask_b32_e64 v0, v35, v0, s[12:13]
	flat_load_dwordx4 v[0:3], v[0:1]
	s_lshl_b32 s2, s2, 4
	v_add_u32_e32 v22, s2, v22
	v_ashrrev_i32_e32 v23, 31, v22
	v_lshl_add_u64 v[24:25], v[22:23], 2, s[18:19]
	v_lshl_or_b32 v10, v10, 8, v8
	v_lshl_add_u64 v[24:25], v[24:25], 0, v[8:9]
	v_cndmask_b32_e64 v25, v34, v25, s[6:7]
	v_cndmask_b32_e64 v24, v35, v24, s[6:7]
	scratch_store_dword off, v9, off
	scratch_store_dwordx3 off, v[36:38], off offset:4
	v_cmp_ngt_f32_e32 vcc, s10, v6
	v_add_f32_e32 v78, v32, v33
	v_add_u32_e32 v70, 0x1800, v28
	v_add_u32_e32 v74, 0x2000, v28
	;; [unrolled: 1-line block ×5, first 2 shown]
	s_waitcnt vmcnt(0) lgkmcnt(0)
	ds_write_b128 v10, v[0:3]
	flat_load_dwordx4 v[0:3], v[24:25]
	v_add_u32_e32 v10, s2, v22
	v_lshl_or_b32 v24, v11, 8, v8
	v_ashrrev_i32_e32 v11, 31, v10
	v_lshl_add_u64 v[22:23], v[10:11], 2, s[18:19]
	v_lshl_add_u64 v[22:23], v[22:23], 0, v[8:9]
	v_cndmask_b32_e64 v23, v34, v23, s[4:5]
	v_cndmask_b32_e64 v22, v35, v22, s[4:5]
	scratch_store_dword off, v9, off
	scratch_store_dwordx3 off, v[36:38], off offset:4
	v_add_u32_e32 v10, s2, v10
	v_ashrrev_i32_e32 v11, 31, v10
	v_lshl_add_u64 v[10:11], v[10:11], 2, s[18:19]
	v_lshl_add_u64 v[10:11], v[10:11], 0, v[8:9]
	v_cndmask_b32_e64 v11, v34, v11, s[8:9]
	v_cndmask_b32_e64 v10, v35, v10, s[8:9]
	s_mov_b32 s2, 0x10001
	v_lshl_or_b32 v8, v13, 8, v8
	v_add_u32_e32 v13, 0x1000, v28
	s_waitcnt vmcnt(0) lgkmcnt(0)
	ds_write_b128 v24, v[0:3]
	flat_load_dwordx4 v[0:3], v[22:23]
	s_nop 0
	scratch_store_dword off, v9, off
	scratch_store_dwordx3 off, v[36:38], off offset:4
	v_mul_f32_e32 v9, 0x3fb8aa3b, v6
	s_waitcnt vmcnt(0) lgkmcnt(0)
	ds_write_b128 v12, v[0:3]
	flat_load_dwordx4 v[0:3], v[10:11]
	v_fma_f32 v10, v6, s15, -v9
	v_rndne_f32_e32 v11, v9
	v_fmac_f32_e32 v10, 0x32a5705f, v6
	v_sub_f32_e32 v9, v9, v11
	v_add_f32_e32 v9, v9, v10
	v_cvt_i32_f32_e32 v11, v11
	v_exp_f32_e32 v9, v9
	v_add_u32_e32 v12, 0x800, v28
	v_ldexp_f32 v9, v9, v11
	v_cndmask_b32_e32 v9, 0, v9, vcc
	v_cmp_nlt_f32_e32 vcc, s14, v6
	v_mov_b32_e32 v6, v31
	s_waitcnt vmcnt(0) lgkmcnt(0)
	ds_write_b128 v8, v[0:3]
	v_cndmask_b32_e32 v9, v30, v9, vcc
	v_cvt_f16_f32_e32 v10, v9
	v_fmac_f32_e32 v78, v7, v9
	s_waitcnt lgkmcnt(0)
	s_barrier
	v_mul_u32_u24_e32 v7, 0x10001, v10
	ds_read2_b64 v[0:3], v28 offset1:32
	ds_read_b128 v[8:11], v5 offset:19456
	ds_read_b128 v[22:25], v5 offset:19472
	;; [unrolled: 1-line block ×4, first 2 shown]
	ds_read2_b64 v[38:41], v28 offset0:64 offset1:96
	ds_read2_b64 v[42:45], v28 offset0:128 offset1:160
	;; [unrolled: 1-line block ×3, first 2 shown]
	ds_read2_b64 v[50:53], v12 offset1:32
	ds_read2_b64 v[54:57], v12 offset0:64 offset1:96
	ds_read2_b64 v[58:61], v12 offset0:128 offset1:160
	;; [unrolled: 1-line block ×3, first 2 shown]
	ds_read2_b64 v[66:69], v13 offset1:32
	s_waitcnt lgkmcnt(11)
	v_mul_u32_u24_sdwa v12, v8, s2 dst_sel:DWORD dst_unused:UNUSED_PAD src0_sel:WORD_0 src1_sel:DWORD
	v_pk_mul_f16 v0, v0, v12
	v_pk_mul_f16 v1, v1, v12
	v_pk_fma_f16 v0, v29, v7, v0
	v_mul_u32_u24_sdwa v8, v8, s2 dst_sel:DWORD dst_unused:UNUSED_PAD src0_sel:WORD_1 src1_sel:DWORD
	v_pk_fma_f16 v1, v17, v7, v1
	v_pk_fma_f16 v7, v2, v8, v0
	;; [unrolled: 1-line block ×3, first 2 shown]
	v_mul_u32_u24_sdwa v12, v9, s2 dst_sel:DWORD dst_unused:UNUSED_PAD src0_sel:WORD_0 src1_sel:DWORD
	v_mul_u32_u24_sdwa v9, v9, s2 dst_sel:DWORD dst_unused:UNUSED_PAD src0_sel:WORD_1 src1_sel:DWORD
	s_waitcnt lgkmcnt(7)
	v_pk_fma_f16 v7, v38, v12, v7
	v_pk_fma_f16 v8, v39, v12, v8
	;; [unrolled: 1-line block ×4, first 2 shown]
	v_mul_u32_u24_sdwa v17, v10, s2 dst_sel:DWORD dst_unused:UNUSED_PAD src0_sel:WORD_0 src1_sel:DWORD
	v_mul_u32_u24_sdwa v28, v10, s2 dst_sel:DWORD dst_unused:UNUSED_PAD src0_sel:WORD_1 src1_sel:DWORD
	s_waitcnt lgkmcnt(6)
	v_pk_fma_f16 v7, v42, v17, v7
	v_pk_fma_f16 v12, v43, v17, v12
	v_mul_u32_u24_sdwa v29, v11, s2 dst_sel:DWORD dst_unused:UNUSED_PAD src0_sel:WORD_0 src1_sel:DWORD
	v_pk_fma_f16 v7, v44, v28, v7
	v_pk_fma_f16 v12, v45, v28, v12
	v_mul_u32_u24_sdwa v71, v11, s2 dst_sel:DWORD dst_unused:UNUSED_PAD src0_sel:WORD_1 src1_sel:DWORD
	s_waitcnt lgkmcnt(5)
	v_pk_fma_f16 v7, v46, v29, v7
	v_pk_fma_f16 v12, v47, v29, v12
	ds_read2_b64 v[0:3], v13 offset0:64 offset1:96
	ds_read2_b64 v[38:41], v13 offset0:128 offset1:160
	;; [unrolled: 1-line block ×3, first 2 shown]
	v_pk_fma_f16 v7, v48, v71, v7
	v_pk_fma_f16 v12, v49, v71, v12
	v_mul_u32_u24_sdwa v13, v22, s2 dst_sel:DWORD dst_unused:UNUSED_PAD src0_sel:WORD_0 src1_sel:DWORD
	v_mul_u32_u24_sdwa v17, v22, s2 dst_sel:DWORD dst_unused:UNUSED_PAD src0_sel:WORD_1 src1_sel:DWORD
	s_waitcnt lgkmcnt(7)
	v_pk_fma_f16 v7, v50, v13, v7
	v_pk_fma_f16 v12, v51, v13, v12
	;; [unrolled: 1-line block ×4, first 2 shown]
	v_mul_u32_u24_sdwa v13, v23, s2 dst_sel:DWORD dst_unused:UNUSED_PAD src0_sel:WORD_0 src1_sel:DWORD
	s_waitcnt lgkmcnt(6)
	v_pk_fma_f16 v7, v54, v13, v7
	v_pk_fma_f16 v12, v55, v13, v12
	v_mul_u32_u24_sdwa v13, v23, s2 dst_sel:DWORD dst_unused:UNUSED_PAD src0_sel:WORD_1 src1_sel:DWORD
	v_pk_fma_f16 v7, v56, v13, v7
	v_pk_fma_f16 v12, v57, v13, v12
	v_mul_u32_u24_sdwa v13, v24, s2 dst_sel:DWORD dst_unused:UNUSED_PAD src0_sel:WORD_0 src1_sel:DWORD
	s_waitcnt lgkmcnt(5)
	v_pk_fma_f16 v7, v58, v13, v7
	v_pk_fma_f16 v12, v59, v13, v12
	v_mul_u32_u24_sdwa v13, v24, s2 dst_sel:DWORD dst_unused:UNUSED_PAD src0_sel:WORD_1 src1_sel:DWORD
	v_pk_fma_f16 v7, v60, v13, v7
	v_pk_fma_f16 v12, v61, v13, v12
	v_mul_u32_u24_sdwa v13, v25, s2 dst_sel:DWORD dst_unused:UNUSED_PAD src0_sel:WORD_0 src1_sel:DWORD
	v_mul_u32_u24_sdwa v17, v25, s2 dst_sel:DWORD dst_unused:UNUSED_PAD src0_sel:WORD_1 src1_sel:DWORD
	s_waitcnt lgkmcnt(4)
	v_pk_fma_f16 v7, v62, v13, v7
	v_pk_fma_f16 v12, v63, v13, v12
	v_pk_fma_f16 v7, v64, v17, v7
	v_pk_fma_f16 v12, v65, v17, v12
	v_mul_u32_u24_sdwa v13, v30, s2 dst_sel:DWORD dst_unused:UNUSED_PAD src0_sel:WORD_0 src1_sel:DWORD
	v_mul_u32_u24_sdwa v17, v30, s2 dst_sel:DWORD dst_unused:UNUSED_PAD src0_sel:WORD_1 src1_sel:DWORD
	s_waitcnt lgkmcnt(3)
	v_pk_fma_f16 v7, v66, v13, v7
	v_pk_fma_f16 v12, v67, v13, v12
	;; [unrolled: 7-line block ×3, first 2 shown]
	ds_read2_b64 v[42:45], v70 offset1:32
	v_mul_u32_u24_sdwa v7, v32, s2 dst_sel:DWORD dst_unused:UNUSED_PAD src0_sel:WORD_0 src1_sel:DWORD
	v_pk_fma_f16 v0, v2, v17, v0
	v_pk_fma_f16 v1, v3, v17, v1
	v_mul_u32_u24_sdwa v2, v32, s2 dst_sel:DWORD dst_unused:UNUSED_PAD src0_sel:WORD_1 src1_sel:DWORD
	s_waitcnt lgkmcnt(2)
	v_pk_fma_f16 v0, v38, v7, v0
	v_pk_fma_f16 v1, v39, v7, v1
	ds_read2_b64 v[46:49], v70 offset0:64 offset1:96
	v_pk_fma_f16 v7, v40, v2, v0
	v_pk_fma_f16 v12, v41, v2, v1
	v_mul_u32_u24_sdwa v13, v33, s2 dst_sel:DWORD dst_unused:UNUSED_PAD src0_sel:WORD_0 src1_sel:DWORD
	v_mul_u32_u24_sdwa v17, v33, s2 dst_sel:DWORD dst_unused:UNUSED_PAD src0_sel:WORD_1 src1_sel:DWORD
	s_waitcnt lgkmcnt(2)
	v_pk_fma_f16 v7, v8, v13, v7
	v_pk_fma_f16 v8, v9, v13, v12
	;; [unrolled: 1-line block ×4, first 2 shown]
	v_mul_u32_u24_sdwa v13, v34, s2 dst_sel:DWORD dst_unused:UNUSED_PAD src0_sel:WORD_0 src1_sel:DWORD
	ds_read2_b64 v[50:53], v70 offset0:128 offset1:160
	ds_read2_b64 v[70:73], v70 offset0:192 offset1:224
	v_mul_u32_u24_sdwa v17, v34, s2 dst_sel:DWORD dst_unused:UNUSED_PAD src0_sel:WORD_1 src1_sel:DWORD
	s_waitcnt lgkmcnt(3)
	v_pk_fma_f16 v7, v42, v13, v7
	v_pk_fma_f16 v12, v43, v13, v12
	;; [unrolled: 1-line block ×4, first 2 shown]
	v_mul_u32_u24_sdwa v13, v35, s2 dst_sel:DWORD dst_unused:UNUSED_PAD src0_sel:WORD_0 src1_sel:DWORD
	v_mul_u32_u24_sdwa v17, v35, s2 dst_sel:DWORD dst_unused:UNUSED_PAD src0_sel:WORD_1 src1_sel:DWORD
	s_waitcnt lgkmcnt(2)
	v_pk_fma_f16 v7, v46, v13, v7
	v_pk_fma_f16 v12, v47, v13, v12
	ds_read2_b64 v[54:57], v74 offset1:32
	ds_read2_b64 v[58:61], v74 offset0:64 offset1:96
	ds_read2_b64 v[22:25], v74 offset0:128 offset1:160
	;; [unrolled: 1-line block ×3, first 2 shown]
	ds_read2_b64 v[66:69], v75 offset1:32
	ds_read_b128 v[0:3], v5 offset:19520
	ds_read_b128 v[28:31], v5 offset:19536
	v_pk_fma_f16 v7, v48, v17, v7
	v_pk_fma_f16 v12, v49, v17, v12
	v_mul_u32_u24_sdwa v13, v36, s2 dst_sel:DWORD dst_unused:UNUSED_PAD src0_sel:WORD_0 src1_sel:DWORD
	v_mul_u32_u24_sdwa v17, v36, s2 dst_sel:DWORD dst_unused:UNUSED_PAD src0_sel:WORD_1 src1_sel:DWORD
	s_waitcnt lgkmcnt(8)
	v_pk_fma_f16 v7, v50, v13, v7
	v_pk_fma_f16 v12, v51, v13, v12
	v_mul_u32_u24_sdwa v36, v37, s2 dst_sel:DWORD dst_unused:UNUSED_PAD src0_sel:WORD_0 src1_sel:DWORD
	v_pk_fma_f16 v7, v52, v17, v7
	v_pk_fma_f16 v12, v53, v17, v12
	v_mul_u32_u24_sdwa v37, v37, s2 dst_sel:DWORD dst_unused:UNUSED_PAD src0_sel:WORD_1 src1_sel:DWORD
	s_waitcnt lgkmcnt(7)
	v_pk_fma_f16 v7, v70, v36, v7
	v_pk_fma_f16 v12, v71, v36, v12
	s_waitcnt lgkmcnt(1)
	v_mul_u32_u24_sdwa v13, v0, s2 dst_sel:DWORD dst_unused:UNUSED_PAD src0_sel:WORD_0 src1_sel:DWORD
	v_mul_u32_u24_sdwa v17, v0, s2 dst_sel:DWORD dst_unused:UNUSED_PAD src0_sel:WORD_1 src1_sel:DWORD
	v_pk_fma_f16 v0, v72, v37, v7
	v_pk_fma_f16 v7, v73, v37, v12
	;; [unrolled: 1-line block ×4, first 2 shown]
	v_mul_u32_u24_sdwa v12, v1, s2 dst_sel:DWORD dst_unused:UNUSED_PAD src0_sel:WORD_0 src1_sel:DWORD
	v_pk_fma_f16 v13, v56, v17, v54
	v_pk_fma_f16 v7, v57, v17, v7
	v_mul_u32_u24_sdwa v36, v1, s2 dst_sel:DWORD dst_unused:UNUSED_PAD src0_sel:WORD_1 src1_sel:DWORD
	v_pk_fma_f16 v13, v58, v12, v13
	v_pk_fma_f16 v7, v59, v12, v7
	v_mul_u32_u24_sdwa v37, v2, s2 dst_sel:DWORD dst_unused:UNUSED_PAD src0_sel:WORD_0 src1_sel:DWORD
	v_pk_fma_f16 v13, v60, v36, v13
	v_pk_fma_f16 v7, v61, v36, v7
	v_mul_u32_u24_sdwa v70, v2, s2 dst_sel:DWORD dst_unused:UNUSED_PAD src0_sel:WORD_1 src1_sel:DWORD
	v_pk_fma_f16 v13, v22, v37, v13
	v_pk_fma_f16 v7, v23, v37, v7
	ds_read2_b64 v[38:41], v75 offset0:64 offset1:96
	v_mul_u32_u24_sdwa v71, v3, s2 dst_sel:DWORD dst_unused:UNUSED_PAD src0_sel:WORD_0 src1_sel:DWORD
	v_pk_fma_f16 v13, v24, v70, v13
	v_pk_fma_f16 v7, v25, v70, v7
	v_mul_u32_u24_sdwa v72, v3, s2 dst_sel:DWORD dst_unused:UNUSED_PAD src0_sel:WORD_1 src1_sel:DWORD
	v_pk_fma_f16 v13, v62, v71, v13
	v_pk_fma_f16 v7, v63, v71, v7
	ds_read2_b64 v[8:11], v75 offset0:128 offset1:160
	s_waitcnt lgkmcnt(2)
	v_mul_u32_u24_sdwa v17, v28, s2 dst_sel:DWORD dst_unused:UNUSED_PAD src0_sel:WORD_0 src1_sel:DWORD
	v_pk_fma_f16 v13, v64, v72, v13
	v_pk_fma_f16 v7, v65, v72, v7
	v_mul_u32_u24_sdwa v73, v28, s2 dst_sel:DWORD dst_unused:UNUSED_PAD src0_sel:WORD_1 src1_sel:DWORD
	v_pk_fma_f16 v13, v66, v17, v13
	v_pk_fma_f16 v7, v67, v17, v7
	ds_read2_b64 v[42:45], v75 offset0:192 offset1:224
	v_mul_u32_u24_sdwa v12, v29, s2 dst_sel:DWORD dst_unused:UNUSED_PAD src0_sel:WORD_0 src1_sel:DWORD
	v_pk_fma_f16 v13, v68, v73, v13
	v_pk_fma_f16 v7, v69, v73, v7
	ds_read_b128 v[46:49], v5 offset:19552
	v_mul_u32_u24_sdwa v36, v29, s2 dst_sel:DWORD dst_unused:UNUSED_PAD src0_sel:WORD_1 src1_sel:DWORD
	s_waitcnt lgkmcnt(3)
	v_pk_fma_f16 v13, v38, v12, v13
	v_pk_fma_f16 v7, v39, v12, v7
	ds_read2_b64 v[32:35], v76 offset1:32
	v_mul_u32_u24_sdwa v58, v30, s2 dst_sel:DWORD dst_unused:UNUSED_PAD src0_sel:WORD_0 src1_sel:DWORD
	v_pk_fma_f16 v12, v40, v36, v13
	v_pk_fma_f16 v7, v41, v36, v7
	v_mul_u32_u24_sdwa v59, v30, s2 dst_sel:DWORD dst_unused:UNUSED_PAD src0_sel:WORD_1 src1_sel:DWORD
	s_waitcnt lgkmcnt(3)
	v_pk_fma_f16 v8, v8, v58, v12
	v_pk_fma_f16 v7, v9, v58, v7
	ds_read2_b64 v[50:53], v76 offset0:64 offset1:96
	v_mul_u32_u24_sdwa v60, v31, s2 dst_sel:DWORD dst_unused:UNUSED_PAD src0_sel:WORD_0 src1_sel:DWORD
	v_pk_fma_f16 v8, v10, v59, v8
	v_pk_fma_f16 v7, v11, v59, v7
	v_mul_u32_u24_sdwa v61, v31, s2 dst_sel:DWORD dst_unused:UNUSED_PAD src0_sel:WORD_1 src1_sel:DWORD
	s_waitcnt lgkmcnt(3)
	v_pk_fma_f16 v8, v42, v60, v8
	v_pk_fma_f16 v7, v43, v60, v7
	ds_read2_b64 v[0:3], v76 offset0:128 offset1:160
	ds_read_b128 v[28:31], v5 offset:19568
	s_waitcnt lgkmcnt(4)
	v_mul_u32_u24_sdwa v5, v46, s2 dst_sel:DWORD dst_unused:UNUSED_PAD src0_sel:WORD_0 src1_sel:DWORD
	v_pk_fma_f16 v8, v44, v61, v8
	v_pk_fma_f16 v7, v45, v61, v7
	v_mul_u32_u24_sdwa v74, v46, s2 dst_sel:DWORD dst_unused:UNUSED_PAD src0_sel:WORD_1 src1_sel:DWORD
	s_waitcnt lgkmcnt(3)
	v_pk_fma_f16 v8, v32, v5, v8
	v_pk_fma_f16 v5, v33, v5, v7
	ds_read2_b64 v[54:57], v76 offset0:192 offset1:224
	v_mul_u32_u24_sdwa v70, v47, s2 dst_sel:DWORD dst_unused:UNUSED_PAD src0_sel:WORD_0 src1_sel:DWORD
	v_pk_fma_f16 v7, v34, v74, v8
	v_pk_fma_f16 v5, v35, v74, v5
	v_mul_u32_u24_sdwa v75, v47, s2 dst_sel:DWORD dst_unused:UNUSED_PAD src0_sel:WORD_1 src1_sel:DWORD
	s_waitcnt lgkmcnt(3)
	v_pk_fma_f16 v7, v50, v70, v7
	v_pk_fma_f16 v5, v51, v70, v5
	v_mul_u32_u24_sdwa v76, v48, s2 dst_sel:DWORD dst_unused:UNUSED_PAD src0_sel:WORD_0 src1_sel:DWORD
	ds_read2_b64 v[22:25], v77 offset1:32
	v_pk_fma_f16 v7, v52, v75, v7
	v_pk_fma_f16 v5, v53, v75, v5
	v_mul_u32_u24_sdwa v79, v48, s2 dst_sel:DWORD dst_unused:UNUSED_PAD src0_sel:WORD_1 src1_sel:DWORD
	s_waitcnt lgkmcnt(3)
	v_pk_fma_f16 v0, v0, v76, v7
	v_pk_fma_f16 v1, v1, v76, v5
	v_mul_u32_u24_sdwa v80, v49, s2 dst_sel:DWORD dst_unused:UNUSED_PAD src0_sel:WORD_0 src1_sel:DWORD
	v_mul_u32_u24_sdwa v81, v49, s2 dst_sel:DWORD dst_unused:UNUSED_PAD src0_sel:WORD_1 src1_sel:DWORD
	ds_read2_b64 v[46:49], v77 offset0:64 offset1:96
	v_pk_fma_f16 v0, v2, v79, v0
	v_pk_fma_f16 v1, v3, v79, v1
	s_waitcnt lgkmcnt(2)
	v_pk_fma_f16 v0, v54, v80, v0
	v_pk_fma_f16 v1, v55, v80, v1
	v_mul_u32_u24_sdwa v62, v28, s2 dst_sel:DWORD dst_unused:UNUSED_PAD src0_sel:WORD_0 src1_sel:DWORD
	v_mul_u32_u24_sdwa v17, v28, s2 dst_sel:DWORD dst_unused:UNUSED_PAD src0_sel:WORD_1 src1_sel:DWORD
	v_mul_u32_u24_sdwa v63, v29, s2 dst_sel:DWORD dst_unused:UNUSED_PAD src0_sel:WORD_0 src1_sel:DWORD
	v_mul_u32_u24_sdwa v64, v29, s2 dst_sel:DWORD dst_unused:UNUSED_PAD src0_sel:WORD_1 src1_sel:DWORD
	;; [unrolled: 2-line block ×4, first 2 shown]
	ds_read2_b64 v[28:31], v77 offset0:128 offset1:160
	v_pk_fma_f16 v0, v56, v81, v0
	v_pk_fma_f16 v1, v57, v81, v1
	s_waitcnt lgkmcnt(2)
	v_pk_fma_f16 v0, v22, v62, v0
	v_pk_fma_f16 v1, v23, v62, v1
	ds_read2_b64 v[36:39], v77 offset0:192 offset1:224
	v_pk_fma_f16 v0, v24, v17, v0
	v_pk_fma_f16 v1, v25, v17, v1
	s_waitcnt lgkmcnt(2)
	v_pk_fma_f16 v0, v46, v63, v0
	v_pk_fma_f16 v1, v47, v63, v1
	v_pk_fma_f16 v0, v48, v64, v0
	v_pk_fma_f16 v1, v49, v64, v1
	s_waitcnt lgkmcnt(1)
	v_pk_fma_f16 v0, v28, v65, v0
	v_pk_fma_f16 v1, v29, v65, v1
	;; [unrolled: 5-line block ×3, first 2 shown]
	v_pk_fma_f16 v29, v38, v68, v0
	v_pk_fma_f16 v17, v39, v68, v1
	v_mov_b32_e32 v7, v78
	s_barrier
.LBB89_46:
	v_cmp_lt_i32_e32 vcc, v18, v15
	s_cmp_eq_u64 s[16:17], 0
	s_cselect_b64 s[4:5], -1, 0
	v_cndmask_b32_e32 v0, v14, v18, vcc
	v_lshlrev_b32_e32 v0, 2, v0
	ds_bpermute_b32 v0, v0, v7
	v_cmp_lt_i32_e32 vcc, v16, v15
	s_cmp_lg_u32 s3, 0
	s_cselect_b64 s[6:7], -1, 0
	v_cndmask_b32_e32 v1, v14, v16, vcc
	v_lshlrev_b32_e32 v1, 2, v1
	s_waitcnt lgkmcnt(0)
	v_add_f32_e32 v0, v7, v0
	ds_bpermute_b32 v1, v1, v0
	v_cmp_lt_i32_e32 vcc, v19, v15
	s_or_b64 s[4:5], s[6:7], s[4:5]
	s_waitcnt lgkmcnt(0)
	v_add_f32_e32 v0, v0, v1
	v_cndmask_b32_e32 v2, v14, v19, vcc
	v_lshlrev_b32_e32 v2, 2, v2
	ds_bpermute_b32 v1, v2, v0
	v_cmp_lt_i32_e32 vcc, v20, v15
	s_waitcnt lgkmcnt(0)
	v_add_f32_e32 v0, v0, v1
	v_cndmask_b32_e32 v2, v14, v20, vcc
	v_lshlrev_b32_e32 v2, 2, v2
	ds_bpermute_b32 v1, v2, v0
	v_cmp_lt_i32_e32 vcc, v21, v15
	s_waitcnt lgkmcnt(0)
	v_add_f32_e32 v0, v0, v1
	v_cndmask_b32_e32 v2, v14, v21, vcc
	v_lshlrev_b32_e32 v2, 2, v2
	ds_bpermute_b32 v1, v2, v0
	s_and_b64 vcc, exec, s[4:5]
	s_waitcnt lgkmcnt(0)
	v_add_f32_e32 v7, v0, v1
	s_cbranch_vccnz .LBB89_48
; %bb.47:
	s_lshl_b64 s[4:5], s[34:35], 2
	s_add_u32 s4, s16, s4
	s_addc_u32 s5, s17, s5
	v_mov_b32_e32 v0, 0
	global_load_dword v1, v0, s[4:5]
	v_max_f32_e32 v0, v6, v6
	s_mov_b32 s2, 0x3fb8aa3b
	s_mov_b32 s4, 0xc2ce8ed0
	s_waitcnt vmcnt(0)
	v_max_f32_e32 v2, v1, v1
	v_max_f32_e32 v0, v0, v2
	v_sub_f32_e32 v2, v6, v0
	v_sub_f32_e32 v1, v1, v0
	v_mul_f32_e32 v3, 0x3fb8aa3b, v2
	v_mul_f32_e32 v5, 0x3fb8aa3b, v1
	v_fma_f32 v6, v2, s2, -v3
	v_rndne_f32_e32 v8, v3
	v_fma_f32 v9, v1, s2, -v5
	v_rndne_f32_e32 v10, v5
	v_fmac_f32_e32 v6, 0x32a5705f, v2
	v_sub_f32_e32 v3, v3, v8
	v_fmac_f32_e32 v9, 0x32a5705f, v1
	v_sub_f32_e32 v5, v5, v10
	v_add_f32_e32 v3, v3, v6
	v_cvt_i32_f32_e32 v8, v8
	v_add_f32_e32 v5, v5, v9
	v_exp_f32_e32 v3, v3
	v_cvt_i32_f32_e32 v10, v10
	v_exp_f32_e32 v5, v5
	v_cmp_ngt_f32_e32 vcc, s4, v2
	v_ldexp_f32 v3, v3, v8
	s_mov_b32 s2, 0x42b17218
	v_ldexp_f32 v5, v5, v10
	v_cndmask_b32_e32 v3, 0, v3, vcc
	v_cmp_ngt_f32_e32 vcc, s4, v1
	v_mov_b32_e32 v6, 0x7f800000
	s_nop 0
	v_cndmask_b32_e32 v5, 0, v5, vcc
	v_cmp_nlt_f32_e32 vcc, s2, v2
	s_nop 1
	v_cndmask_b32_e32 v2, v6, v3, vcc
	v_cvt_f16_f32_e32 v3, v2
	v_cmp_nlt_f32_e32 vcc, s2, v1
	s_nop 1
	v_cndmask_b32_e32 v1, v6, v5, vcc
	v_fmac_f32_e32 v1, v7, v2
	v_mul_u32_u24_e32 v2, 0x10001, v3
	v_pk_mul_f16 v29, v29, v2
	v_pk_mul_f16 v17, v17, v2
	v_mov_b64_e32 v[6:7], v[0:1]
	v_cmp_gt_i32_e32 vcc, s26, v26
	s_and_saveexec_b64 s[4:5], vcc
	s_cbranch_execnz .LBB89_49
	s_branch .LBB89_51
.LBB89_48:
	v_mov_b32_e32 v1, v7
	v_cmp_gt_i32_e32 vcc, s26, v26
	s_and_saveexec_b64 s[4:5], vcc
	s_cbranch_execz .LBB89_51
.LBB89_49:
	s_load_dword s2, s[0:1], 0xd4
	v_div_scale_f32 v0, s[0:1], v1, v1, 1.0
	v_rcp_f32_e32 v5, v0
	s_mul_i32 s33, s33, s26
	s_waitcnt lgkmcnt(0)
	s_cmp_lg_u32 s2, 1
	s_cselect_b64 s[0:1], -1, 0
	v_fma_f32 v8, -v0, v5, 1.0
	v_fmac_f32_e32 v5, v8, v5
	v_div_scale_f32 v8, vcc, 1.0, v1, 1.0
	v_mul_f32_e32 v9, v8, v5
	v_fma_f32 v10, -v0, v9, v8
	v_fmac_f32_e32 v9, v10, v5
	v_fma_f32 v0, -v0, v9, v8
	v_div_fmas_f32 v0, v0, v5, v9
	v_div_fixup_f32 v0, v0, v1, 1.0
	v_cndmask_b32_e64 v8, v0, 1.0, s[0:1]
	v_add_u32_e32 v0, s33, v26
	v_mul_lo_u32 v0, v0, s27
	v_add_u32_e32 v0, s34, v0
	v_mul_lo_u32 v0, s2, v0
	v_add_u32_e32 v0, s3, v0
	v_mov_b32_e32 v2, s20
	v_mov_b32_e32 v3, s21
	v_lshl_add_u32 v10, v0, 7, v27
	v_mov_b32_e32 v11, 0
	v_lshl_add_u64 v[10:11], v[10:11], 2, v[2:3]
	v_cvt_f32_f16_sdwa v3, v29 dst_sel:DWORD dst_unused:UNUSED_PAD src0_sel:WORD_1
	v_cvt_f32_f16_e32 v2, v29
	v_cvt_f32_f16_sdwa v13, v17 dst_sel:DWORD dst_unused:UNUSED_PAD src0_sel:WORD_1
	v_cvt_f32_f16_e32 v12, v17
	v_cmp_eq_u32_e32 vcc, 0, v4
	s_and_b64 s[0:1], vcc, s[0:1]
	v_pk_mul_f32 v[2:3], v[8:9], v[2:3] op_sel_hi:[0,1]
	v_pk_mul_f32 v[4:5], v[8:9], v[12:13] op_sel_hi:[0,1]
	global_store_dwordx4 v[10:11], v[2:5], off
	s_and_b64 exec, exec, s[0:1]
	s_cbranch_execz .LBB89_51
; %bb.50:
	v_mov_b32_e32 v2, s22
	v_mov_b32_e32 v3, s23
	v_ashrrev_i32_e32 v1, 31, v0
	v_lshl_add_u64 v[0:1], v[0:1], 3, v[2:3]
	global_store_dwordx2 v[0:1], v[6:7], off
	s_endpgm
.LBB89_51:
	s_endpgm
	.section	.rodata,"a",@progbits
	.p2align	6, 0x0
	.amdhsa_kernel _ZL15flash_attn_tileILi128ELi128ELi8ELi1ELb1EEvPKcS1_S1_S1_S1_PKiPfP15HIP_vector_typeIfLj2EEffffjfiS5_IjLj3EEiiiiiiiiiiiliiliiiiil
		.amdhsa_group_segment_fixed_size 20480
		.amdhsa_private_segment_fixed_size 32
		.amdhsa_kernarg_size 464
		.amdhsa_user_sgpr_count 2
		.amdhsa_user_sgpr_dispatch_ptr 0
		.amdhsa_user_sgpr_queue_ptr 0
		.amdhsa_user_sgpr_kernarg_segment_ptr 1
		.amdhsa_user_sgpr_dispatch_id 0
		.amdhsa_user_sgpr_kernarg_preload_length 0
		.amdhsa_user_sgpr_kernarg_preload_offset 0
		.amdhsa_user_sgpr_private_segment_size 0
		.amdhsa_uses_dynamic_stack 0
		.amdhsa_enable_private_segment 1
		.amdhsa_system_sgpr_workgroup_id_x 1
		.amdhsa_system_sgpr_workgroup_id_y 1
		.amdhsa_system_sgpr_workgroup_id_z 1
		.amdhsa_system_sgpr_workgroup_info 0
		.amdhsa_system_vgpr_workitem_id 1
		.amdhsa_next_free_vgpr 82
		.amdhsa_next_free_sgpr 48
		.amdhsa_accum_offset 84
		.amdhsa_reserve_vcc 1
		.amdhsa_float_round_mode_32 0
		.amdhsa_float_round_mode_16_64 0
		.amdhsa_float_denorm_mode_32 3
		.amdhsa_float_denorm_mode_16_64 3
		.amdhsa_dx10_clamp 1
		.amdhsa_ieee_mode 1
		.amdhsa_fp16_overflow 0
		.amdhsa_tg_split 0
		.amdhsa_exception_fp_ieee_invalid_op 0
		.amdhsa_exception_fp_denorm_src 0
		.amdhsa_exception_fp_ieee_div_zero 0
		.amdhsa_exception_fp_ieee_overflow 0
		.amdhsa_exception_fp_ieee_underflow 0
		.amdhsa_exception_fp_ieee_inexact 0
		.amdhsa_exception_int_div_zero 0
	.end_amdhsa_kernel
	.section	.text._ZL15flash_attn_tileILi128ELi128ELi8ELi1ELb1EEvPKcS1_S1_S1_S1_PKiPfP15HIP_vector_typeIfLj2EEffffjfiS5_IjLj3EEiiiiiiiiiiiliiliiiiil,"axG",@progbits,_ZL15flash_attn_tileILi128ELi128ELi8ELi1ELb1EEvPKcS1_S1_S1_S1_PKiPfP15HIP_vector_typeIfLj2EEffffjfiS5_IjLj3EEiiiiiiiiiiiliiliiiiil,comdat
.Lfunc_end89:
	.size	_ZL15flash_attn_tileILi128ELi128ELi8ELi1ELb1EEvPKcS1_S1_S1_S1_PKiPfP15HIP_vector_typeIfLj2EEffffjfiS5_IjLj3EEiiiiiiiiiiiliiliiiiil, .Lfunc_end89-_ZL15flash_attn_tileILi128ELi128ELi8ELi1ELb1EEvPKcS1_S1_S1_S1_PKiPfP15HIP_vector_typeIfLj2EEffffjfiS5_IjLj3EEiiiiiiiiiiiliiliiiiil
                                        ; -- End function
	.set _ZL15flash_attn_tileILi128ELi128ELi8ELi1ELb1EEvPKcS1_S1_S1_S1_PKiPfP15HIP_vector_typeIfLj2EEffffjfiS5_IjLj3EEiiiiiiiiiiiliiliiiiil.num_vgpr, 82
	.set _ZL15flash_attn_tileILi128ELi128ELi8ELi1ELb1EEvPKcS1_S1_S1_S1_PKiPfP15HIP_vector_typeIfLj2EEffffjfiS5_IjLj3EEiiiiiiiiiiiliiliiiiil.num_agpr, 0
	.set _ZL15flash_attn_tileILi128ELi128ELi8ELi1ELb1EEvPKcS1_S1_S1_S1_PKiPfP15HIP_vector_typeIfLj2EEffffjfiS5_IjLj3EEiiiiiiiiiiiliiliiiiil.numbered_sgpr, 48
	.set _ZL15flash_attn_tileILi128ELi128ELi8ELi1ELb1EEvPKcS1_S1_S1_S1_PKiPfP15HIP_vector_typeIfLj2EEffffjfiS5_IjLj3EEiiiiiiiiiiiliiliiiiil.num_named_barrier, 0
	.set _ZL15flash_attn_tileILi128ELi128ELi8ELi1ELb1EEvPKcS1_S1_S1_S1_PKiPfP15HIP_vector_typeIfLj2EEffffjfiS5_IjLj3EEiiiiiiiiiiiliiliiiiil.private_seg_size, 32
	.set _ZL15flash_attn_tileILi128ELi128ELi8ELi1ELb1EEvPKcS1_S1_S1_S1_PKiPfP15HIP_vector_typeIfLj2EEffffjfiS5_IjLj3EEiiiiiiiiiiiliiliiiiil.uses_vcc, 1
	.set _ZL15flash_attn_tileILi128ELi128ELi8ELi1ELb1EEvPKcS1_S1_S1_S1_PKiPfP15HIP_vector_typeIfLj2EEffffjfiS5_IjLj3EEiiiiiiiiiiiliiliiiiil.uses_flat_scratch, 0
	.set _ZL15flash_attn_tileILi128ELi128ELi8ELi1ELb1EEvPKcS1_S1_S1_S1_PKiPfP15HIP_vector_typeIfLj2EEffffjfiS5_IjLj3EEiiiiiiiiiiiliiliiiiil.has_dyn_sized_stack, 0
	.set _ZL15flash_attn_tileILi128ELi128ELi8ELi1ELb1EEvPKcS1_S1_S1_S1_PKiPfP15HIP_vector_typeIfLj2EEffffjfiS5_IjLj3EEiiiiiiiiiiiliiliiiiil.has_recursion, 0
	.set _ZL15flash_attn_tileILi128ELi128ELi8ELi1ELb1EEvPKcS1_S1_S1_S1_PKiPfP15HIP_vector_typeIfLj2EEffffjfiS5_IjLj3EEiiiiiiiiiiiliiliiiiil.has_indirect_call, 0
	.section	.AMDGPU.csdata,"",@progbits
; Kernel info:
; codeLenInByte = 16840
; TotalNumSgprs: 54
; NumVgprs: 82
; NumAgprs: 0
; TotalNumVgprs: 82
; ScratchSize: 32
; MemoryBound: 0
; FloatMode: 240
; IeeeMode: 1
; LDSByteSize: 20480 bytes/workgroup (compile time only)
; SGPRBlocks: 6
; VGPRBlocks: 10
; NumSGPRsForWavesPerEU: 54
; NumVGPRsForWavesPerEU: 82
; AccumOffset: 84
; Occupancy: 5
; WaveLimiterHint : 1
; COMPUTE_PGM_RSRC2:SCRATCH_EN: 1
; COMPUTE_PGM_RSRC2:USER_SGPR: 2
; COMPUTE_PGM_RSRC2:TRAP_HANDLER: 0
; COMPUTE_PGM_RSRC2:TGID_X_EN: 1
; COMPUTE_PGM_RSRC2:TGID_Y_EN: 1
; COMPUTE_PGM_RSRC2:TGID_Z_EN: 1
; COMPUTE_PGM_RSRC2:TIDIG_COMP_CNT: 1
; COMPUTE_PGM_RSRC3_GFX90A:ACCUM_OFFSET: 20
; COMPUTE_PGM_RSRC3_GFX90A:TG_SPLIT: 0
	.section	.text._ZL15flash_attn_tileILi128ELi128ELi4ELi1ELb1EEvPKcS1_S1_S1_S1_PKiPfP15HIP_vector_typeIfLj2EEffffjfiS5_IjLj3EEiiiiiiiiiiiliiliiiiil,"axG",@progbits,_ZL15flash_attn_tileILi128ELi128ELi4ELi1ELb1EEvPKcS1_S1_S1_S1_PKiPfP15HIP_vector_typeIfLj2EEffffjfiS5_IjLj3EEiiiiiiiiiiiliiliiiiil,comdat
	.globl	_ZL15flash_attn_tileILi128ELi128ELi4ELi1ELb1EEvPKcS1_S1_S1_S1_PKiPfP15HIP_vector_typeIfLj2EEffffjfiS5_IjLj3EEiiiiiiiiiiiliiliiiiil ; -- Begin function _ZL15flash_attn_tileILi128ELi128ELi4ELi1ELb1EEvPKcS1_S1_S1_S1_PKiPfP15HIP_vector_typeIfLj2EEffffjfiS5_IjLj3EEiiiiiiiiiiiliiliiiiil
	.p2align	8
	.type	_ZL15flash_attn_tileILi128ELi128ELi4ELi1ELb1EEvPKcS1_S1_S1_S1_PKiPfP15HIP_vector_typeIfLj2EEffffjfiS5_IjLj3EEiiiiiiiiiiiliiliiiiil,@function
_ZL15flash_attn_tileILi128ELi128ELi4ELi1ELb1EEvPKcS1_S1_S1_S1_PKiPfP15HIP_vector_typeIfLj2EEffffjfiS5_IjLj3EEiiiiiiiiiiiliiliiiiil: ; @_ZL15flash_attn_tileILi128ELi128ELi4ELi1ELb1EEvPKcS1_S1_S1_S1_PKiPfP15HIP_vector_typeIfLj2EEffffjfiS5_IjLj3EEiiiiiiiiiiiliiliiiiil
; %bb.0:
	s_load_dwordx4 s[36:39], s[0:1], 0x5c
	s_load_dwordx2 s[12:13], s[0:1], 0x80
	s_load_dwordx16 s[16:31], s[0:1], 0x0
	s_load_dwordx2 s[14:15], s[0:1], 0xb8
	s_mov_b64 s[40:41], 0
	s_waitcnt lgkmcnt(0)
	v_cvt_f32_u32_e32 v1, s39
	s_sub_i32 s5, 0, s39
	v_rcp_iflag_f32_e32 v1, v1
	s_nop 0
	v_mul_f32_e32 v1, 0x4f7ffffe, v1
	v_cvt_u32_f32_e32 v1, v1
	s_nop 0
	v_readfirstlane_b32 s6, v1
	s_mul_i32 s5, s5, s6
	s_mul_hi_u32 s5, s6, s5
	s_add_i32 s6, s6, s5
	s_mul_hi_u32 s5, s4, s6
	s_mul_i32 s6, s5, s39
	s_sub_i32 s6, s4, s6
	s_add_i32 s7, s5, 1
	s_sub_i32 s8, s6, s39
	s_cmp_ge_u32 s6, s39
	s_cselect_b32 s5, s7, s5
	s_cselect_b32 s6, s8, s6
	s_add_i32 s7, s5, 1
	s_cmp_ge_u32 s6, s39
	s_cselect_b32 s33, s7, s5
	s_abs_i32 s5, s13
	v_cvt_f32_u32_e32 v1, s5
	s_sub_i32 s8, 0, s5
	s_abs_i32 s7, s39
	s_xor_b32 s6, s39, s13
	v_rcp_iflag_f32_e32 v1, v1
	s_ashr_i32 s6, s6, 31
	v_mul_f32_e32 v1, 0x4f7ffffe, v1
	v_cvt_u32_f32_e32 v1, v1
	v_mul_lo_u32 v2, s8, v1
	v_mul_hi_u32 v2, v1, v2
	v_add_u32_e32 v1, v1, v2
	v_mul_hi_u32 v1, s7, v1
	v_mul_lo_u32 v2, v1, s5
	v_sub_u32_e32 v2, s7, v2
	v_add_u32_e32 v3, 1, v1
	v_subrev_u32_e32 v4, s5, v2
	v_cmp_le_u32_e32 vcc, s5, v2
	s_nop 1
	v_cndmask_b32_e32 v1, v1, v3, vcc
	v_cndmask_b32_e32 v2, v2, v4, vcc
	v_add_u32_e32 v3, 1, v1
	v_cmp_le_u32_e32 vcc, s5, v2
	s_mul_i32 s5, s33, s39
	s_sub_i32 s34, s4, s5
	v_cndmask_b32_e32 v1, v1, v3, vcc
	v_xor_b32_e32 v1, s6, v1
	v_subrev_u32_e32 v3, s6, v1
	v_sub_u32_e32 v1, 0, v3
	v_max_i32_e32 v1, v3, v1
	v_cvt_f32_u32_e32 v2, v1
	v_sub_u32_e32 v4, 0, v1
	s_abs_i32 s42, s34
	s_cmp_eq_u64 s[22:23], 0
	v_rcp_iflag_f32_e32 v2, v2
	s_nop 0
	v_mul_f32_e32 v2, 0x4f7ffffe, v2
	v_cvt_u32_f32_e32 v2, v2
	v_mul_lo_u32 v4, v4, v2
	v_mul_hi_u32 v4, v2, v4
	v_add_u32_e32 v2, v2, v4
	s_cbranch_scc1 .LBB90_2
; %bb.1:
	s_abs_i32 s6, s14
	v_cvt_f32_u32_e32 v4, s6
	s_sub_i32 s9, 0, s6
	s_abs_i32 s8, s33
	s_ashr_i32 s7, s33, 31
	v_rcp_iflag_f32_e32 v4, v4
	s_load_dwordx2 s[4:5], s[0:1], 0xc8
	v_mul_f32_e32 v4, 0x4f7ffffe, v4
	v_cvt_u32_f32_e32 v4, v4
	s_nop 0
	v_readfirstlane_b32 s10, v4
	s_mul_i32 s9, s9, s10
	s_mul_hi_u32 s9, s10, s9
	s_add_i32 s10, s10, s9
	s_mul_hi_u32 s9, s8, s10
	s_mul_i32 s9, s9, s6
	s_sub_i32 s8, s8, s9
	s_sub_i32 s9, s8, s6
	s_cmp_ge_u32 s8, s6
	s_cselect_b32 s8, s9, s8
	s_sub_i32 s9, s8, s6
	s_cmp_ge_u32 s8, s6
	s_cselect_b32 s6, s9, s8
	s_xor_b32 s6, s6, s7
	s_sub_i32 s6, s6, s7
	s_ashr_i32 s7, s6, 31
	s_waitcnt lgkmcnt(0)
	s_mul_hi_u32 s8, s4, s6
	s_mul_i32 s7, s4, s7
	s_mul_i32 s5, s5, s6
	s_add_i32 s7, s8, s7
	s_add_i32 s7, s7, s5
	s_mul_i32 s4, s4, s6
	s_add_u32 s40, s22, s4
	s_addc_u32 s41, s23, s7
.LBB90_2:
	s_load_dwordx4 s[8:11], s[0:1], 0x40
	s_load_dwordx2 s[22:23], s[0:1], 0x50
	v_mul_hi_u32 v2, s42, v2
	v_mov_b32_e32 v51, 1.0
	s_waitcnt lgkmcnt(0)
	v_cmp_le_f32_e64 s[4:5], s9, 0
	s_and_b64 vcc, exec, s[4:5]
	s_cbranch_vccnz .LBB90_4
; %bb.3:
	v_mov_b32_e32 v4, s22
	v_sub_co_u32_e32 v4, vcc, s34, v4
	v_mov_b32_e32 v5, s11
	v_mov_b32_e32 v6, s10
	s_add_i32 s4, s34, 1
	v_lshlrev_b32_e32 v4, 1, v4
	v_cndmask_b32_e32 v5, v5, v6, vcc
	v_or_b32_e32 v4, 1, v4
	v_mov_b32_e32 v6, s4
	v_cndmask_b32_e32 v4, v4, v6, vcc
	v_cvt_f32_i32_e32 v4, v4
	v_cmp_neq_f32_e32 vcc, 1.0, v5
	s_mov_b32 s4, 0x3f2aaaab
	s_movk_i32 s6, 0x204
	v_cndmask_b32_e32 v20, 1.0, v4, vcc
	v_cmp_neq_f32_e32 vcc, 0, v20
	s_mov_b32 s5, 0x42b17218
	s_mov_b32 s7, 0x3fb8aa3b
	v_cndmask_b32_e32 v21, 1.0, v5, vcc
	v_frexp_mant_f32_e64 v4, |v21|
	v_cmp_gt_f32_e32 vcc, s4, v4
	s_mov_b32 s4, 0x3f317218
	s_brev_b32 s13, -2
	v_cndmask_b32_e64 v5, 1.0, 2.0, vcc
	v_mul_f32_e32 v4, v4, v5
	v_add_f32_e32 v7, 1.0, v4
	v_rcp_f32_e32 v12, v7
	v_add_f32_e32 v5, -1.0, v7
	v_sub_f32_e32 v9, v4, v5
	v_add_f32_e32 v5, -1.0, v4
	v_mul_f32_e32 v13, v5, v12
	v_mul_f32_e32 v6, v7, v13
	v_fma_f32 v8, v13, v7, -v6
	v_fmac_f32_e32 v8, v13, v9
	v_add_f32_e32 v4, v6, v8
	v_sub_f32_e32 v7, v5, v4
	v_pk_add_f32 v[10:11], v[4:5], v[6:7] neg_lo:[0,1] neg_hi:[0,1]
	v_mov_b32_e32 v9, v4
	v_pk_add_f32 v[4:5], v[10:11], v[8:9] neg_lo:[0,1] neg_hi:[0,1]
	v_mov_b32_e32 v8, 0x3e91f4c4
	v_add_f32_e32 v4, v4, v5
	v_add_f32_e32 v4, v7, v4
	v_mul_f32_e32 v5, v12, v4
	v_add_f32_e32 v4, v13, v5
	v_sub_f32_e32 v6, v4, v13
	v_sub_f32_e32 v14, v5, v6
	v_mul_f32_e32 v5, v4, v4
	v_fma_f32 v7, v4, v4, -v5
	v_add_f32_e32 v6, v14, v14
	v_fmac_f32_e32 v7, v4, v6
	v_add_f32_e32 v6, v5, v7
	v_fmac_f32_e32 v8, 0x3e76c4e1, v6
	v_fmaak_f32 v8, v6, v8, 0x3ecccdef
	v_sub_f32_e32 v5, v6, v5
	v_sub_f32_e32 v15, v7, v5
	v_mul_f32_e32 v5, v6, v8
	v_fma_f32 v7, v6, v8, -v5
	v_fmac_f32_e32 v7, v15, v8
	v_add_f32_e32 v8, v5, v7
	v_add_f32_e32 v9, 0x3f2aaaaa, v8
	v_sub_f32_e32 v5, v8, v5
	v_sub_f32_e32 v5, v7, v5
	v_add_f32_e32 v7, 0xbf2aaaaa, v9
	v_add_f32_e32 v5, 0x31739010, v5
	v_sub_f32_e32 v7, v8, v7
	v_pk_mul_f32 v[10:11], v[4:5], v[6:7]
	v_pk_add_f32 v[12:13], v[4:5], v[6:7]
	v_fma_f32 v8, v6, v4, -v10
	v_fmac_f32_e32 v8, v6, v14
	v_mov_b32_e32 v11, v13
	v_fmac_f32_e32 v8, v15, v4
	v_pk_add_f32 v[6:7], v[10:11], v[8:9]
	v_ldexp_f32 v16, v14, 1
	v_sub_f32_e32 v5, v6, v10
	v_sub_f32_e32 v5, v8, v5
	;; [unrolled: 1-line block ×3, first 2 shown]
	v_add_f32_e32 v11, v13, v8
	v_pk_mul_f32 v[8:9], v[6:7], v[6:7] op_sel:[0,1] op_sel_hi:[1,0]
	v_cvt_f64_f32_e64 v[12:13], |v21|
	v_frexp_exp_i32_f64_e32 v9, v[12:13]
	v_subbrev_co_u32_e32 v9, vcc, 0, v9, vcc
	v_cvt_f32_i32_e32 v9, v9
	v_fma_f32 v10, v6, v7, -v8
	v_fmac_f32_e32 v10, v6, v11
	v_fmac_f32_e32 v10, v5, v7
	v_mul_f32_e32 v6, 0x3f317218, v9
	v_fma_f32 v5, v9, s4, -v6
	v_fmamk_f32 v12, v9, 0xb102e308, v5
	v_ldexp_f32 v13, v4, 1
	v_add_f32_e32 v7, v8, v10
	v_pk_add_f32 v[4:5], v[6:7], v[12:13]
	v_mov_b32_e32 v14, v7
	v_mov_b32_e32 v15, v5
	v_mov_b32_e32 v9, v13
	v_pk_add_f32 v[8:9], v[14:15], v[8:9] neg_lo:[0,1] neg_hi:[0,1]
	v_mov_b32_e32 v11, v7
	v_pk_add_f32 v[8:9], v[10:11], v[8:9] neg_lo:[0,1] neg_hi:[0,1]
	v_mov_b32_e32 v13, v4
	v_add_f32_e32 v7, v16, v8
	v_add_f32_e32 v7, v7, v9
	v_pk_add_f32 v[8:9], v[4:5], v[6:7] neg_lo:[0,1] neg_hi:[0,1]
	v_pk_add_f32 v[10:11], v[4:5], v[6:7]
	v_mov_b32_e32 v18, v5
	v_mov_b32_e32 v9, v11
	v_pk_add_f32 v[14:15], v[12:13], v[8:9] neg_lo:[0,1] neg_hi:[0,1]
	v_pk_add_f32 v[8:9], v[12:13], v[8:9]
	v_mov_b32_e32 v6, v7
	v_pk_add_f32 v[12:13], v[8:9], v[4:5] op_sel:[1,0] op_sel_hi:[0,1] neg_lo:[0,1] neg_hi:[0,1]
	v_pk_add_f32 v[16:17], v[10:11], v[12:13] op_sel_hi:[1,0] neg_lo:[0,1] neg_hi:[0,1]
	v_mov_b32_e32 v10, v11
	v_mov_b32_e32 v11, v9
	;; [unrolled: 1-line block ×3, first 2 shown]
	v_pk_add_f32 v[10:11], v[10:11], v[18:19] neg_lo:[0,1] neg_hi:[0,1]
	v_mov_b32_e32 v7, v4
	v_pk_add_f32 v[4:5], v[6:7], v[10:11] neg_lo:[0,1] neg_hi:[0,1]
	v_mov_b32_e32 v16, v14
	v_pk_add_f32 v[6:7], v[16:17], v[4:5]
	v_mov_b32_e32 v15, v9
	v_pk_add_f32 v[10:11], v[6:7], v[6:7] op_sel:[0,1] op_sel_hi:[1,0]
	s_mov_b32 s4, 0x7f800000
	v_pk_add_f32 v[8:9], v[8:9], v[10:11] op_sel:[1,0] op_sel_hi:[0,1]
	v_mov_b32_e32 v7, v8
	v_pk_add_f32 v[12:13], v[6:7], v[14:15] neg_lo:[0,1] neg_hi:[0,1]
	v_mov_b32_e32 v5, v10
	v_sub_f32_e32 v6, v6, v12
	v_pk_add_f32 v[4:5], v[4:5], v[12:13] neg_lo:[0,1] neg_hi:[0,1]
	v_sub_f32_e32 v6, v14, v6
	v_add_f32_e32 v4, v4, v6
	v_add_f32_e32 v4, v4, v5
	;; [unrolled: 1-line block ×3, first 2 shown]
	v_sub_f32_e32 v6, v5, v8
	v_sub_f32_e32 v4, v4, v6
	v_mul_f32_e32 v6, v20, v5
	v_fma_f32 v5, v20, v5, -v6
	v_fmac_f32_e32 v5, v20, v4
	v_add_f32_e32 v4, v6, v5
	v_cmp_class_f32_e64 vcc, v6, s6
	v_sub_f32_e32 v7, v4, v6
	v_sub_f32_e32 v5, v5, v7
	v_cndmask_b32_e32 v4, v4, v6, vcc
	v_mov_b32_e32 v6, 0x37000000
	v_cmp_eq_f32_e32 vcc, s5, v4
	v_cmp_class_f32_e64 s[10:11], v21, s6
	s_nop 0
	v_cndmask_b32_e32 v6, 0, v6, vcc
	v_sub_f32_e32 v7, v4, v6
	v_mul_f32_e32 v8, 0x3fb8aa3b, v7
	v_fma_f32 v9, v7, s7, -v8
	v_rndne_f32_e32 v10, v8
	v_fmamk_f32 v9, v7, 0x32a5705f, v9
	v_sub_f32_e32 v8, v8, v10
	v_add_f32_e32 v8, v8, v9
	v_exp_f32_e32 v8, v8
	v_cvt_i32_f32_e32 v9, v10
	v_cmp_neq_f32_e64 vcc, |v4|, s4
	s_mov_b32 s4, 0xc2ce8ed0
	s_nop 0
	v_cndmask_b32_e32 v4, 0, v5, vcc
	v_ldexp_f32 v5, v8, v9
	v_cmp_ngt_f32_e32 vcc, s4, v7
	v_add_f32_e32 v4, v6, v4
	v_mov_b32_e32 v6, 0x7f800000
	v_cndmask_b32_e32 v5, 0, v5, vcc
	v_cmp_nlt_f32_e32 vcc, s5, v7
	v_mov_b32_e32 v7, 0x7fc00000
	s_nop 0
	v_cndmask_b32_e32 v5, v6, v5, vcc
	v_fma_f32 v4, v5, v4, v5
	v_cmp_class_f32_e64 vcc, v5, s6
	v_cmp_gt_f32_e64 s[6:7], 0, v20
	s_nop 0
	v_cndmask_b32_e32 v4, v4, v5, vcc
	v_trunc_f32_e32 v5, v20
	v_cmp_eq_f32_e32 vcc, v5, v20
	v_mul_f32_e32 v5, 0.5, v20
	v_trunc_f32_e32 v8, v5
	v_cmp_neq_f32_e64 s[4:5], v8, v5
	s_and_b64 s[4:5], vcc, s[4:5]
	s_nop 0
	v_cndmask_b32_e64 v5, 1.0, v21, s[4:5]
	v_bfi_b32 v4, s13, v4, v5
	v_cndmask_b32_e32 v5, v7, v4, vcc
	v_cmp_gt_f32_e32 vcc, 0, v21
	s_nop 1
	v_cndmask_b32_e32 v4, v4, v5, vcc
	v_cmp_eq_f32_e32 vcc, 0, v21
	s_xor_b64 s[6:7], s[6:7], vcc
	v_cndmask_b32_e64 v5, v6, 0, s[6:7]
	v_cndmask_b32_e64 v6, 0, v21, s[4:5]
	v_bfi_b32 v5, s13, v5, v6
	s_or_b64 vcc, vcc, s[10:11]
	v_cndmask_b32_e32 v4, v4, v5, vcc
	v_cmp_o_f32_e32 vcc, v21, v21
	s_nop 1
	v_cndmask_b32_e32 v51, v7, v4, vcc
.LBB90_4:
	s_load_dwordx4 s[4:7], s[0:1], 0x70
	v_bfe_u32 v50, v0, 10, 10
	s_ashr_i32 s35, s34, 31
	v_lshl_add_u32 v46, s2, 2, v50
	v_mul_hi_u32 v4, s36, v46
	s_waitcnt lgkmcnt(0)
	s_mul_i32 s6, s33, s6
	s_ashr_i32 s7, s6, 31
	s_mul_i32 s5, s34, s5
	s_add_u32 s6, s16, s6
	s_addc_u32 s7, s17, s7
	s_ashr_i32 s10, s5, 31
	v_add_u32_e32 v4, v46, v4
	s_add_u32 s6, s6, s5
	v_lshrrev_b32_e32 v4, s37, v4
	s_addc_u32 s7, s7, s10
	v_mul_lo_u32 v4, v4, s38
	s_ashr_i32 s5, s4, 31
	v_sub_u32_e32 v5, v46, v4
	s_lshr_b64 s[10:11], s[4:5], 2
	v_mad_u64_u32 v[6:7], s[10:11], s10, v5, 0
	v_mov_b32_e32 v4, v7
	s_lshr_b32 s4, s5, 2
	v_mad_u64_u32 v[8:9], s[4:5], s4, v5, v[4:5]
	v_mov_b32_e32 v7, v8
	v_and_b32_e32 v4, 0x3ff, v0
	v_lshl_add_u64 v[8:9], v[6:7], 2, s[6:7]
	v_lshlrev_b32_e32 v6, 4, v4
	v_mov_b32_e32 v7, 0
	v_lshl_add_u64 v[8:9], v[8:9], 0, v[6:7]
	global_load_dwordx4 v[8:11], v[8:9], off
	v_ashrrev_i32_e32 v0, 31, v3
	v_mov_b32_e32 v3, 0x4400
	v_lshlrev_b32_e32 v48, 3, v4
	v_lshl_add_u32 v53, v50, 8, v3
	v_add_u32_e32 v3, v53, v48
	s_cmp_eq_u64 s[26:27], 0
	s_waitcnt vmcnt(0)
	v_fma_mixlo_f16 v6, s8, v8, 0
	v_mov_b32_e32 v8, v11
	v_pk_mul_f32 v[8:9], s[8:9], v[8:9] op_sel_hi:[0,1]
	v_cvt_pk_f16_f32 v8, v8, v9
	v_fma_mixlo_f16 v10, s8, v10, 0
	v_and_b32_e32 v6, 0xffff, v6
	v_lshlrev_b32_e32 v9, 16, v8
	v_and_b32_e32 v8, 0xffff0000, v8
	v_and_b32_e32 v10, 0xffff, v10
	v_or_b32_e32 v6, v8, v6
	v_or3_b32 v9, v9, v10, 0
	v_or3_b32 v8, 0, 0, v6
	ds_write_b64 v3, v[8:9]
	s_waitcnt lgkmcnt(0)
	s_barrier
	s_cbranch_scc1 .LBB90_6
; %bb.5:
	s_load_dword s4, s[0:1], 0xd0
	s_mov_b32 s5, 0
	s_waitcnt lgkmcnt(0)
	s_mul_i32 s4, s4, s33
	s_add_i32 s4, s4, s2
	s_lshl_b64 s[4:5], s[4:5], 2
	s_add_u32 s4, s26, s4
	s_addc_u32 s5, s27, s5
	s_load_dword s12, s[4:5], 0x0
.LBB90_6:
	s_load_dwordx2 s[8:9], s[0:1], 0x8c
	s_nop 0
	s_load_dwordx4 s[4:7], s[0:1], 0x98
	v_mul_lo_u32 v3, v2, v1
	v_sub_u32_e32 v3, s42, v3
	v_add_u32_e32 v6, 1, v2
	v_sub_u32_e32 v8, v3, v1
	v_cmp_ge_u32_e32 vcc, v3, v1
	s_waitcnt lgkmcnt(0)
	s_ashr_i32 s2, s6, 2
	s_ashr_i32 s6, s33, 31
	v_cndmask_b32_e32 v2, v2, v6, vcc
	v_cndmask_b32_e32 v3, v3, v8, vcc
	v_add_u32_e32 v6, 1, v2
	v_cmp_ge_u32_e32 vcc, v3, v1
	s_load_dwordx2 s[10:11], s[0:1], 0xa8
	s_ashr_i32 s13, s8, 2
	s_mul_hi_u32 s8, s4, s33
	s_mul_i32 s14, s4, s6
	v_xor_b32_e32 v0, s35, v0
	v_cndmask_b32_e32 v1, v2, v6, vcc
	s_add_i32 s8, s8, s14
	s_mul_i32 s5, s5, s33
	v_xor_b32_e32 v1, v1, v0
	s_ashr_i32 s22, s15, 1
	s_add_i32 s8, s8, s5
	s_mul_i32 s4, s4, s33
	v_sub_u32_e32 v6, v1, v0
	s_add_u32 s4, s18, s4
	v_mul_lo_u32 v0, v6, s9
	s_addc_u32 s5, s19, s8
	v_ashrrev_i32_e32 v1, 31, v0
	v_lshl_add_u64 v[2:3], s[4:5], 0, v[0:1]
	s_waitcnt lgkmcnt(0)
	s_mul_hi_u32 s4, s10, s33
	s_mul_i32 s5, s10, s6
	s_add_i32 s4, s4, s5
	s_mul_i32 s5, s11, s33
	s_add_i32 s5, s4, s5
	s_mul_i32 s4, s10, s33
	s_add_u32 s4, s20, s4
	v_mul_lo_u32 v0, v6, s7
	v_lshlrev_b32_e32 v47, 2, v4
	s_addc_u32 s5, s21, s5
	v_ashrrev_i32_e32 v1, 31, v0
	s_lshl_b32 s36, s3, 6
	s_sub_i32 s14, s12, 64
	v_lshl_add_u64 v[0:1], s[4:5], 0, v[0:1]
	s_cmp_ge_i32 s36, s14
	v_lshrrev_b32_e32 v9, 4, v4
	v_and_b32_e32 v8, 60, v47
	v_mbcnt_lo_u32_b32 v52, -1, 0
	s_cbranch_scc1 .LBB90_23
; %bb.7:
	v_lshl_add_u32 v6, v50, 1, v9
	v_lshlrev_b32_e32 v7, 2, v8
	s_movk_i32 s4, 0x110
	v_mad_u32_u24 v54, v6, s4, v7
	v_mul_lo_u32 v12, s13, v6
	s_lshl_b32 s4, s13, 3
	v_add_u32_e32 v14, s4, v12
	v_add_u32_e32 v16, s4, v14
	;; [unrolled: 1-line block ×7, first 2 shown]
	s_cmp_lg_u64 s[40:41], 0
	v_mad_u64_u32 v[28:29], s[4:5], v5, s22, v[4:5]
	s_cselect_b64 s[6:7], -1, 0
	v_mul_lo_u32 v30, s2, v6
	s_lshl_b32 s4, s2, 3
	v_add_u32_e32 v32, s4, v30
	v_add_u32_e32 v34, s4, v32
	;; [unrolled: 1-line block ×5, first 2 shown]
	v_mov_b32_e32 v10, 0x4800
	v_add_u32_e32 v42, s4, v40
	v_mov_b32_e32 v11, 0
	v_lshl_add_u32 v63, v50, 7, v10
	v_lshl_or_b32 v65, v6, 8, v7
	v_add_u32_e32 v44, s4, v42
	s_add_u32 s8, s0, 0xd0
	v_ashrrev_i32_e32 v13, 31, v12
	v_add_u32_e32 v55, 0x880, v54
	v_ashrrev_i32_e32 v15, 31, v14
	v_add_u32_e32 v56, 0x1100, v54
	;; [unrolled: 2-line block ×7, first 2 shown]
	v_ashrrev_i32_e32 v27, 31, v26
	v_mul_u32_u24_e32 v62, 0x110, v4
	v_lshl_add_u32 v64, v4, 1, v63
	v_ashrrev_i32_e32 v31, 31, v30
	v_add_u32_e32 v66, 0x800, v65
	v_ashrrev_i32_e32 v33, 31, v32
	v_add_u32_e32 v67, 0x1000, v65
	;; [unrolled: 2-line block ×7, first 2 shown]
	v_ashrrev_i32_e32 v45, 31, v44
	s_addc_u32 s9, s1, 0
	v_mov_b32_e32 v77, 0xfeffffff
	v_lshlrev_b32_e32 v10, 2, v8
	s_mov_b32 s15, 0x3f200000
	s_mov_b32 s16, 0x3fb8aa3b
	;; [unrolled: 1-line block ×4, first 2 shown]
	v_mov_b32_e32 v73, 0x3ca908c9
	s_brev_b32 s19, -2
	s_mov_b32 s20, 0x10001
	v_mov_b32_e32 v74, 0x7f800000
	v_mbcnt_hi_u32_b32 v75, -1, v52
	v_mov_b32_e32 v49, v11
	v_mov_b32_e32 v29, v11
	;; [unrolled: 1-line block ×3, first 2 shown]
                                        ; implicit-def: $vgpr6
                                        ; implicit-def: $vgpr6
	;; [unrolled: 1-line block ×3, first 2 shown]
.LBB90_8:                               ; =>This Inner Loop Header: Depth=1
	s_mul_hi_i32 s5, s36, s13
	s_mul_i32 s4, s36, s13
	s_lshl_b64 s[4:5], s[4:5], 2
	v_lshl_add_u64 v[6:7], v[2:3], 0, s[4:5]
	v_lshl_add_u64 v[78:79], v[12:13], 2, v[6:7]
	;; [unrolled: 1-line block ×5, first 2 shown]
	global_load_dwordx4 v[78:81], v[86:87], off
	global_load_dwordx4 v[82:85], v[88:89], off
	v_lshl_add_u64 v[86:87], v[16:17], 2, v[6:7]
	v_lshl_add_u64 v[94:95], v[86:87], 0, v[10:11]
	v_lshl_add_u64 v[86:87], v[18:19], 2, v[6:7]
	v_lshl_add_u64 v[96:97], v[86:87], 0, v[10:11]
	global_load_dwordx4 v[86:89], v[94:95], off
	global_load_dwordx4 v[90:93], v[96:97], off
	v_lshl_add_u64 v[94:95], v[20:21], 2, v[6:7]
	v_lshl_add_u64 v[102:103], v[94:95], 0, v[10:11]
	v_lshl_add_u64 v[94:95], v[22:23], 2, v[6:7]
	v_lshl_add_u64 v[104:105], v[94:95], 0, v[10:11]
	global_load_dwordx4 v[94:97], v[102:103], off
	global_load_dwordx4 v[98:101], v[104:105], off
	v_lshl_add_u64 v[102:103], v[24:25], 2, v[6:7]
	v_lshl_add_u64 v[110:111], v[102:103], 0, v[10:11]
	v_lshl_add_u64 v[6:7], v[26:27], 2, v[6:7]
	v_lshl_add_u64 v[6:7], v[6:7], 0, v[10:11]
	global_load_dwordx4 v[102:105], v[110:111], off
	global_load_dwordx4 v[106:109], v[6:7], off
	s_waitcnt vmcnt(7)
	ds_write_b128 v54, v[78:81]
	s_waitcnt vmcnt(6)
	ds_write_b128 v55, v[82:85]
	;; [unrolled: 2-line block ×8, first 2 shown]
	s_waitcnt lgkmcnt(0)
	s_barrier
	ds_read_b128 v[80:83], v62
	ds_read_b128 v[84:87], v53
	v_mov_b32_e32 v78, 0
	ds_read_b128 v[88:91], v62 offset:8704
	s_waitcnt lgkmcnt(1)
	;;#ASMSTART
	v_dot2_f32_f16 v78, v80, v84, v78
	;;#ASMEND
	s_nop 0
	;;#ASMSTART
	v_dot2_f32_f16 v78, v81, v85, v78
	;;#ASMEND
	v_mov_b32_e32 v79, 0
	;;#ASMSTART
	v_dot2_f32_f16 v78, v82, v86, v78
	;;#ASMEND
	s_nop 0
	;;#ASMSTART
	v_dot2_f32_f16 v78, v83, v87, v78
	;;#ASMEND
	s_waitcnt lgkmcnt(0)
	;;#ASMSTART
	v_dot2_f32_f16 v79, v88, v84, v79
	;;#ASMEND
	s_nop 0
	;;#ASMSTART
	v_dot2_f32_f16 v79, v89, v85, v79
	;;#ASMEND
	s_nop 0
	;;#ASMSTART
	v_dot2_f32_f16 v79, v90, v86, v79
	;;#ASMEND
	s_nop 0
	;;#ASMSTART
	v_dot2_f32_f16 v79, v91, v87, v79
	;;#ASMEND
	ds_read_b128 v[80:83], v62 offset:16
	ds_read_b128 v[84:87], v53 offset:16
	ds_read_b128 v[88:91], v62 offset:8720
	s_waitcnt lgkmcnt(1)
	;;#ASMSTART
	v_dot2_f32_f16 v78, v80, v84, v78
	;;#ASMEND
	s_nop 0
	;;#ASMSTART
	v_dot2_f32_f16 v78, v81, v85, v78
	;;#ASMEND
	s_nop 0
	;;#ASMSTART
	v_dot2_f32_f16 v78, v82, v86, v78
	;;#ASMEND
	s_nop 0
	;;#ASMSTART
	v_dot2_f32_f16 v78, v83, v87, v78
	;;#ASMEND
	s_waitcnt lgkmcnt(0)
	;;#ASMSTART
	v_dot2_f32_f16 v79, v88, v84, v79
	;;#ASMEND
	s_nop 0
	;;#ASMSTART
	v_dot2_f32_f16 v79, v89, v85, v79
	;;#ASMEND
	s_nop 0
	;;#ASMSTART
	v_dot2_f32_f16 v79, v90, v86, v79
	;;#ASMEND
	s_nop 0
	;;#ASMSTART
	v_dot2_f32_f16 v79, v91, v87, v79
	;;#ASMEND
	ds_read_b128 v[80:83], v62 offset:32
	ds_read_b128 v[84:87], v53 offset:32
	ds_read_b128 v[88:91], v62 offset:8736
	s_waitcnt lgkmcnt(1)
	;;#ASMSTART
	v_dot2_f32_f16 v78, v80, v84, v78
	;;#ASMEND
	s_nop 0
	;;#ASMSTART
	v_dot2_f32_f16 v78, v81, v85, v78
	;;#ASMEND
	s_nop 0
	;; [unrolled: 35-line block ×14, first 2 shown]
	;;#ASMSTART
	v_dot2_f32_f16 v78, v82, v86, v78
	;;#ASMEND
	s_nop 0
	;;#ASMSTART
	v_dot2_f32_f16 v78, v83, v87, v78
	;;#ASMEND
	s_waitcnt lgkmcnt(0)
	;;#ASMSTART
	v_dot2_f32_f16 v79, v88, v84, v79
	;;#ASMEND
	s_nop 0
	;;#ASMSTART
	v_dot2_f32_f16 v79, v89, v85, v79
	;;#ASMEND
	s_nop 0
	;; [unrolled: 4-line block ×3, first 2 shown]
	;;#ASMSTART
	v_dot2_f32_f16 v79, v91, v87, v79
	;;#ASMEND
	ds_read_b128 v[80:83], v62 offset:240
	ds_read_b128 v[84:87], v53 offset:240
	;; [unrolled: 1-line block ×3, first 2 shown]
	s_waitcnt lgkmcnt(1)
	;;#ASMSTART
	v_dot2_f32_f16 v78, v80, v84, v78
	;;#ASMEND
	s_nop 0
	;;#ASMSTART
	v_dot2_f32_f16 v78, v81, v85, v78
	;;#ASMEND
                                        ; implicit-def: $vgpr81
	s_nop 0
	;;#ASMSTART
	v_dot2_f32_f16 v78, v82, v86, v78
	;;#ASMEND
	s_nop 0
	;;#ASMSTART
	v_dot2_f32_f16 v78, v83, v87, v78
	;;#ASMEND
	s_waitcnt lgkmcnt(0)
	;;#ASMSTART
	v_dot2_f32_f16 v79, v88, v84, v79
	;;#ASMEND
	s_nop 0
	;;#ASMSTART
	v_dot2_f32_f16 v79, v89, v85, v79
	;;#ASMEND
	v_cmp_nlt_f32_e64 s[4:5], |v78|, s15
	;;#ASMSTART
	v_dot2_f32_f16 v79, v90, v86, v79
	;;#ASMEND
	s_nop 0
	;;#ASMSTART
	v_dot2_f32_f16 v79, v91, v87, v79
	;;#ASMEND
	s_and_saveexec_b64 s[10:11], s[4:5]
	s_xor_b64 s[4:5], exec, s[10:11]
	s_cbranch_execz .LBB90_10
; %bb.9:                                ;   in Loop: Header=BB90_8 Depth=1
	v_add_f32_e64 v6, |v78|, |v78|
	v_mul_f32_e32 v7, 0x3fb8aa3b, v6
	v_rndne_f32_e32 v80, v7
	v_sub_f32_e32 v81, v7, v80
	v_fma_f32 v7, v6, s16, -v7
	v_fmac_f32_e32 v7, 0x32a5705f, v6
	v_add_f32_e32 v7, v81, v7
	v_cvt_i32_f32_e32 v80, v80
	v_exp_f32_e32 v7, v7
	v_cmp_ngt_f32_e32 vcc, s17, v6
	v_ldexp_f32 v7, v7, v80
	s_nop 0
	v_cndmask_b32_e32 v7, 0, v7, vcc
	v_cmp_nlt_f32_e32 vcc, s18, v6
	s_nop 1
	v_cndmask_b32_e32 v6, v74, v7, vcc
	v_add_f32_e32 v6, 1.0, v6
	v_rcp_f32_e32 v6, v6
	s_nop 0
	v_fma_f32 v81, v6, -2.0, 1.0
.LBB90_10:                              ;   in Loop: Header=BB90_8 Depth=1
	s_andn2_saveexec_b64 s[4:5], s[4:5]
; %bb.11:                               ;   in Loop: Header=BB90_8 Depth=1
	v_mul_f32_e32 v6, v78, v78
	v_fmamk_f32 v7, v6, 0xbbbac73d, v73
	v_fmaak_f32 v7, v6, v7, 0xbd5c1c4e
	v_fmaak_f32 v7, v6, v7, 0x3e088382
	;; [unrolled: 1-line block ×3, first 2 shown]
	v_mul_f32_e64 v7, |v78|, v7
	v_fma_f32 v81, v6, v7, |v78|
; %bb.12:                               ;   in Loop: Header=BB90_8 Depth=1
	s_or_b64 exec, exec, s[4:5]
	v_add_u32_e32 v6, s36, v28
	v_cndmask_b32_e64 v7, 0, 1, s[6:7]
	v_cmp_ne_u32_e64 s[4:5], 1, v7
	s_andn2_b64 vcc, exec, s[6:7]
	v_ashrrev_i32_e32 v7, 31, v6
	s_cbranch_vccnz .LBB90_22
; %bb.13:                               ;   in Loop: Header=BB90_8 Depth=1
	v_lshl_add_u64 v[82:83], v[6:7], 1, s[40:41]
	global_load_ushort v80, v[82:83], off
	s_waitcnt vmcnt(0)
	v_cvt_f32_f16_e32 v80, v80
	v_mul_f32_e32 v80, v51, v80
	v_cmp_nlt_f32_e64 s[10:11], |v79|, s15
                                        ; implicit-def: $vgpr82
	s_and_saveexec_b64 s[26:27], s[10:11]
	s_xor_b64 s[10:11], exec, s[26:27]
	s_cbranch_execz .LBB90_15
.LBB90_14:                              ;   in Loop: Header=BB90_8 Depth=1
	v_add_f32_e64 v82, |v79|, |v79|
	v_mul_f32_e32 v83, 0x3fb8aa3b, v82
	v_rndne_f32_e32 v84, v83
	v_sub_f32_e32 v85, v83, v84
	v_fma_f32 v83, v82, s16, -v83
	v_fmac_f32_e32 v83, 0x32a5705f, v82
	v_add_f32_e32 v83, v85, v83
	v_cvt_i32_f32_e32 v84, v84
	v_exp_f32_e32 v83, v83
	v_cmp_ngt_f32_e32 vcc, s17, v82
	v_ldexp_f32 v83, v83, v84
	s_nop 0
	v_cndmask_b32_e32 v83, 0, v83, vcc
	v_cmp_nlt_f32_e32 vcc, s18, v82
	s_nop 1
	v_cndmask_b32_e32 v82, v74, v83, vcc
	v_add_f32_e32 v82, 1.0, v82
	v_rcp_f32_e32 v82, v82
	s_nop 0
	v_fma_f32 v82, v82, -2.0, 1.0
.LBB90_15:                              ;   in Loop: Header=BB90_8 Depth=1
	s_andn2_saveexec_b64 s[10:11], s[10:11]
	s_cbranch_execz .LBB90_18
; %bb.16:                               ;   in Loop: Header=BB90_8 Depth=1
	v_mul_f32_e32 v82, v79, v79
	v_fmamk_f32 v83, v82, 0xbbbac73d, v73
	v_fmaak_f32 v83, v82, v83, 0xbd5c1c4e
	v_fmaak_f32 v83, v82, v83, 0x3e088382
	;; [unrolled: 1-line block ×3, first 2 shown]
	v_mul_f32_e64 v83, |v79|, v83
	v_fma_f32 v82, v82, v83, |v79|
	s_or_b64 exec, exec, s[10:11]
	s_and_b64 vcc, exec, s[4:5]
	s_cbranch_vccz .LBB90_19
.LBB90_17:                              ;   in Loop: Header=BB90_8 Depth=1
	v_mov_b32_e32 v7, 0
	s_branch .LBB90_20
.LBB90_18:                              ;   in Loop: Header=BB90_8 Depth=1
	s_or_b64 exec, exec, s[10:11]
	s_and_b64 vcc, exec, s[4:5]
	s_cbranch_vccnz .LBB90_17
.LBB90_19:                              ;   in Loop: Header=BB90_8 Depth=1
	v_lshl_add_u64 v[6:7], v[6:7], 1, s[40:41]
	global_load_ushort v6, v[6:7], off offset:64
	s_waitcnt vmcnt(0)
	v_cvt_f32_f16_e32 v6, v6
	v_mul_f32_e32 v7, v51, v6
.LBB90_20:                              ;   in Loop: Header=BB90_8 Depth=1
	v_bfi_b32 v6, s19, v82, v79
	v_and_b32_e32 v79, 0x60, v75
	v_bfi_b32 v78, s19, v81, v78
	v_add_u32_e32 v81, 32, v79
	v_xor_b32_e32 v79, 16, v75
	v_fmac_f32_e32 v80, s23, v78
	v_cmp_lt_i32_e32 vcc, v79, v81
	v_fmac_f32_e32 v7, s23, v6
	v_add_f32_e32 v78, 0x40051340, v80
	v_cndmask_b32_e32 v79, v75, v79, vcc
	v_add_f32_e32 v6, 0x40051340, v7
	v_max3_f32 v6, v77, v78, v6
	v_lshlrev_b32_e32 v78, 2, v79
	ds_bpermute_b32 v78, v78, v6
	v_xor_b32_e32 v79, 8, v75
	v_cmp_lt_i32_e32 vcc, v79, v81
	s_mul_hi_i32 s5, s36, s2
	s_mul_i32 s4, s36, s2
	v_cndmask_b32_e32 v79, v75, v79, vcc
	s_waitcnt lgkmcnt(0)
	v_max_f32_e32 v78, v78, v78
	v_lshlrev_b32_e32 v79, 2, v79
	v_max_f32_e32 v6, v6, v78
	ds_bpermute_b32 v78, v79, v6
	v_xor_b32_e32 v79, 4, v75
	v_cmp_lt_i32_e32 vcc, v79, v81
	s_lshl_b64 s[4:5], s[4:5], 2
	s_waitcnt lgkmcnt(0)
	v_cndmask_b32_e32 v79, v75, v79, vcc
	v_max_f32_e32 v78, v78, v78
	v_lshlrev_b32_e32 v79, 2, v79
	v_max_f32_e32 v6, v6, v78
	ds_bpermute_b32 v124, v79, v6
	v_lshl_add_u64 v[78:79], v[0:1], 0, s[4:5]
	v_lshl_add_u64 v[82:83], v[30:31], 2, v[78:79]
	;; [unrolled: 1-line block ×15, first 2 shown]
	s_barrier
	s_waitcnt lgkmcnt(0)
	v_lshl_add_u64 v[122:123], v[82:83], 0, v[10:11]
	v_lshl_add_u64 v[78:79], v[78:79], 0, v[10:11]
	global_load_dwordx4 v[82:85], v[110:111], off
	global_load_dwordx4 v[86:89], v[112:113], off
	;; [unrolled: 1-line block ×7, first 2 shown]
                                        ; kill: killed $vgpr116_vgpr117
                                        ; kill: killed $vgpr110_vgpr111
                                        ; kill: killed $vgpr118_vgpr119
                                        ; kill: killed $vgpr112_vgpr113
                                        ; kill: killed $vgpr120_vgpr121
                                        ; kill: killed $vgpr114_vgpr115
                                        ; kill: killed $vgpr122_vgpr123
	global_load_dwordx4 v[110:113], v[78:79], off
	v_xor_b32_e32 v78, 2, v75
	v_cmp_lt_i32_e32 vcc, v78, v81
	v_max_f32_e32 v79, v124, v124
	v_max_f32_e32 v6, v6, v79
	v_cndmask_b32_e32 v78, v75, v78, vcc
	v_lshlrev_b32_e32 v78, 2, v78
	ds_bpermute_b32 v78, v78, v6
	v_xor_b32_e32 v79, 1, v75
	v_cmp_lt_i32_e32 vcc, v79, v81
	s_waitcnt lgkmcnt(0)
	v_max_f32_e32 v78, v78, v78
	v_cndmask_b32_e32 v79, v75, v79, vcc
	v_lshlrev_b32_e32 v79, 2, v79
	v_max_f32_e32 v6, v6, v78
	ds_bpermute_b32 v78, v79, v6
	s_waitcnt lgkmcnt(0)
	v_max_f32_e32 v78, v78, v78
	v_max_f32_e32 v6, v6, v78
	v_sub_f32_e32 v78, v80, v6
	v_mul_f32_e32 v79, 0x3fb8aa3b, v78
	v_fma_f32 v80, v78, s16, -v79
	v_rndne_f32_e32 v81, v79
	v_fmac_f32_e32 v80, 0x32a5705f, v78
	v_sub_f32_e32 v79, v79, v81
	v_add_f32_e32 v79, v79, v80
	v_exp_f32_e32 v79, v79
	v_cvt_i32_f32_e32 v80, v81
	v_sub_f32_e32 v7, v7, v6
	v_sub_f32_e32 v77, v77, v6
	v_cmp_ngt_f32_e32 vcc, s17, v78
	v_ldexp_f32 v79, v79, v80
	v_mul_f32_e32 v80, 0x3fb8aa3b, v7
	v_fma_f32 v81, v7, s16, -v80
	v_rndne_f32_e32 v114, v80
	v_fmac_f32_e32 v81, 0x32a5705f, v7
	v_sub_f32_e32 v80, v80, v114
	v_add_f32_e32 v80, v80, v81
	v_exp_f32_e32 v80, v80
	v_cvt_i32_f32_e32 v81, v114
	v_cndmask_b32_e32 v79, 0, v79, vcc
	v_cmp_nlt_f32_e32 vcc, s18, v78
	v_ldexp_f32 v80, v80, v81
	v_mul_f32_e32 v81, 0x3fb8aa3b, v77
	v_fma_f32 v114, v77, s16, -v81
	v_rndne_f32_e32 v115, v81
	v_fmac_f32_e32 v114, 0x32a5705f, v77
	v_sub_f32_e32 v81, v81, v115
	v_add_f32_e32 v81, v81, v114
	v_exp_f32_e32 v81, v81
	v_cvt_i32_f32_e32 v114, v115
	v_cndmask_b32_e32 v78, v74, v79, vcc
	v_cmp_ngt_f32_e32 vcc, s17, v7
	v_cvt_f16_f32_e32 v79, v78
	s_nop 0
	v_cndmask_b32_e32 v80, 0, v80, vcc
	v_cmp_nlt_f32_e32 vcc, s18, v7
	v_ldexp_f32 v7, v81, v114
	s_nop 0
	v_cndmask_b32_e32 v80, v74, v80, vcc
	v_cmp_ngt_f32_e32 vcc, s17, v77
	s_nop 1
	v_cndmask_b32_e32 v7, 0, v7, vcc
	v_cmp_nlt_f32_e32 vcc, s18, v77
	s_nop 1
	v_cndmask_b32_e32 v77, v74, v7, vcc
	v_cvt_f16_f32_e32 v81, v77
	v_add_f32_e32 v7, v78, v80
	v_cvt_f16_f32_e32 v78, v80
	v_fmac_f32_e32 v7, v76, v77
	v_mul_u32_u24_e32 v114, 0x10001, v81
	ds_write_b16 v64, v79
	ds_write_b16 v64, v78 offset:64
	s_waitcnt vmcnt(7)
	ds_write_b128 v65, v[82:85]
	s_waitcnt vmcnt(6)
	ds_write_b128 v66, v[86:89]
	s_waitcnt vmcnt(5)
	ds_write_b128 v67, v[90:93]
	s_waitcnt vmcnt(4)
	ds_write_b128 v68, v[94:97]
	s_waitcnt vmcnt(3)
	ds_write_b128 v69, v[98:101]
	s_waitcnt vmcnt(2)
	ds_write_b128 v70, v[102:105]
	s_waitcnt vmcnt(1)
	ds_write_b128 v71, v[106:109]
	s_waitcnt vmcnt(0)
	ds_write_b128 v72, v[110:113]
	s_waitcnt lgkmcnt(0)
	s_barrier
	ds_read_b128 v[76:79], v63
	ds_read2_b64 v[80:83], v48 offset1:32
	ds_read_b128 v[84:87], v63 offset:16
	ds_read_b128 v[88:91], v63 offset:32
	ds_read_b128 v[92:95], v63 offset:48
	s_waitcnt lgkmcnt(4)
	v_mul_u32_u24_sdwa v96, v76, s20 dst_sel:DWORD dst_unused:UNUSED_PAD src0_sel:WORD_0 src1_sel:DWORD
	s_waitcnt lgkmcnt(3)
	v_pk_mul_f16 v80, v80, v96
	v_mul_u32_u24_sdwa v76, v76, s20 dst_sel:DWORD dst_unused:UNUSED_PAD src0_sel:WORD_1 src1_sel:DWORD
	v_pk_fma_f16 v49, v49, v114, v80
	v_pk_mul_f16 v80, v81, v96
	ds_read2_b64 v[96:99], v48 offset0:64 offset1:96
	v_pk_fma_f16 v29, v29, v114, v80
	v_pk_fma_f16 v49, v82, v76, v49
	;; [unrolled: 1-line block ×3, first 2 shown]
	v_mul_u32_u24_sdwa v76, v77, s20 dst_sel:DWORD dst_unused:UNUSED_PAD src0_sel:WORD_0 src1_sel:DWORD
	ds_read2_b64 v[80:83], v48 offset0:128 offset1:160
	s_waitcnt lgkmcnt(1)
	v_pk_fma_f16 v49, v96, v76, v49
	v_pk_fma_f16 v29, v97, v76, v29
	v_mul_u32_u24_sdwa v76, v77, s20 dst_sel:DWORD dst_unused:UNUSED_PAD src0_sel:WORD_1 src1_sel:DWORD
	v_pk_fma_f16 v49, v98, v76, v49
	v_pk_fma_f16 v29, v99, v76, v29
	ds_read2_b64 v[96:99], v48 offset0:192 offset1:224
	v_mul_u32_u24_sdwa v76, v78, s20 dst_sel:DWORD dst_unused:UNUSED_PAD src0_sel:WORD_0 src1_sel:DWORD
	s_waitcnt lgkmcnt(1)
	v_pk_fma_f16 v49, v80, v76, v49
	v_pk_fma_f16 v29, v81, v76, v29
	v_mul_u32_u24_sdwa v76, v78, s20 dst_sel:DWORD dst_unused:UNUSED_PAD src0_sel:WORD_1 src1_sel:DWORD
	v_pk_fma_f16 v49, v82, v76, v49
	v_pk_fma_f16 v29, v83, v76, v29
	v_mul_u32_u24_sdwa v76, v79, s20 dst_sel:DWORD dst_unused:UNUSED_PAD src0_sel:WORD_0 src1_sel:DWORD
	s_waitcnt lgkmcnt(0)
	v_pk_fma_f16 v49, v96, v76, v49
	v_add_u32_e32 v96, 0x800, v48
	ds_read2_b64 v[80:83], v96 offset1:32
	v_pk_fma_f16 v29, v97, v76, v29
	v_mul_u32_u24_sdwa v76, v79, s20 dst_sel:DWORD dst_unused:UNUSED_PAD src0_sel:WORD_1 src1_sel:DWORD
	v_pk_fma_f16 v49, v98, v76, v49
	v_pk_fma_f16 v29, v99, v76, v29
	v_mul_u32_u24_sdwa v76, v84, s20 dst_sel:DWORD dst_unused:UNUSED_PAD src0_sel:WORD_0 src1_sel:DWORD
	s_waitcnt lgkmcnt(0)
	v_pk_fma_f16 v49, v80, v76, v49
	v_pk_fma_f16 v29, v81, v76, v29
	ds_read2_b64 v[76:79], v96 offset0:64 offset1:96
	v_mul_u32_u24_sdwa v80, v84, s20 dst_sel:DWORD dst_unused:UNUSED_PAD src0_sel:WORD_1 src1_sel:DWORD
	v_pk_fma_f16 v49, v82, v80, v49
	v_pk_fma_f16 v29, v83, v80, v29
	v_mul_u32_u24_sdwa v80, v85, s20 dst_sel:DWORD dst_unused:UNUSED_PAD src0_sel:WORD_0 src1_sel:DWORD
	s_waitcnt lgkmcnt(0)
	v_pk_fma_f16 v49, v76, v80, v49
	v_pk_fma_f16 v29, v77, v80, v29
	ds_read2_b64 v[80:83], v96 offset0:128 offset1:160
	;; [unrolled: 8-line block ×3, first 2 shown]
	v_mul_u32_u24_sdwa v80, v86, s20 dst_sel:DWORD dst_unused:UNUSED_PAD src0_sel:WORD_1 src1_sel:DWORD
	v_pk_fma_f16 v49, v82, v80, v49
	v_pk_fma_f16 v29, v83, v80, v29
	v_mul_u32_u24_sdwa v80, v87, s20 dst_sel:DWORD dst_unused:UNUSED_PAD src0_sel:WORD_0 src1_sel:DWORD
	v_add_u32_e32 v84, 0x1000, v48
	s_waitcnt lgkmcnt(0)
	v_pk_fma_f16 v49, v76, v80, v49
	v_pk_fma_f16 v29, v77, v80, v29
	ds_read2_b64 v[80:83], v84 offset1:32
	v_mul_u32_u24_sdwa v76, v87, s20 dst_sel:DWORD dst_unused:UNUSED_PAD src0_sel:WORD_1 src1_sel:DWORD
	v_pk_fma_f16 v49, v78, v76, v49
	v_pk_fma_f16 v29, v79, v76, v29
	v_mul_u32_u24_sdwa v76, v88, s20 dst_sel:DWORD dst_unused:UNUSED_PAD src0_sel:WORD_0 src1_sel:DWORD
	s_waitcnt lgkmcnt(0)
	v_pk_fma_f16 v49, v80, v76, v49
	v_pk_fma_f16 v29, v81, v76, v29
	ds_read2_b64 v[76:79], v84 offset0:64 offset1:96
	v_mul_u32_u24_sdwa v80, v88, s20 dst_sel:DWORD dst_unused:UNUSED_PAD src0_sel:WORD_1 src1_sel:DWORD
	v_pk_fma_f16 v49, v82, v80, v49
	v_pk_fma_f16 v29, v83, v80, v29
	v_mul_u32_u24_sdwa v80, v89, s20 dst_sel:DWORD dst_unused:UNUSED_PAD src0_sel:WORD_0 src1_sel:DWORD
	s_waitcnt lgkmcnt(0)
	v_pk_fma_f16 v49, v76, v80, v49
	v_pk_fma_f16 v29, v77, v80, v29
	ds_read2_b64 v[80:83], v84 offset0:128 offset1:160
	;; [unrolled: 8-line block ×3, first 2 shown]
	v_mul_u32_u24_sdwa v80, v90, s20 dst_sel:DWORD dst_unused:UNUSED_PAD src0_sel:WORD_1 src1_sel:DWORD
	v_pk_fma_f16 v49, v82, v80, v49
	v_pk_fma_f16 v29, v83, v80, v29
	v_mul_u32_u24_sdwa v80, v91, s20 dst_sel:DWORD dst_unused:UNUSED_PAD src0_sel:WORD_0 src1_sel:DWORD
	v_add_u32_e32 v84, 0x1800, v48
	s_waitcnt lgkmcnt(0)
	v_pk_fma_f16 v49, v76, v80, v49
	v_pk_fma_f16 v29, v77, v80, v29
	ds_read2_b64 v[80:83], v84 offset1:32
	v_mul_u32_u24_sdwa v76, v91, s20 dst_sel:DWORD dst_unused:UNUSED_PAD src0_sel:WORD_1 src1_sel:DWORD
	v_pk_fma_f16 v49, v78, v76, v49
	v_pk_fma_f16 v29, v79, v76, v29
	v_mul_u32_u24_sdwa v76, v92, s20 dst_sel:DWORD dst_unused:UNUSED_PAD src0_sel:WORD_0 src1_sel:DWORD
	s_waitcnt lgkmcnt(0)
	v_pk_fma_f16 v49, v80, v76, v49
	v_pk_fma_f16 v29, v81, v76, v29
	ds_read2_b64 v[76:79], v84 offset0:64 offset1:96
	v_mul_u32_u24_sdwa v80, v92, s20 dst_sel:DWORD dst_unused:UNUSED_PAD src0_sel:WORD_1 src1_sel:DWORD
	v_pk_fma_f16 v49, v82, v80, v49
	v_pk_fma_f16 v29, v83, v80, v29
	v_mul_u32_u24_sdwa v80, v93, s20 dst_sel:DWORD dst_unused:UNUSED_PAD src0_sel:WORD_0 src1_sel:DWORD
	s_waitcnt lgkmcnt(0)
	v_pk_fma_f16 v49, v76, v80, v49
	v_pk_fma_f16 v29, v77, v80, v29
	ds_read2_b64 v[80:83], v84 offset0:128 offset1:160
	;; [unrolled: 8-line block ×3, first 2 shown]
	v_mul_u32_u24_sdwa v80, v94, s20 dst_sel:DWORD dst_unused:UNUSED_PAD src0_sel:WORD_1 src1_sel:DWORD
	v_pk_fma_f16 v49, v82, v80, v49
	v_pk_fma_f16 v29, v83, v80, v29
	v_mul_u32_u24_sdwa v80, v95, s20 dst_sel:DWORD dst_unused:UNUSED_PAD src0_sel:WORD_0 src1_sel:DWORD
	s_waitcnt lgkmcnt(0)
	v_pk_fma_f16 v49, v76, v80, v49
	v_pk_fma_f16 v29, v77, v80, v29
	v_add_u32_e32 v92, 0x2000, v48
	ds_read_b128 v[80:83], v63 offset:64
	ds_read2_b64 v[84:87], v92 offset1:32
	v_mul_u32_u24_sdwa v76, v95, s20 dst_sel:DWORD dst_unused:UNUSED_PAD src0_sel:WORD_1 src1_sel:DWORD
	v_pk_fma_f16 v49, v78, v76, v49
	v_pk_fma_f16 v29, v79, v76, v29
	s_waitcnt lgkmcnt(1)
	v_mul_u32_u24_sdwa v88, v80, s20 dst_sel:DWORD dst_unused:UNUSED_PAD src0_sel:WORD_0 src1_sel:DWORD
	s_waitcnt lgkmcnt(0)
	v_pk_fma_f16 v49, v84, v88, v49
	v_pk_fma_f16 v29, v85, v88, v29
	ds_read2_b64 v[88:91], v92 offset0:64 offset1:96
	v_mul_u32_u24_sdwa v80, v80, s20 dst_sel:DWORD dst_unused:UNUSED_PAD src0_sel:WORD_1 src1_sel:DWORD
	v_pk_fma_f16 v49, v86, v80, v49
	v_pk_fma_f16 v29, v87, v80, v29
	v_mul_u32_u24_sdwa v80, v81, s20 dst_sel:DWORD dst_unused:UNUSED_PAD src0_sel:WORD_0 src1_sel:DWORD
	ds_read2_b64 v[84:87], v92 offset0:128 offset1:160
	s_waitcnt lgkmcnt(1)
	v_pk_fma_f16 v49, v88, v80, v49
	v_pk_fma_f16 v29, v89, v80, v29
	v_mul_u32_u24_sdwa v80, v81, s20 dst_sel:DWORD dst_unused:UNUSED_PAD src0_sel:WORD_1 src1_sel:DWORD
	v_pk_fma_f16 v49, v90, v80, v49
	v_pk_fma_f16 v29, v91, v80, v29
	ds_read2_b64 v[88:91], v92 offset0:192 offset1:224
	v_mul_u32_u24_sdwa v80, v82, s20 dst_sel:DWORD dst_unused:UNUSED_PAD src0_sel:WORD_0 src1_sel:DWORD
	s_waitcnt lgkmcnt(1)
	v_pk_fma_f16 v49, v84, v80, v49
	v_pk_fma_f16 v29, v85, v80, v29
	v_mul_u32_u24_sdwa v80, v82, s20 dst_sel:DWORD dst_unused:UNUSED_PAD src0_sel:WORD_1 src1_sel:DWORD
	v_pk_fma_f16 v49, v86, v80, v49
	v_pk_fma_f16 v29, v87, v80, v29
	v_mul_u32_u24_sdwa v80, v83, s20 dst_sel:DWORD dst_unused:UNUSED_PAD src0_sel:WORD_0 src1_sel:DWORD
	ds_read_b128 v[76:79], v63 offset:80
	s_waitcnt lgkmcnt(1)
	v_pk_fma_f16 v49, v88, v80, v49
	v_add_u32_e32 v88, 0x2800, v48
	ds_read2_b64 v[84:87], v88 offset1:32
	v_pk_fma_f16 v29, v89, v80, v29
	v_mul_u32_u24_sdwa v80, v83, s20 dst_sel:DWORD dst_unused:UNUSED_PAD src0_sel:WORD_1 src1_sel:DWORD
	v_pk_fma_f16 v49, v90, v80, v49
	v_pk_fma_f16 v29, v91, v80, v29
	s_waitcnt lgkmcnt(1)
	v_mul_u32_u24_sdwa v80, v76, s20 dst_sel:DWORD dst_unused:UNUSED_PAD src0_sel:WORD_0 src1_sel:DWORD
	s_waitcnt lgkmcnt(0)
	v_pk_fma_f16 v49, v84, v80, v49
	v_pk_fma_f16 v29, v85, v80, v29
	ds_read2_b64 v[80:83], v88 offset0:64 offset1:96
	v_mul_u32_u24_sdwa v76, v76, s20 dst_sel:DWORD dst_unused:UNUSED_PAD src0_sel:WORD_1 src1_sel:DWORD
	v_pk_fma_f16 v49, v86, v76, v49
	v_pk_fma_f16 v29, v87, v76, v29
	v_mul_u32_u24_sdwa v76, v77, s20 dst_sel:DWORD dst_unused:UNUSED_PAD src0_sel:WORD_0 src1_sel:DWORD
	ds_read2_b64 v[84:87], v88 offset0:128 offset1:160
	s_waitcnt lgkmcnt(1)
	v_pk_fma_f16 v49, v80, v76, v49
	v_pk_fma_f16 v29, v81, v76, v29
	v_mul_u32_u24_sdwa v76, v77, s20 dst_sel:DWORD dst_unused:UNUSED_PAD src0_sel:WORD_1 src1_sel:DWORD
	v_pk_fma_f16 v49, v82, v76, v49
	v_pk_fma_f16 v29, v83, v76, v29
	ds_read2_b64 v[80:83], v88 offset0:192 offset1:224
	v_mul_u32_u24_sdwa v76, v78, s20 dst_sel:DWORD dst_unused:UNUSED_PAD src0_sel:WORD_0 src1_sel:DWORD
	s_waitcnt lgkmcnt(1)
	v_pk_fma_f16 v49, v84, v76, v49
	v_pk_fma_f16 v29, v85, v76, v29
	v_mul_u32_u24_sdwa v76, v78, s20 dst_sel:DWORD dst_unused:UNUSED_PAD src0_sel:WORD_1 src1_sel:DWORD
	v_pk_fma_f16 v49, v86, v76, v49
	v_pk_fma_f16 v29, v87, v76, v29
	v_mul_u32_u24_sdwa v76, v79, s20 dst_sel:DWORD dst_unused:UNUSED_PAD src0_sel:WORD_0 src1_sel:DWORD
	s_waitcnt lgkmcnt(0)
	v_pk_fma_f16 v49, v80, v76, v49
	v_pk_fma_f16 v29, v81, v76, v29
	v_mul_u32_u24_sdwa v80, v79, s20 dst_sel:DWORD dst_unused:UNUSED_PAD src0_sel:WORD_1 src1_sel:DWORD
	v_add_u32_e32 v92, 0x3000, v48
	ds_read_b128 v[76:79], v63 offset:96
	ds_read2_b64 v[84:87], v92 offset1:32
	v_pk_fma_f16 v49, v82, v80, v49
	v_pk_fma_f16 v29, v83, v80, v29
	ds_read_b128 v[80:83], v63 offset:112
	s_waitcnt lgkmcnt(2)
	v_mul_u32_u24_sdwa v88, v76, s20 dst_sel:DWORD dst_unused:UNUSED_PAD src0_sel:WORD_0 src1_sel:DWORD
	s_waitcnt lgkmcnt(1)
	v_pk_fma_f16 v49, v84, v88, v49
	v_pk_fma_f16 v29, v85, v88, v29
	ds_read2_b64 v[88:91], v92 offset0:64 offset1:96
	v_mul_u32_u24_sdwa v76, v76, s20 dst_sel:DWORD dst_unused:UNUSED_PAD src0_sel:WORD_1 src1_sel:DWORD
	v_pk_fma_f16 v49, v86, v76, v49
	v_pk_fma_f16 v29, v87, v76, v29
	v_mul_u32_u24_sdwa v76, v77, s20 dst_sel:DWORD dst_unused:UNUSED_PAD src0_sel:WORD_0 src1_sel:DWORD
	ds_read2_b64 v[84:87], v92 offset0:128 offset1:160
	s_waitcnt lgkmcnt(1)
	v_pk_fma_f16 v49, v88, v76, v49
	v_pk_fma_f16 v29, v89, v76, v29
	v_mul_u32_u24_sdwa v76, v77, s20 dst_sel:DWORD dst_unused:UNUSED_PAD src0_sel:WORD_1 src1_sel:DWORD
	v_pk_fma_f16 v49, v90, v76, v49
	v_pk_fma_f16 v29, v91, v76, v29
	ds_read2_b64 v[88:91], v92 offset0:192 offset1:224
	v_mul_u32_u24_sdwa v76, v78, s20 dst_sel:DWORD dst_unused:UNUSED_PAD src0_sel:WORD_0 src1_sel:DWORD
	s_waitcnt lgkmcnt(1)
	v_pk_fma_f16 v49, v84, v76, v49
	v_pk_fma_f16 v29, v85, v76, v29
	v_mul_u32_u24_sdwa v76, v78, s20 dst_sel:DWORD dst_unused:UNUSED_PAD src0_sel:WORD_1 src1_sel:DWORD
	v_pk_fma_f16 v49, v86, v76, v49
	v_pk_fma_f16 v29, v87, v76, v29
	v_mul_u32_u24_sdwa v76, v79, s20 dst_sel:DWORD dst_unused:UNUSED_PAD src0_sel:WORD_0 src1_sel:DWORD
	s_waitcnt lgkmcnt(0)
	v_pk_fma_f16 v49, v88, v76, v49
	v_add_u32_e32 v88, 0x3800, v48
	ds_read2_b64 v[84:87], v88 offset1:32
	v_pk_fma_f16 v29, v89, v76, v29
	v_mul_u32_u24_sdwa v76, v79, s20 dst_sel:DWORD dst_unused:UNUSED_PAD src0_sel:WORD_1 src1_sel:DWORD
	v_pk_fma_f16 v49, v90, v76, v49
	v_pk_fma_f16 v29, v91, v76, v29
	v_mul_u32_u24_sdwa v76, v80, s20 dst_sel:DWORD dst_unused:UNUSED_PAD src0_sel:WORD_0 src1_sel:DWORD
	s_waitcnt lgkmcnt(0)
	v_pk_fma_f16 v49, v84, v76, v49
	v_pk_fma_f16 v29, v85, v76, v29
	ds_read2_b64 v[76:79], v88 offset0:64 offset1:96
	v_mul_u32_u24_sdwa v80, v80, s20 dst_sel:DWORD dst_unused:UNUSED_PAD src0_sel:WORD_1 src1_sel:DWORD
	v_pk_fma_f16 v49, v86, v80, v49
	v_pk_fma_f16 v29, v87, v80, v29
	ds_read2_b64 v[84:87], v88 offset0:128 offset1:160
	v_mul_u32_u24_sdwa v80, v81, s20 dst_sel:DWORD dst_unused:UNUSED_PAD src0_sel:WORD_0 src1_sel:DWORD
	s_waitcnt lgkmcnt(1)
	v_pk_fma_f16 v49, v76, v80, v49
	v_pk_fma_f16 v29, v77, v80, v29
	v_mul_u32_u24_sdwa v76, v81, s20 dst_sel:DWORD dst_unused:UNUSED_PAD src0_sel:WORD_1 src1_sel:DWORD
	v_pk_fma_f16 v49, v78, v76, v49
	v_pk_fma_f16 v29, v79, v76, v29
	v_mul_u32_u24_sdwa v76, v82, s20 dst_sel:DWORD dst_unused:UNUSED_PAD src0_sel:WORD_0 src1_sel:DWORD
	s_waitcnt lgkmcnt(0)
	v_pk_fma_f16 v49, v84, v76, v49
	v_pk_fma_f16 v29, v85, v76, v29
	v_mul_u32_u24_sdwa v76, v82, s20 dst_sel:DWORD dst_unused:UNUSED_PAD src0_sel:WORD_1 src1_sel:DWORD
	v_pk_fma_f16 v49, v86, v76, v49
	v_pk_fma_f16 v29, v87, v76, v29
	ds_read2_b64 v[76:79], v88 offset0:192 offset1:224
	s_waitcnt lgkmcnt(0)
	s_barrier
	s_load_dword s4, s[8:9], 0x4
	v_mul_u32_u24_sdwa v80, v83, s20 dst_sel:DWORD dst_unused:UNUSED_PAD src0_sel:WORD_0 src1_sel:DWORD
	v_pk_fma_f16 v49, v76, v80, v49
	v_pk_fma_f16 v29, v77, v80, v29
	v_mul_u32_u24_sdwa v76, v83, s20 dst_sel:DWORD dst_unused:UNUSED_PAD src0_sel:WORD_1 src1_sel:DWORD
	s_waitcnt lgkmcnt(0)
	s_lshl_b32 s4, s4, 6
	s_add_i32 s36, s4, s36
	v_pk_fma_f16 v49, v78, v76, v49
	s_cmp_lt_i32 s36, s14
	v_pk_fma_f16 v29, v79, v76, v29
	s_cbranch_scc0 .LBB90_24
; %bb.21:                               ;   in Loop: Header=BB90_8 Depth=1
	v_mov_b32_e32 v77, v6
	v_mov_b32_e32 v76, v7
	s_branch .LBB90_8
.LBB90_22:                              ;   in Loop: Header=BB90_8 Depth=1
	v_mov_b32_e32 v80, 0
	v_cmp_nlt_f32_e64 s[10:11], |v79|, s15
                                        ; implicit-def: $vgpr82
	s_and_saveexec_b64 s[26:27], s[10:11]
	s_xor_b64 s[10:11], exec, s[26:27]
	s_cbranch_execz .LBB90_15
	s_branch .LBB90_14
.LBB90_23:
	v_mov_b32_e32 v29, 0
	v_mov_b32_e32 v6, 0xfeffffff
	;; [unrolled: 1-line block ×3, first 2 shown]
.LBB90_24:
	s_cmp_gt_i32 s12, s36
	s_cbranch_scc1 .LBB90_26
; %bb.25:
	v_mbcnt_hi_u32_b32 v10, -1, v52
	v_and_b32_e32 v11, 0x60, v10
	v_add_u32_e32 v11, 32, v11
	v_xor_b32_e32 v21, 16, v10
	v_xor_b32_e32 v20, 8, v10
	;; [unrolled: 1-line block ×5, first 2 shown]
	s_cbranch_execz .LBB90_27
	s_branch .LBB90_46
.LBB90_26:
                                        ; implicit-def: $vgpr10
                                        ; implicit-def: $vgpr11
                                        ; implicit-def: $vgpr21
                                        ; implicit-def: $vgpr20
                                        ; implicit-def: $vgpr22
                                        ; implicit-def: $vgpr23
                                        ; implicit-def: $vgpr24
.LBB90_27:
	s_mul_hi_i32 s5, s36, s13
	s_mul_i32 s4, s36, s13
	s_lshl_b64 s[4:5], s[4:5], 2
	v_lshl_add_u32 v12, v50, 1, v9
	s_mov_b64 s[6:7], src_private_base
	v_lshl_add_u64 v[2:3], v[2:3], 0, s[4:5]
	v_mul_lo_u32 v10, s13, v12
	s_mov_b32 s4, 0
	v_ashrrev_i32_e32 v11, 31, v10
	s_mov_b32 s6, s4
	s_sub_i32 s37, s12, s36
	v_mov_b32_e32 v9, 0
	v_lshlrev_b32_e32 v8, 2, v8
	s_mov_b32 s5, s4
	v_mov_b32_e32 v32, s6
	v_lshl_add_u64 v[14:15], v[10:11], 2, v[2:3]
	v_mov_b32_e32 v31, s5
	v_mov_b32_e32 v30, s4
	v_lshl_add_u64 v[14:15], v[14:15], 0, v[8:9]
	v_mov_b32_e32 v26, s7
	v_cmp_gt_i32_e64 s[20:21], s37, v12
	v_mov_b32_e32 v27, 0
	scratch_store_dword off, v9, off
	scratch_store_dwordx3 off, v[30:32], off offset:4
	v_cndmask_b32_e64 v15, v26, v15, s[20:21]
	v_cndmask_b32_e64 v14, v27, v14, s[20:21]
	flat_load_dwordx4 v[14:17], v[14:15]
	s_lshl_b32 s16, s13, 3
	v_add_u32_e32 v10, s16, v10
	v_ashrrev_i32_e32 v11, 31, v10
	s_movk_i32 s4, 0x110
	v_add_u32_e32 v13, 8, v12
	v_lshl_add_u64 v[18:19], v[10:11], 2, v[2:3]
	v_mad_u32_u24 v28, v12, s4, v8
	v_lshl_add_u64 v[18:19], v[18:19], 0, v[8:9]
	v_cmp_gt_i32_e64 s[6:7], s37, v13
	scratch_store_dword off, v9, off
	scratch_store_dwordx3 off, v[30:32], off offset:4
	v_cndmask_b32_e64 v19, v26, v19, s[6:7]
	v_cndmask_b32_e64 v18, v27, v18, s[6:7]
	v_add_u32_e32 v10, s16, v10
	v_ashrrev_i32_e32 v11, 31, v10
	v_lshl_add_u64 v[20:21], v[10:11], 2, v[2:3]
	v_lshl_add_u64 v[20:21], v[20:21], 0, v[8:9]
	v_add_u32_e32 v10, s16, v10
	v_ashrrev_i32_e32 v11, 31, v10
	s_mov_b32 s18, 0x3f200000
	s_waitcnt vmcnt(0) lgkmcnt(0)
	ds_write_b128 v28, v[14:17]
	flat_load_dwordx4 v[16:19], v[18:19]
	v_add_u32_e32 v14, 16, v12
	v_cmp_gt_i32_e64 s[4:5], s37, v14
	scratch_store_dword off, v9, off
	scratch_store_dwordx3 off, v[30:32], off offset:4
	v_cndmask_b32_e64 v21, v26, v21, s[4:5]
	v_cndmask_b32_e64 v20, v27, v20, s[4:5]
	v_add_u32_e32 v15, 24, v12
	v_cmp_gt_i32_e64 s[8:9], s37, v15
	s_waitcnt vmcnt(0) lgkmcnt(0)
	ds_write_b128 v28, v[16:19] offset:2176
	flat_load_dwordx4 v[16:19], v[20:21]
	v_lshl_add_u64 v[20:21], v[10:11], 2, v[2:3]
	v_lshl_add_u64 v[20:21], v[20:21], 0, v[8:9]
	v_cndmask_b32_e64 v21, v26, v21, s[8:9]
	v_cndmask_b32_e64 v20, v27, v20, s[8:9]
	scratch_store_dword off, v9, off
	scratch_store_dwordx3 off, v[30:32], off offset:4
	v_add_u32_e32 v10, s16, v10
	v_ashrrev_i32_e32 v11, 31, v10
	v_lshl_add_u64 v[22:23], v[10:11], 2, v[2:3]
	v_lshl_add_u64 v[22:23], v[22:23], 0, v[8:9]
	v_add_u32_e32 v10, s16, v10
	v_ashrrev_i32_e32 v11, 31, v10
	s_waitcnt vmcnt(0) lgkmcnt(0)
	ds_write_b128 v28, v[16:19] offset:4352
	flat_load_dwordx4 v[18:21], v[20:21]
	v_add_u32_e32 v16, 32, v12
	v_cmp_gt_i32_e64 s[10:11], s37, v16
	scratch_store_dword off, v9, off
	scratch_store_dwordx3 off, v[30:32], off offset:4
	v_cndmask_b32_e64 v23, v26, v23, s[10:11]
	v_cndmask_b32_e64 v22, v27, v22, s[10:11]
	v_add_u32_e32 v17, 40, v12
	v_cmp_gt_i32_e64 s[12:13], s37, v17
	s_waitcnt vmcnt(0) lgkmcnt(0)
	ds_write_b128 v28, v[18:21] offset:6528
	flat_load_dwordx4 v[18:21], v[22:23]
	v_lshl_add_u64 v[22:23], v[10:11], 2, v[2:3]
	v_lshl_add_u64 v[22:23], v[22:23], 0, v[8:9]
	v_cndmask_b32_e64 v23, v26, v23, s[12:13]
	v_cndmask_b32_e64 v22, v27, v22, s[12:13]
	scratch_store_dword off, v9, off
	scratch_store_dwordx3 off, v[30:32], off offset:4
	v_add_u32_e32 v10, s16, v10
	v_ashrrev_i32_e32 v11, 31, v10
	v_lshl_add_u64 v[24:25], v[10:11], 2, v[2:3]
	v_lshl_add_u64 v[24:25], v[24:25], 0, v[8:9]
	v_add_u32_e32 v10, s16, v10
	v_ashrrev_i32_e32 v11, 31, v10
	v_lshl_add_u64 v[2:3], v[10:11], 2, v[2:3]
	v_lshl_add_u64 v[2:3], v[2:3], 0, v[8:9]
	s_waitcnt vmcnt(0) lgkmcnt(0)
	ds_write_b128 v28, v[18:21] offset:8704
	flat_load_dwordx4 v[20:23], v[22:23]
	v_add_u32_e32 v18, 48, v12
	v_cmp_gt_i32_e64 s[14:15], s37, v18
	scratch_store_dword off, v9, off
	scratch_store_dwordx3 off, v[30:32], off offset:4
	v_cndmask_b32_e64 v25, v26, v25, s[14:15]
	v_cndmask_b32_e64 v24, v27, v24, s[14:15]
	v_add_u32_e32 v19, 56, v12
	v_cmp_gt_i32_e64 s[16:17], s37, v19
	s_waitcnt vmcnt(0) lgkmcnt(0)
	ds_write_b128 v28, v[20:23] offset:10880
	flat_load_dwordx4 v[20:23], v[24:25]
	v_cndmask_b32_e64 v3, v26, v3, s[16:17]
	v_cndmask_b32_e64 v2, v27, v2, s[16:17]
	scratch_store_dword off, v9, off
	scratch_store_dwordx3 off, v[30:32], off offset:4
	s_waitcnt vmcnt(0) lgkmcnt(0)
	ds_write_b128 v28, v[20:23] offset:13056
	flat_load_dwordx4 v[20:23], v[2:3]
	v_mul_u32_u24_e32 v3, 0x110, v4
	v_mov_b32_e32 v2, v9
	s_waitcnt vmcnt(0) lgkmcnt(0)
	ds_write_b128 v28, v[20:23] offset:15232
	s_waitcnt lgkmcnt(0)
	s_barrier
	ds_read_b128 v[20:23], v3
	ds_read_b128 v[24:27], v53
	ds_read_b128 v[30:33], v3 offset:8704
	s_waitcnt lgkmcnt(1)
	;;#ASMSTART
	v_dot2_f32_f16 v2, v20, v24, v2
	;;#ASMEND
	s_nop 0
	;;#ASMSTART
	v_dot2_f32_f16 v2, v21, v25, v2
	;;#ASMEND
	s_nop 0
	;;#ASMSTART
	v_dot2_f32_f16 v2, v22, v26, v2
	;;#ASMEND
	s_nop 0
	;;#ASMSTART
	v_dot2_f32_f16 v2, v23, v27, v2
	;;#ASMEND
	s_waitcnt lgkmcnt(0)
	;;#ASMSTART
	v_dot2_f32_f16 v9, v30, v24, v9
	;;#ASMEND
	s_nop 0
	;;#ASMSTART
	v_dot2_f32_f16 v9, v31, v25, v9
	;;#ASMEND
	s_nop 0
	;;#ASMSTART
	v_dot2_f32_f16 v9, v32, v26, v9
	;;#ASMEND
	s_nop 0
	;;#ASMSTART
	v_dot2_f32_f16 v9, v33, v27, v9
	;;#ASMEND
	ds_read_b128 v[20:23], v3 offset:16
	ds_read_b128 v[24:27], v53 offset:16
	ds_read_b128 v[30:33], v3 offset:8720
	s_waitcnt lgkmcnt(1)
	;;#ASMSTART
	v_dot2_f32_f16 v2, v20, v24, v2
	;;#ASMEND
	s_nop 0
	;;#ASMSTART
	v_dot2_f32_f16 v2, v21, v25, v2
	;;#ASMEND
	s_nop 0
	;;#ASMSTART
	v_dot2_f32_f16 v2, v22, v26, v2
	;;#ASMEND
	s_nop 0
	;;#ASMSTART
	v_dot2_f32_f16 v2, v23, v27, v2
	;;#ASMEND
	s_waitcnt lgkmcnt(0)
	;;#ASMSTART
	v_dot2_f32_f16 v9, v30, v24, v9
	;;#ASMEND
	s_nop 0
	;;#ASMSTART
	v_dot2_f32_f16 v9, v31, v25, v9
	;;#ASMEND
	s_nop 0
	;;#ASMSTART
	v_dot2_f32_f16 v9, v32, v26, v9
	;;#ASMEND
	s_nop 0
	;;#ASMSTART
	v_dot2_f32_f16 v9, v33, v27, v9
	;;#ASMEND
	ds_read_b128 v[20:23], v3 offset:32
	ds_read_b128 v[24:27], v53 offset:32
	;; [unrolled: 35-line block ×15, first 2 shown]
	ds_read_b128 v[30:33], v3 offset:8944
	s_waitcnt lgkmcnt(1)
	;;#ASMSTART
	v_dot2_f32_f16 v2, v20, v24, v2
	;;#ASMEND
	s_nop 0
	;;#ASMSTART
	v_dot2_f32_f16 v2, v21, v25, v2
	;;#ASMEND
                                        ; implicit-def: $vgpr3
	s_nop 0
	;;#ASMSTART
	v_dot2_f32_f16 v2, v22, v26, v2
	;;#ASMEND
	s_nop 0
	;;#ASMSTART
	v_dot2_f32_f16 v2, v23, v27, v2
	;;#ASMEND
	s_waitcnt lgkmcnt(0)
	;;#ASMSTART
	v_dot2_f32_f16 v9, v30, v24, v9
	;;#ASMEND
	s_nop 0
	;;#ASMSTART
	v_dot2_f32_f16 v9, v31, v25, v9
	;;#ASMEND
	v_cmp_nlt_f32_e64 s[18:19], |v2|, s18
	;;#ASMSTART
	v_dot2_f32_f16 v9, v32, v26, v9
	;;#ASMEND
	s_nop 0
	;;#ASMSTART
	v_dot2_f32_f16 v9, v33, v27, v9
	;;#ASMEND
	s_and_saveexec_b64 s[26:27], s[18:19]
	s_xor_b64 s[18:19], exec, s[26:27]
	s_cbranch_execz .LBB90_29
; %bb.28:
	v_add_f32_e64 v3, |v2|, |v2|
	v_mul_f32_e32 v10, 0x3fb8aa3b, v3
	s_mov_b32 s26, 0x3fb8aa3b
	v_rndne_f32_e32 v11, v10
	v_sub_f32_e32 v20, v10, v11
	v_fma_f32 v10, v3, s26, -v10
	v_fmamk_f32 v10, v3, 0x32a5705f, v10
	v_add_f32_e32 v10, v20, v10
	v_exp_f32_e32 v10, v10
	v_cvt_i32_f32_e32 v11, v11
	s_mov_b32 s26, 0xc2ce8ed0
	v_cmp_ngt_f32_e32 vcc, s26, v3
	s_mov_b32 s26, 0x42b17218
	v_ldexp_f32 v10, v10, v11
	v_cndmask_b32_e32 v10, 0, v10, vcc
	v_mov_b32_e32 v11, 0x7f800000
	v_cmp_nlt_f32_e32 vcc, s26, v3
	s_nop 1
	v_cndmask_b32_e32 v3, v11, v10, vcc
	v_add_f32_e32 v3, 1.0, v3
	v_rcp_f32_e32 v3, v3
	s_nop 0
	v_fma_f32 v3, v3, -2.0, 1.0
.LBB90_29:
	s_andn2_saveexec_b64 s[18:19], s[18:19]
; %bb.30:
	v_mul_f32_e32 v3, v2, v2
	v_mov_b32_e32 v10, 0x3ca908c9
	v_fmac_f32_e32 v10, 0xbbbac73d, v3
	v_fmaak_f32 v10, v3, v10, 0xbd5c1c4e
	v_fmaak_f32 v10, v3, v10, 0x3e088382
	;; [unrolled: 1-line block ×3, first 2 shown]
	v_mul_f32_e64 v10, |v2|, v10
	v_fma_f32 v3, v3, v10, |v2|
; %bb.31:
	s_or_b64 exec, exec, s[18:19]
	s_cmp_lg_u64 s[40:41], 0
	s_brev_b32 s18, -2
	v_bfi_b32 v2, s18, v3, v2
	s_cselect_b64 s[18:19], -1, 0
	v_mul_lo_u32 v5, v5, s22
	v_cndmask_b32_e64 v3, 0, 1, s[18:19]
	v_add_u32_e32 v10, s36, v5
	v_mul_f32_e32 v2, s23, v2
	v_cmp_gt_i32_e32 vcc, s37, v4
	v_cmp_ne_u32_e64 s[18:19], 1, v3
	v_mov_b32_e32 v22, v6
	s_and_saveexec_b64 s[26:27], vcc
	s_cbranch_execz .LBB90_36
; %bb.32:
	s_and_b64 vcc, exec, s[18:19]
	s_cbranch_vccnz .LBB90_34
; %bb.33:
	v_add_u32_e32 v20, v10, v4
	v_ashrrev_i32_e32 v21, 31, v20
	v_lshl_add_u64 v[20:21], v[20:21], 1, s[40:41]
	global_load_ushort v3, v[20:21], off
	s_waitcnt vmcnt(0)
	v_cvt_f32_f16_e32 v3, v3
	v_mul_f32_e32 v3, v51, v3
	s_branch .LBB90_35
.LBB90_34:
	v_mov_b32_e32 v3, 0
.LBB90_35:
	v_add_f32_e32 v2, v2, v3
	v_add_f32_e32 v3, 0x40051340, v2
	v_max_f32_e32 v5, v6, v6
	v_max_f32_e32 v22, v5, v3
.LBB90_36:
	s_or_b64 exec, exec, s[26:27]
	s_mov_b32 s22, 0x3f200000
	v_cmp_nlt_f32_e64 s[26:27], |v9|, s22
                                        ; implicit-def: $vgpr3
	s_and_saveexec_b64 s[42:43], s[26:27]
	s_xor_b64 s[26:27], exec, s[42:43]
	s_cbranch_execz .LBB90_38
; %bb.37:
	v_add_f32_e64 v3, |v9|, |v9|
	v_mul_f32_e32 v5, 0x3fb8aa3b, v3
	s_mov_b32 s22, 0x3fb8aa3b
	v_rndne_f32_e32 v11, v5
	v_sub_f32_e32 v20, v5, v11
	v_fma_f32 v5, v3, s22, -v5
	v_fmamk_f32 v5, v3, 0x32a5705f, v5
	v_add_f32_e32 v5, v20, v5
	v_exp_f32_e32 v5, v5
	v_cvt_i32_f32_e32 v11, v11
	s_mov_b32 s22, 0xc2ce8ed0
	v_cmp_ngt_f32_e32 vcc, s22, v3
	s_mov_b32 s22, 0x42b17218
	v_ldexp_f32 v5, v5, v11
	v_cndmask_b32_e32 v5, 0, v5, vcc
	v_mov_b32_e32 v11, 0x7f800000
	v_cmp_nlt_f32_e32 vcc, s22, v3
	s_nop 1
	v_cndmask_b32_e32 v3, v11, v5, vcc
	v_add_f32_e32 v3, 1.0, v3
	v_rcp_f32_e32 v3, v3
	s_nop 0
	v_fma_f32 v3, v3, -2.0, 1.0
.LBB90_38:
	s_andn2_saveexec_b64 s[26:27], s[26:27]
; %bb.39:
	v_mul_f32_e32 v3, v9, v9
	v_mov_b32_e32 v5, 0x3ca908c9
	v_fmac_f32_e32 v5, 0xbbbac73d, v3
	v_fmaak_f32 v5, v3, v5, 0xbd5c1c4e
	v_fmaak_f32 v5, v3, v5, 0x3e088382
	;; [unrolled: 1-line block ×3, first 2 shown]
	v_mul_f32_e64 v5, |v9|, v5
	v_fma_f32 v3, v3, v5, |v9|
; %bb.40:
	s_or_b64 exec, exec, s[26:27]
	s_brev_b32 s22, -2
	v_add_u32_e32 v27, 32, v4
	v_bfi_b32 v3, s22, v3, v9
	v_mul_f32_e32 v3, s23, v3
	v_cmp_gt_i32_e32 vcc, s37, v27
	s_and_saveexec_b64 s[22:23], vcc
	s_cbranch_execz .LBB90_45
; %bb.41:
	s_and_b64 vcc, exec, s[18:19]
	s_cbranch_vccnz .LBB90_43
; %bb.42:
	v_ashrrev_i32_e32 v11, 31, v10
	v_mov_b32_e32 v5, 0
	v_lshl_add_u64 v[10:11], v[10:11], 0, v[4:5]
	v_lshl_add_u64 v[10:11], v[10:11], 1, s[40:41]
	global_load_ushort v5, v[10:11], off offset:64
	s_waitcnt vmcnt(0)
	v_cvt_f32_f16_e32 v5, v5
	v_mul_f32_e32 v5, v51, v5
	s_branch .LBB90_44
.LBB90_43:
	v_mov_b32_e32 v5, 0
.LBB90_44:
	v_add_f32_e32 v3, v3, v5
	v_add_f32_e32 v5, 0x40051340, v3
	v_max_f32_e32 v9, v22, v22
	v_max_f32_e32 v22, v9, v5
.LBB90_45:
	s_or_b64 exec, exec, s[22:23]
	v_mbcnt_hi_u32_b32 v10, -1, v52
	v_and_b32_e32 v5, 0x60, v10
	v_add_u32_e32 v11, 32, v5
	v_xor_b32_e32 v21, 16, v10
	v_cmp_lt_i32_e32 vcc, v21, v11
	v_xor_b32_e32 v20, 8, v10
	s_mov_b32 s23, 0x3fb8aa3b
	v_cndmask_b32_e32 v5, v10, v21, vcc
	v_lshlrev_b32_e32 v5, 2, v5
	ds_bpermute_b32 v5, v5, v22
	v_cmp_lt_i32_e32 vcc, v20, v11
	v_max_f32_e32 v22, v22, v22
	s_mov_b64 s[18:19], src_private_base
	v_cndmask_b32_e32 v9, v10, v20, vcc
	s_waitcnt lgkmcnt(0)
	v_max_f32_e32 v5, v5, v5
	v_lshlrev_b32_e32 v9, 2, v9
	v_max_f32_e32 v5, v22, v5
	ds_bpermute_b32 v9, v9, v5
	v_xor_b32_e32 v22, 4, v10
	v_cmp_lt_i32_e32 vcc, v22, v11
	s_mov_b32 s18, 0xc2ce8ed0
	s_mov_b32 s22, 0x42b17218
	v_cndmask_b32_e32 v23, v10, v22, vcc
	s_waitcnt lgkmcnt(0)
	v_max_f32_e32 v9, v9, v9
	v_lshlrev_b32_e32 v23, 2, v23
	v_max_f32_e32 v5, v5, v9
	ds_bpermute_b32 v9, v23, v5
	v_xor_b32_e32 v23, 2, v10
	v_cmp_lt_i32_e32 vcc, v23, v11
	v_mov_b32_e32 v28, 0x7f800000
	s_movk_i32 s26, 0x4800
	v_cndmask_b32_e32 v24, v10, v23, vcc
	s_waitcnt lgkmcnt(0)
	v_max_f32_e32 v9, v9, v9
	v_lshlrev_b32_e32 v24, 2, v24
	v_max_f32_e32 v5, v5, v9
	ds_bpermute_b32 v9, v24, v5
	v_xor_b32_e32 v24, 1, v10
	v_cmp_lt_i32_e32 vcc, v24, v11
	s_mul_hi_i32 s27, s36, s2
	v_mul_lo_u32 v32, s2, v12
	v_cndmask_b32_e32 v25, v10, v24, vcc
	s_waitcnt lgkmcnt(0)
	v_max_f32_e32 v9, v9, v9
	v_lshlrev_b32_e32 v25, 2, v25
	v_max_f32_e32 v5, v5, v9
	ds_bpermute_b32 v9, v25, v5
	s_mov_b32 s40, 0
	v_ashrrev_i32_e32 v33, 31, v32
	s_waitcnt lgkmcnt(0)
	s_barrier
	v_max_f32_e32 v9, v9, v9
	v_max_f32_e32 v25, v5, v9
	v_sub_f32_e32 v2, v2, v25
	v_mul_f32_e32 v5, 0x3fb8aa3b, v2
	v_fma_f32 v9, v2, s23, -v5
	v_rndne_f32_e32 v26, v5
	v_fmac_f32_e32 v9, 0x32a5705f, v2
	v_sub_f32_e32 v5, v5, v26
	v_add_f32_e32 v5, v5, v9
	v_exp_f32_e32 v9, v5
	v_cvt_i32_f32_e32 v26, v26
	v_cmp_ngt_f32_e32 vcc, s18, v2
	v_sub_f32_e32 v3, v3, v25
	v_lshlrev_b32_e32 v5, 7, v50
	v_ldexp_f32 v9, v9, v26
	v_cndmask_b32_e32 v9, 0, v9, vcc
	v_cmp_nlt_f32_e32 vcc, s22, v2
	s_mov_b32 s41, s40
	s_nop 0
	v_cndmask_b32_e32 v2, v28, v9, vcc
	v_mul_f32_e32 v9, 0x3fb8aa3b, v3
	v_fma_f32 v26, v3, s23, -v9
	v_rndne_f32_e32 v30, v9
	v_fmac_f32_e32 v26, 0x32a5705f, v3
	v_sub_f32_e32 v9, v9, v30
	v_add_f32_e32 v9, v9, v26
	v_exp_f32_e32 v9, v9
	v_cvt_i32_f32_e32 v30, v30
	v_cmp_gt_u32_e32 vcc, s37, v4
	s_mov_b32 s42, s40
	v_mov_b32_e32 v38, s40
	v_cndmask_b32_e32 v26, 0, v2, vcc
	v_ldexp_f32 v9, v9, v30
	v_cmp_ngt_f32_e32 vcc, s18, v3
	v_cvt_f16_f32_e32 v2, v26
	v_mov_b32_e32 v39, s41
	v_cndmask_b32_e32 v9, 0, v9, vcc
	v_cmp_nlt_f32_e32 vcc, s22, v3
	v_mov_b32_e32 v40, s42
	v_mov_b32_e32 v36, s19
	v_cndmask_b32_e32 v3, v28, v9, vcc
	v_cmp_gt_u32_e32 vcc, s37, v27
	v_lshlrev_b32_e32 v9, 1, v4
	v_add3_u32 v9, v5, s26, v9
	v_cndmask_b32_e32 v27, 0, v3, vcc
	v_cvt_f16_f32_e32 v3, v27
	s_mul_i32 s26, s36, s2
	s_lshl_b64 s[26:27], s[26:27], 2
	v_lshl_add_u64 v[30:31], v[0:1], 0, s[26:27]
	ds_write_b16 v9, v2
	ds_write_b16 v9, v3 offset:64
	v_lshl_add_u64 v[0:1], v[32:33], 2, v[30:31]
	v_mov_b32_e32 v9, 0
	v_lshl_add_u64 v[0:1], v[0:1], 0, v[8:9]
	v_mov_b32_e32 v37, 0
	scratch_store_dword off, v9, off
	scratch_store_dwordx3 off, v[38:40], off offset:4
	v_cndmask_b32_e64 v1, v36, v1, s[20:21]
	v_cndmask_b32_e64 v0, v37, v0, s[20:21]
	flat_load_dwordx4 v[0:3], v[0:1]
	s_lshl_b32 s2, s2, 3
	v_add_u32_e32 v32, s2, v32
	v_ashrrev_i32_e32 v33, 31, v32
	v_lshl_add_u64 v[34:35], v[32:33], 2, v[30:31]
	v_lshl_or_b32 v12, v12, 8, v8
	v_lshl_add_u64 v[34:35], v[34:35], 0, v[8:9]
	v_cndmask_b32_e64 v35, v36, v35, s[6:7]
	v_cndmask_b32_e64 v34, v37, v34, s[6:7]
	scratch_store_dword off, v9, off
	scratch_store_dwordx3 off, v[38:40], off offset:4
	v_lshl_or_b32 v14, v14, 8, v8
	v_lshl_or_b32 v16, v16, 8, v8
	v_sub_f32_e32 v6, v6, v25
	v_cmp_ngt_f32_e32 vcc, s18, v6
	v_add_u32_e32 v82, 0x1000, v48
	v_add_u32_e32 v98, 0x1800, v48
	;; [unrolled: 1-line block ×6, first 2 shown]
	s_waitcnt vmcnt(0) lgkmcnt(0)
	ds_write_b128 v12, v[0:3]
	flat_load_dwordx4 v[0:3], v[34:35]
	v_add_u32_e32 v12, s2, v32
	v_lshl_or_b32 v34, v13, 8, v8
	v_ashrrev_i32_e32 v13, 31, v12
	v_lshl_add_u64 v[32:33], v[12:13], 2, v[30:31]
	v_lshl_add_u64 v[32:33], v[32:33], 0, v[8:9]
	v_cndmask_b32_e64 v33, v36, v33, s[4:5]
	v_cndmask_b32_e64 v32, v37, v32, s[4:5]
	scratch_store_dword off, v9, off
	scratch_store_dwordx3 off, v[38:40], off offset:4
	v_add_u32_e32 v12, s2, v12
	v_ashrrev_i32_e32 v13, 31, v12
	s_waitcnt vmcnt(0) lgkmcnt(0)
	ds_write_b128 v34, v[0:3]
	flat_load_dwordx4 v[0:3], v[32:33]
	v_lshl_add_u64 v[32:33], v[12:13], 2, v[30:31]
	v_lshl_add_u64 v[32:33], v[32:33], 0, v[8:9]
	v_cndmask_b32_e64 v33, v36, v33, s[8:9]
	v_cndmask_b32_e64 v32, v37, v32, s[8:9]
	scratch_store_dword off, v9, off
	scratch_store_dwordx3 off, v[38:40], off offset:4
	v_add_u32_e32 v12, s2, v12
	v_ashrrev_i32_e32 v13, 31, v12
	s_waitcnt vmcnt(0) lgkmcnt(0)
	ds_write_b128 v14, v[0:3]
	flat_load_dwordx4 v[0:3], v[32:33]
	v_lshl_or_b32 v32, v15, 8, v8
	v_lshl_add_u64 v[14:15], v[12:13], 2, v[30:31]
	v_lshl_add_u64 v[14:15], v[14:15], 0, v[8:9]
	v_cndmask_b32_e64 v15, v36, v15, s[10:11]
	v_cndmask_b32_e64 v14, v37, v14, s[10:11]
	scratch_store_dword off, v9, off
	scratch_store_dwordx3 off, v[38:40], off offset:4
	v_add_u32_e32 v12, s2, v12
	v_ashrrev_i32_e32 v13, 31, v12
	s_waitcnt vmcnt(0) lgkmcnt(0)
	ds_write_b128 v32, v[0:3]
	flat_load_dwordx4 v[0:3], v[14:15]
	v_lshl_add_u64 v[14:15], v[12:13], 2, v[30:31]
	v_lshl_add_u64 v[14:15], v[14:15], 0, v[8:9]
	v_cndmask_b32_e64 v15, v36, v15, s[12:13]
	v_cndmask_b32_e64 v14, v37, v14, s[12:13]
	scratch_store_dword off, v9, off
	scratch_store_dwordx3 off, v[38:40], off offset:4
	v_add_u32_e32 v12, s2, v12
	v_ashrrev_i32_e32 v13, 31, v12
	s_waitcnt vmcnt(0) lgkmcnt(0)
	ds_write_b128 v16, v[0:3]
	flat_load_dwordx4 v[0:3], v[14:15]
	v_lshl_add_u64 v[14:15], v[12:13], 2, v[30:31]
	v_lshl_or_b32 v16, v17, 8, v8
	v_lshl_add_u64 v[14:15], v[14:15], 0, v[8:9]
	v_cndmask_b32_e64 v15, v36, v15, s[14:15]
	v_cndmask_b32_e64 v14, v37, v14, s[14:15]
	scratch_store_dword off, v9, off
	scratch_store_dwordx3 off, v[38:40], off offset:4
	v_add_u32_e32 v12, s2, v12
	v_ashrrev_i32_e32 v13, 31, v12
	v_lshl_add_u64 v[12:13], v[12:13], 2, v[30:31]
	v_lshl_add_u64 v[12:13], v[12:13], 0, v[8:9]
	v_cndmask_b32_e64 v13, v36, v13, s[16:17]
	v_cndmask_b32_e64 v12, v37, v12, s[16:17]
	s_mov_b32 s2, 0x10001
	s_waitcnt vmcnt(0) lgkmcnt(0)
	ds_write_b128 v16, v[0:3]
	flat_load_dwordx4 v[0:3], v[14:15]
	v_lshl_or_b32 v14, v18, 8, v8
	scratch_store_dword off, v9, off
	scratch_store_dwordx3 off, v[38:40], off offset:4
	v_lshl_or_b32 v8, v19, 8, v8
	v_add_u32_e32 v9, 0x800, v48
	s_waitcnt vmcnt(0) lgkmcnt(0)
	ds_write_b128 v14, v[0:3]
	flat_load_dwordx4 v[0:3], v[12:13]
	v_mul_f32_e32 v12, 0x3fb8aa3b, v6
	v_fma_f32 v13, v6, s23, -v12
	v_rndne_f32_e32 v14, v12
	v_fmac_f32_e32 v13, 0x32a5705f, v6
	v_sub_f32_e32 v12, v12, v14
	v_add_f32_e32 v12, v12, v13
	v_cvt_i32_f32_e32 v14, v14
	v_exp_f32_e32 v12, v12
	s_waitcnt vmcnt(0) lgkmcnt(0)
	ds_write_b128 v8, v[0:3]
	v_ldexp_f32 v12, v12, v14
	v_cndmask_b32_e32 v12, 0, v12, vcc
	v_cmp_nlt_f32_e32 vcc, s22, v6
	v_mov_b32_e32 v6, v25
	v_add_f32_e32 v25, v26, v27
	v_cndmask_b32_e32 v12, v28, v12, vcc
	v_cvt_f16_f32_e32 v13, v12
	v_fmac_f32_e32 v25, v7, v12
	s_waitcnt lgkmcnt(0)
	s_barrier
	v_mul_u32_u24_e32 v7, 0x10001, v13
	ds_read2_b64 v[0:3], v48 offset1:32
	ds_read_b128 v[12:15], v5 offset:18432
	ds_read_b128 v[16:19], v5 offset:18448
	ds_read_b128 v[30:33], v5 offset:18464
	ds_read_b128 v[34:37], v5 offset:18480
	ds_read2_b64 v[38:41], v48 offset0:64 offset1:96
	ds_read2_b64 v[42:45], v48 offset0:128 offset1:160
	ds_read2_b64 v[50:53], v48 offset0:192 offset1:224
	ds_read2_b64 v[54:57], v9 offset1:32
	ds_read2_b64 v[58:61], v9 offset0:64 offset1:96
	ds_read2_b64 v[62:65], v9 offset0:128 offset1:160
	ds_read2_b64 v[66:69], v9 offset0:192 offset1:224
	ds_read2_b64 v[70:73], v82 offset1:32
	;; [unrolled: 4-line block ×4, first 2 shown]
	ds_read2_b64 v[106:109], v114 offset0:64 offset1:96
	ds_read2_b64 v[110:113], v114 offset0:128 offset1:160
	;; [unrolled: 1-line block ×3, first 2 shown]
	s_waitcnt lgkmcnt(14)
	v_mul_u32_u24_sdwa v8, v12, s2 dst_sel:DWORD dst_unused:UNUSED_PAD src0_sel:WORD_0 src1_sel:DWORD
	v_pk_mul_f16 v0, v0, v8
	v_pk_mul_f16 v1, v1, v8
	v_mul_u32_u24_sdwa v9, v12, s2 dst_sel:DWORD dst_unused:UNUSED_PAD src0_sel:WORD_1 src1_sel:DWORD
	v_pk_fma_f16 v0, v49, v7, v0
	v_pk_fma_f16 v1, v29, v7, v1
	v_mul_u32_u24_sdwa v26, v13, s2 dst_sel:DWORD dst_unused:UNUSED_PAD src0_sel:WORD_0 src1_sel:DWORD
	v_pk_fma_f16 v0, v2, v9, v0
	v_pk_fma_f16 v1, v3, v9, v1
	v_mul_u32_u24_sdwa v27, v13, s2 dst_sel:DWORD dst_unused:UNUSED_PAD src0_sel:WORD_1 src1_sel:DWORD
	v_pk_fma_f16 v0, v38, v26, v0
	v_pk_fma_f16 v1, v39, v26, v1
	v_mul_u32_u24_sdwa v28, v14, s2 dst_sel:DWORD dst_unused:UNUSED_PAD src0_sel:WORD_0 src1_sel:DWORD
	v_pk_fma_f16 v26, v40, v27, v0
	v_pk_fma_f16 v27, v41, v27, v1
	v_mul_u32_u24_sdwa v48, v14, s2 dst_sel:DWORD dst_unused:UNUSED_PAD src0_sel:WORD_1 src1_sel:DWORD
	v_pk_fma_f16 v26, v42, v28, v26
	v_pk_fma_f16 v27, v43, v28, v27
	v_mul_u32_u24_sdwa v121, v15, s2 dst_sel:DWORD dst_unused:UNUSED_PAD src0_sel:WORD_0 src1_sel:DWORD
	v_mul_u32_u24_sdwa v127, v30, s2 dst_sel:DWORD dst_unused:UNUSED_PAD src0_sel:WORD_0 src1_sel:DWORD
	v_mul_u32_u24_sdwa v128, v30, s2 dst_sel:DWORD dst_unused:UNUSED_PAD src0_sel:WORD_1 src1_sel:DWORD
	v_pk_fma_f16 v30, v44, v48, v26
	v_pk_fma_f16 v38, v45, v48, v27
	v_mul_u32_u24_sdwa v122, v15, s2 dst_sel:DWORD dst_unused:UNUSED_PAD src0_sel:WORD_1 src1_sel:DWORD
	v_mul_u32_u24_sdwa v129, v31, s2 dst_sel:DWORD dst_unused:UNUSED_PAD src0_sel:WORD_0 src1_sel:DWORD
	v_mul_u32_u24_sdwa v130, v31, s2 dst_sel:DWORD dst_unused:UNUSED_PAD src0_sel:WORD_1 src1_sel:DWORD
	v_pk_fma_f16 v30, v50, v121, v30
	v_pk_fma_f16 v31, v51, v121, v38
	v_mul_u32_u24_sdwa v49, v16, s2 dst_sel:DWORD dst_unused:UNUSED_PAD src0_sel:WORD_0 src1_sel:DWORD
	v_pk_fma_f16 v38, v52, v122, v30
	v_pk_fma_f16 v39, v53, v122, v31
	v_mul_u32_u24_sdwa v7, v16, s2 dst_sel:DWORD dst_unused:UNUSED_PAD src0_sel:WORD_1 src1_sel:DWORD
	v_pk_fma_f16 v42, v54, v49, v38
	v_pk_fma_f16 v43, v55, v49, v39
	v_mul_u32_u24_sdwa v8, v17, s2 dst_sel:DWORD dst_unused:UNUSED_PAD src0_sel:WORD_0 src1_sel:DWORD
	v_pk_fma_f16 v48, v56, v7, v42
	v_pk_fma_f16 v7, v57, v7, v43
	v_mul_u32_u24_sdwa v9, v17, s2 dst_sel:DWORD dst_unused:UNUSED_PAD src0_sel:WORD_1 src1_sel:DWORD
	v_pk_fma_f16 v48, v58, v8, v48
	v_pk_fma_f16 v7, v59, v8, v7
	ds_read2_b64 v[12:15], v118 offset1:32
	v_mul_u32_u24_sdwa v123, v18, s2 dst_sel:DWORD dst_unused:UNUSED_PAD src0_sel:WORD_0 src1_sel:DWORD
	v_mul_u32_u24_sdwa v124, v18, s2 dst_sel:DWORD dst_unused:UNUSED_PAD src0_sel:WORD_1 src1_sel:DWORD
	v_mul_u32_u24_sdwa v125, v19, s2 dst_sel:DWORD dst_unused:UNUSED_PAD src0_sel:WORD_0 src1_sel:DWORD
	v_mul_u32_u24_sdwa v126, v19, s2 dst_sel:DWORD dst_unused:UNUSED_PAD src0_sel:WORD_1 src1_sel:DWORD
	ds_read_b128 v[0:3], v5 offset:18496
	ds_read_b128 v[16:19], v5 offset:18512
	v_mul_u32_u24_sdwa v131, v32, s2 dst_sel:DWORD dst_unused:UNUSED_PAD src0_sel:WORD_0 src1_sel:DWORD
	v_mul_u32_u24_sdwa v132, v32, s2 dst_sel:DWORD dst_unused:UNUSED_PAD src0_sel:WORD_1 src1_sel:DWORD
	v_mul_u32_u24_sdwa v133, v33, s2 dst_sel:DWORD dst_unused:UNUSED_PAD src0_sel:WORD_0 src1_sel:DWORD
	v_mul_u32_u24_sdwa v134, v33, s2 dst_sel:DWORD dst_unused:UNUSED_PAD src0_sel:WORD_1 src1_sel:DWORD
	ds_read2_b64 v[26:29], v118 offset0:64 offset1:96
	ds_read2_b64 v[30:33], v118 offset0:128 offset1:160
	;; [unrolled: 1-line block ×3, first 2 shown]
	v_mul_u32_u24_sdwa v118, v34, s2 dst_sel:DWORD dst_unused:UNUSED_PAD src0_sel:WORD_0 src1_sel:DWORD
	v_mul_u32_u24_sdwa v8, v34, s2 dst_sel:DWORD dst_unused:UNUSED_PAD src0_sel:WORD_1 src1_sel:DWORD
	v_pk_fma_f16 v34, v60, v9, v48
	v_pk_fma_f16 v7, v61, v9, v7
	s_waitcnt lgkmcnt(14)
	v_pk_fma_f16 v48, v62, v123, v34
	v_pk_fma_f16 v7, v63, v123, v7
	v_pk_fma_f16 v52, v64, v124, v48
	v_pk_fma_f16 v7, v65, v124, v7
	v_pk_fma_f16 v52, v66, v125, v52
	v_pk_fma_f16 v7, v67, v125, v7
	s_waitcnt lgkmcnt(4)
	v_mul_u32_u24_sdwa v64, v0, s2 dst_sel:DWORD dst_unused:UNUSED_PAD src0_sel:WORD_0 src1_sel:DWORD
	v_mul_u32_u24_sdwa v65, v0, s2 dst_sel:DWORD dst_unused:UNUSED_PAD src0_sel:WORD_1 src1_sel:DWORD
	v_pk_fma_f16 v0, v68, v126, v52
	v_pk_fma_f16 v7, v69, v126, v7
	v_mul_u32_u24_sdwa v9, v35, s2 dst_sel:DWORD dst_unused:UNUSED_PAD src0_sel:WORD_0 src1_sel:DWORD
	v_mul_u32_u24_sdwa v60, v35, s2 dst_sel:DWORD dst_unused:UNUSED_PAD src0_sel:WORD_1 src1_sel:DWORD
	v_mul_u32_u24_sdwa v121, v36, s2 dst_sel:DWORD dst_unused:UNUSED_PAD src0_sel:WORD_0 src1_sel:DWORD
	v_mul_u32_u24_sdwa v122, v36, s2 dst_sel:DWORD dst_unused:UNUSED_PAD src0_sel:WORD_1 src1_sel:DWORD
	;; [unrolled: 2-line block ×3, first 2 shown]
	ds_read_b128 v[34:37], v5 offset:18528
	v_pk_fma_f16 v52, v70, v127, v0
	v_pk_fma_f16 v7, v71, v127, v7
	;; [unrolled: 1-line block ×4, first 2 shown]
	s_waitcnt lgkmcnt(4)
	v_mul_u32_u24_sdwa v70, v16, s2 dst_sel:DWORD dst_unused:UNUSED_PAD src0_sel:WORD_0 src1_sel:DWORD
	v_mul_u32_u24_sdwa v71, v16, s2 dst_sel:DWORD dst_unused:UNUSED_PAD src0_sel:WORD_1 src1_sel:DWORD
	v_pk_fma_f16 v16, v74, v129, v56
	v_pk_fma_f16 v7, v75, v129, v7
	;; [unrolled: 1-line block ×4, first 2 shown]
	v_mul_u32_u24_sdwa v72, v17, s2 dst_sel:DWORD dst_unused:UNUSED_PAD src0_sel:WORD_0 src1_sel:DWORD
	v_mul_u32_u24_sdwa v73, v17, s2 dst_sel:DWORD dst_unused:UNUSED_PAD src0_sel:WORD_1 src1_sel:DWORD
	v_mul_u32_u24_sdwa v74, v18, s2 dst_sel:DWORD dst_unused:UNUSED_PAD src0_sel:WORD_0 src1_sel:DWORD
	v_mul_u32_u24_sdwa v75, v18, s2 dst_sel:DWORD dst_unused:UNUSED_PAD src0_sel:WORD_1 src1_sel:DWORD
	;; [unrolled: 2-line block ×3, first 2 shown]
	ds_read_b128 v[16:19], v5 offset:18544
	v_pk_fma_f16 v56, v78, v131, v56
	v_pk_fma_f16 v7, v79, v131, v7
	s_waitcnt lgkmcnt(1)
	v_mul_u32_u24_sdwa v5, v34, s2 dst_sel:DWORD dst_unused:UNUSED_PAD src0_sel:WORD_0 src1_sel:DWORD
	v_mul_u32_u24_sdwa v78, v34, s2 dst_sel:DWORD dst_unused:UNUSED_PAD src0_sel:WORD_1 src1_sel:DWORD
	v_pk_fma_f16 v34, v80, v132, v56
	v_pk_fma_f16 v7, v81, v132, v7
	;; [unrolled: 1-line block ×8, first 2 shown]
	s_waitcnt lgkmcnt(0)
	v_mul_u32_u24_sdwa v82, v16, s2 dst_sel:DWORD dst_unused:UNUSED_PAD src0_sel:WORD_0 src1_sel:DWORD
	v_mul_u32_u24_sdwa v83, v16, s2 dst_sel:DWORD dst_unused:UNUSED_PAD src0_sel:WORD_1 src1_sel:DWORD
	v_pk_fma_f16 v16, v88, v8, v61
	v_pk_fma_f16 v7, v89, v8, v7
	;; [unrolled: 1-line block ×16, first 2 shown]
	v_mul_u32_u24_sdwa v66, v1, s2 dst_sel:DWORD dst_unused:UNUSED_PAD src0_sel:WORD_0 src1_sel:DWORD
	v_pk_fma_f16 v9, v104, v65, v9
	v_pk_fma_f16 v7, v105, v65, v7
	v_mul_u32_u24_sdwa v67, v1, s2 dst_sel:DWORD dst_unused:UNUSED_PAD src0_sel:WORD_1 src1_sel:DWORD
	v_pk_fma_f16 v9, v106, v66, v9
	v_pk_fma_f16 v7, v107, v66, v7
	v_mul_u32_u24_sdwa v68, v2, s2 dst_sel:DWORD dst_unused:UNUSED_PAD src0_sel:WORD_0 src1_sel:DWORD
	v_pk_fma_f16 v9, v108, v67, v9
	v_pk_fma_f16 v7, v109, v67, v7
	v_mul_u32_u24_sdwa v69, v2, s2 dst_sel:DWORD dst_unused:UNUSED_PAD src0_sel:WORD_1 src1_sel:DWORD
	v_pk_fma_f16 v9, v110, v68, v9
	v_pk_fma_f16 v7, v111, v68, v7
	;; [unrolled: 6-line block ×3, first 2 shown]
	v_pk_fma_f16 v9, v116, v124, v9
	v_pk_fma_f16 v7, v117, v124, v7
	;; [unrolled: 1-line block ×8, first 2 shown]
	ds_read2_b64 v[42:45], v119 offset1:32
	v_pk_fma_f16 v9, v28, v73, v9
	v_pk_fma_f16 v7, v29, v73, v7
	v_pk_fma_f16 v9, v30, v74, v9
	v_pk_fma_f16 v7, v31, v74, v7
	ds_read2_b64 v[48:51], v119 offset0:64 offset1:96
	v_pk_fma_f16 v9, v32, v75, v9
	v_pk_fma_f16 v7, v33, v75, v7
	;; [unrolled: 1-line block ×4, first 2 shown]
	ds_read2_b64 v[0:3], v119 offset0:128 offset1:160
	v_pk_fma_f16 v9, v40, v77, v9
	v_pk_fma_f16 v7, v41, v77, v7
	s_waitcnt lgkmcnt(2)
	v_pk_fma_f16 v9, v42, v5, v9
	v_pk_fma_f16 v5, v43, v5, v7
	ds_read2_b64 v[52:55], v119 offset0:192 offset1:224
	v_mul_u32_u24_sdwa v79, v35, s2 dst_sel:DWORD dst_unused:UNUSED_PAD src0_sel:WORD_0 src1_sel:DWORD
	v_pk_fma_f16 v7, v44, v78, v9
	v_pk_fma_f16 v5, v45, v78, v5
	v_mul_u32_u24_sdwa v80, v35, s2 dst_sel:DWORD dst_unused:UNUSED_PAD src0_sel:WORD_1 src1_sel:DWORD
	s_waitcnt lgkmcnt(2)
	v_pk_fma_f16 v7, v48, v79, v7
	v_pk_fma_f16 v5, v49, v79, v5
	v_mul_u32_u24_sdwa v81, v36, s2 dst_sel:DWORD dst_unused:UNUSED_PAD src0_sel:WORD_0 src1_sel:DWORD
	v_mul_u32_u24_sdwa v119, v36, s2 dst_sel:DWORD dst_unused:UNUSED_PAD src0_sel:WORD_1 src1_sel:DWORD
	v_mul_u32_u24_sdwa v125, v37, s2 dst_sel:DWORD dst_unused:UNUSED_PAD src0_sel:WORD_0 src1_sel:DWORD
	v_mul_u32_u24_sdwa v126, v37, s2 dst_sel:DWORD dst_unused:UNUSED_PAD src0_sel:WORD_1 src1_sel:DWORD
	ds_read2_b64 v[34:37], v120 offset1:32
	v_pk_fma_f16 v7, v50, v80, v7
	v_pk_fma_f16 v5, v51, v80, v5
	s_waitcnt lgkmcnt(2)
	v_pk_fma_f16 v0, v0, v81, v7
	v_pk_fma_f16 v1, v1, v81, v5
	ds_read2_b64 v[56:59], v120 offset0:64 offset1:96
	v_pk_fma_f16 v0, v2, v119, v0
	v_pk_fma_f16 v1, v3, v119, v1
	s_waitcnt lgkmcnt(2)
	v_pk_fma_f16 v0, v52, v125, v0
	v_pk_fma_f16 v1, v53, v125, v1
	v_mul_u32_u24_sdwa v8, v17, s2 dst_sel:DWORD dst_unused:UNUSED_PAD src0_sel:WORD_0 src1_sel:DWORD
	v_mul_u32_u24_sdwa v84, v17, s2 dst_sel:DWORD dst_unused:UNUSED_PAD src0_sel:WORD_1 src1_sel:DWORD
	v_mul_u32_u24_sdwa v85, v18, s2 dst_sel:DWORD dst_unused:UNUSED_PAD src0_sel:WORD_0 src1_sel:DWORD
	v_mul_u32_u24_sdwa v86, v18, s2 dst_sel:DWORD dst_unused:UNUSED_PAD src0_sel:WORD_1 src1_sel:DWORD
	;; [unrolled: 2-line block ×3, first 2 shown]
	ds_read2_b64 v[16:19], v120 offset0:128 offset1:160
	v_pk_fma_f16 v0, v54, v126, v0
	v_pk_fma_f16 v1, v55, v126, v1
	s_waitcnt lgkmcnt(2)
	v_pk_fma_f16 v0, v34, v82, v0
	v_pk_fma_f16 v1, v35, v82, v1
	ds_read2_b64 v[60:63], v120 offset0:192 offset1:224
	v_pk_fma_f16 v0, v36, v83, v0
	v_pk_fma_f16 v1, v37, v83, v1
	s_waitcnt lgkmcnt(2)
	v_pk_fma_f16 v0, v56, v8, v0
	v_pk_fma_f16 v1, v57, v8, v1
	v_pk_fma_f16 v0, v58, v84, v0
	v_pk_fma_f16 v1, v59, v84, v1
	s_waitcnt lgkmcnt(1)
	v_pk_fma_f16 v0, v16, v85, v0
	v_pk_fma_f16 v1, v17, v85, v1
	;; [unrolled: 5-line block ×3, first 2 shown]
	v_pk_fma_f16 v49, v62, v88, v0
	v_pk_fma_f16 v29, v63, v88, v1
	v_mov_b32_e32 v7, v25
	s_barrier
.LBB90_46:
	v_cmp_lt_i32_e32 vcc, v21, v11
	s_cmp_eq_u64 s[24:25], 0
	s_cselect_b64 s[4:5], -1, 0
	v_cndmask_b32_e32 v0, v10, v21, vcc
	v_lshlrev_b32_e32 v0, 2, v0
	ds_bpermute_b32 v0, v0, v7
	v_cmp_lt_i32_e32 vcc, v20, v11
	s_cmp_lg_u32 s3, 0
	s_cselect_b64 s[6:7], -1, 0
	v_cndmask_b32_e32 v1, v10, v20, vcc
	v_lshlrev_b32_e32 v1, 2, v1
	s_waitcnt lgkmcnt(0)
	v_add_f32_e32 v0, v7, v0
	ds_bpermute_b32 v1, v1, v0
	v_cmp_lt_i32_e32 vcc, v22, v11
	s_or_b64 s[4:5], s[6:7], s[4:5]
	s_waitcnt lgkmcnt(0)
	v_add_f32_e32 v0, v0, v1
	v_cndmask_b32_e32 v2, v10, v22, vcc
	v_lshlrev_b32_e32 v2, 2, v2
	ds_bpermute_b32 v1, v2, v0
	v_cmp_lt_i32_e32 vcc, v23, v11
	s_waitcnt lgkmcnt(0)
	v_add_f32_e32 v0, v0, v1
	v_cndmask_b32_e32 v2, v10, v23, vcc
	v_lshlrev_b32_e32 v2, 2, v2
	ds_bpermute_b32 v1, v2, v0
	v_cmp_lt_i32_e32 vcc, v24, v11
	s_waitcnt lgkmcnt(0)
	v_add_f32_e32 v0, v0, v1
	v_cndmask_b32_e32 v2, v10, v24, vcc
	v_lshlrev_b32_e32 v2, 2, v2
	ds_bpermute_b32 v1, v2, v0
	s_and_b64 vcc, exec, s[4:5]
	s_waitcnt lgkmcnt(0)
	v_add_f32_e32 v7, v0, v1
	s_cbranch_vccnz .LBB90_48
; %bb.47:
	s_lshl_b64 s[4:5], s[34:35], 2
	s_add_u32 s4, s24, s4
	s_addc_u32 s5, s25, s5
	v_mov_b32_e32 v0, 0
	global_load_dword v1, v0, s[4:5]
	v_max_f32_e32 v0, v6, v6
	s_mov_b32 s2, 0x3fb8aa3b
	s_mov_b32 s4, 0xc2ce8ed0
	s_waitcnt vmcnt(0)
	v_max_f32_e32 v2, v1, v1
	v_max_f32_e32 v0, v0, v2
	v_sub_f32_e32 v2, v6, v0
	v_sub_f32_e32 v1, v1, v0
	v_mul_f32_e32 v3, 0x3fb8aa3b, v2
	v_mul_f32_e32 v5, 0x3fb8aa3b, v1
	v_fma_f32 v6, v2, s2, -v3
	v_rndne_f32_e32 v8, v3
	v_fma_f32 v9, v1, s2, -v5
	v_rndne_f32_e32 v10, v5
	v_fmac_f32_e32 v6, 0x32a5705f, v2
	v_sub_f32_e32 v3, v3, v8
	v_fmac_f32_e32 v9, 0x32a5705f, v1
	v_sub_f32_e32 v5, v5, v10
	v_add_f32_e32 v3, v3, v6
	v_cvt_i32_f32_e32 v8, v8
	v_add_f32_e32 v5, v5, v9
	v_exp_f32_e32 v3, v3
	v_cvt_i32_f32_e32 v10, v10
	v_exp_f32_e32 v5, v5
	v_cmp_ngt_f32_e32 vcc, s4, v2
	v_ldexp_f32 v3, v3, v8
	s_mov_b32 s2, 0x42b17218
	v_ldexp_f32 v5, v5, v10
	v_cndmask_b32_e32 v3, 0, v3, vcc
	v_cmp_ngt_f32_e32 vcc, s4, v1
	v_mov_b32_e32 v6, 0x7f800000
	s_nop 0
	v_cndmask_b32_e32 v5, 0, v5, vcc
	v_cmp_nlt_f32_e32 vcc, s2, v2
	s_nop 1
	v_cndmask_b32_e32 v2, v6, v3, vcc
	v_cvt_f16_f32_e32 v3, v2
	v_cmp_nlt_f32_e32 vcc, s2, v1
	s_nop 1
	v_cndmask_b32_e32 v1, v6, v5, vcc
	v_fmac_f32_e32 v1, v7, v2
	v_mul_u32_u24_e32 v2, 0x10001, v3
	v_pk_mul_f16 v49, v49, v2
	v_pk_mul_f16 v29, v29, v2
	v_mov_b64_e32 v[6:7], v[0:1]
	v_cmp_gt_i32_e32 vcc, s38, v46
	s_and_saveexec_b64 s[4:5], vcc
	s_cbranch_execnz .LBB90_49
	s_branch .LBB90_51
.LBB90_48:
	v_mov_b32_e32 v1, v7
	v_cmp_gt_i32_e32 vcc, s38, v46
	s_and_saveexec_b64 s[4:5], vcc
	s_cbranch_execz .LBB90_51
.LBB90_49:
	s_load_dword s2, s[0:1], 0xd4
	v_div_scale_f32 v0, s[0:1], v1, v1, 1.0
	v_rcp_f32_e32 v5, v0
	s_mul_i32 s33, s33, s38
	s_waitcnt lgkmcnt(0)
	s_cmp_lg_u32 s2, 1
	s_cselect_b64 s[0:1], -1, 0
	v_fma_f32 v8, -v0, v5, 1.0
	v_fmac_f32_e32 v5, v8, v5
	v_div_scale_f32 v8, vcc, 1.0, v1, 1.0
	v_mul_f32_e32 v9, v8, v5
	v_fma_f32 v10, -v0, v9, v8
	v_fmac_f32_e32 v9, v10, v5
	v_fma_f32 v0, -v0, v9, v8
	v_div_fmas_f32 v0, v0, v5, v9
	v_div_fixup_f32 v0, v0, v1, 1.0
	v_cndmask_b32_e64 v8, v0, 1.0, s[0:1]
	v_add_u32_e32 v0, s33, v46
	v_mul_lo_u32 v0, v0, s39
	v_add_u32_e32 v0, s34, v0
	v_mul_lo_u32 v0, s2, v0
	v_add_u32_e32 v0, s3, v0
	v_mov_b32_e32 v2, s28
	v_mov_b32_e32 v3, s29
	v_lshl_add_u32 v10, v0, 7, v47
	v_mov_b32_e32 v11, 0
	v_lshl_add_u64 v[10:11], v[10:11], 2, v[2:3]
	v_cvt_f32_f16_sdwa v3, v49 dst_sel:DWORD dst_unused:UNUSED_PAD src0_sel:WORD_1
	v_cvt_f32_f16_e32 v2, v49
	v_cvt_f32_f16_sdwa v13, v29 dst_sel:DWORD dst_unused:UNUSED_PAD src0_sel:WORD_1
	v_cvt_f32_f16_e32 v12, v29
	v_cmp_eq_u32_e32 vcc, 0, v4
	s_and_b64 s[0:1], vcc, s[0:1]
	v_pk_mul_f32 v[2:3], v[8:9], v[2:3] op_sel_hi:[0,1]
	v_pk_mul_f32 v[4:5], v[8:9], v[12:13] op_sel_hi:[0,1]
	global_store_dwordx4 v[10:11], v[2:5], off
	s_and_b64 exec, exec, s[0:1]
	s_cbranch_execz .LBB90_51
; %bb.50:
	v_mov_b32_e32 v2, s30
	v_mov_b32_e32 v3, s31
	v_ashrrev_i32_e32 v1, 31, v0
	v_lshl_add_u64 v[0:1], v[0:1], 3, v[2:3]
	global_store_dwordx2 v[0:1], v[6:7], off
	s_endpgm
.LBB90_51:
	s_endpgm
	.section	.rodata,"a",@progbits
	.p2align	6, 0x0
	.amdhsa_kernel _ZL15flash_attn_tileILi128ELi128ELi4ELi1ELb1EEvPKcS1_S1_S1_S1_PKiPfP15HIP_vector_typeIfLj2EEffffjfiS5_IjLj3EEiiiiiiiiiiiliiliiiiil
		.amdhsa_group_segment_fixed_size 18944
		.amdhsa_private_segment_fixed_size 32
		.amdhsa_kernarg_size 464
		.amdhsa_user_sgpr_count 2
		.amdhsa_user_sgpr_dispatch_ptr 0
		.amdhsa_user_sgpr_queue_ptr 0
		.amdhsa_user_sgpr_kernarg_segment_ptr 1
		.amdhsa_user_sgpr_dispatch_id 0
		.amdhsa_user_sgpr_kernarg_preload_length 0
		.amdhsa_user_sgpr_kernarg_preload_offset 0
		.amdhsa_user_sgpr_private_segment_size 0
		.amdhsa_uses_dynamic_stack 0
		.amdhsa_enable_private_segment 1
		.amdhsa_system_sgpr_workgroup_id_x 1
		.amdhsa_system_sgpr_workgroup_id_y 1
		.amdhsa_system_sgpr_workgroup_id_z 1
		.amdhsa_system_sgpr_workgroup_info 0
		.amdhsa_system_vgpr_workitem_id 1
		.amdhsa_next_free_vgpr 137
		.amdhsa_next_free_sgpr 96
		.amdhsa_accum_offset 140
		.amdhsa_reserve_vcc 1
		.amdhsa_float_round_mode_32 0
		.amdhsa_float_round_mode_16_64 0
		.amdhsa_float_denorm_mode_32 3
		.amdhsa_float_denorm_mode_16_64 3
		.amdhsa_dx10_clamp 1
		.amdhsa_ieee_mode 1
		.amdhsa_fp16_overflow 0
		.amdhsa_tg_split 0
		.amdhsa_exception_fp_ieee_invalid_op 0
		.amdhsa_exception_fp_denorm_src 0
		.amdhsa_exception_fp_ieee_div_zero 0
		.amdhsa_exception_fp_ieee_overflow 0
		.amdhsa_exception_fp_ieee_underflow 0
		.amdhsa_exception_fp_ieee_inexact 0
		.amdhsa_exception_int_div_zero 0
	.end_amdhsa_kernel
	.section	.text._ZL15flash_attn_tileILi128ELi128ELi4ELi1ELb1EEvPKcS1_S1_S1_S1_PKiPfP15HIP_vector_typeIfLj2EEffffjfiS5_IjLj3EEiiiiiiiiiiiliiliiiiil,"axG",@progbits,_ZL15flash_attn_tileILi128ELi128ELi4ELi1ELb1EEvPKcS1_S1_S1_S1_PKiPfP15HIP_vector_typeIfLj2EEffffjfiS5_IjLj3EEiiiiiiiiiiiliiliiiiil,comdat
.Lfunc_end90:
	.size	_ZL15flash_attn_tileILi128ELi128ELi4ELi1ELb1EEvPKcS1_S1_S1_S1_PKiPfP15HIP_vector_typeIfLj2EEffffjfiS5_IjLj3EEiiiiiiiiiiiliiliiiiil, .Lfunc_end90-_ZL15flash_attn_tileILi128ELi128ELi4ELi1ELb1EEvPKcS1_S1_S1_S1_PKiPfP15HIP_vector_typeIfLj2EEffffjfiS5_IjLj3EEiiiiiiiiiiiliiliiiiil
                                        ; -- End function
	.set _ZL15flash_attn_tileILi128ELi128ELi4ELi1ELb1EEvPKcS1_S1_S1_S1_PKiPfP15HIP_vector_typeIfLj2EEffffjfiS5_IjLj3EEiiiiiiiiiiiliiliiiiil.num_vgpr, 137
	.set _ZL15flash_attn_tileILi128ELi128ELi4ELi1ELb1EEvPKcS1_S1_S1_S1_PKiPfP15HIP_vector_typeIfLj2EEffffjfiS5_IjLj3EEiiiiiiiiiiiliiliiiiil.num_agpr, 0
	.set _ZL15flash_attn_tileILi128ELi128ELi4ELi1ELb1EEvPKcS1_S1_S1_S1_PKiPfP15HIP_vector_typeIfLj2EEffffjfiS5_IjLj3EEiiiiiiiiiiiliiliiiiil.numbered_sgpr, 44
	.set _ZL15flash_attn_tileILi128ELi128ELi4ELi1ELb1EEvPKcS1_S1_S1_S1_PKiPfP15HIP_vector_typeIfLj2EEffffjfiS5_IjLj3EEiiiiiiiiiiiliiliiiiil.num_named_barrier, 0
	.set _ZL15flash_attn_tileILi128ELi128ELi4ELi1ELb1EEvPKcS1_S1_S1_S1_PKiPfP15HIP_vector_typeIfLj2EEffffjfiS5_IjLj3EEiiiiiiiiiiiliiliiiiil.private_seg_size, 32
	.set _ZL15flash_attn_tileILi128ELi128ELi4ELi1ELb1EEvPKcS1_S1_S1_S1_PKiPfP15HIP_vector_typeIfLj2EEffffjfiS5_IjLj3EEiiiiiiiiiiiliiliiiiil.uses_vcc, 1
	.set _ZL15flash_attn_tileILi128ELi128ELi4ELi1ELb1EEvPKcS1_S1_S1_S1_PKiPfP15HIP_vector_typeIfLj2EEffffjfiS5_IjLj3EEiiiiiiiiiiiliiliiiiil.uses_flat_scratch, 0
	.set _ZL15flash_attn_tileILi128ELi128ELi4ELi1ELb1EEvPKcS1_S1_S1_S1_PKiPfP15HIP_vector_typeIfLj2EEffffjfiS5_IjLj3EEiiiiiiiiiiiliiliiiiil.has_dyn_sized_stack, 0
	.set _ZL15flash_attn_tileILi128ELi128ELi4ELi1ELb1EEvPKcS1_S1_S1_S1_PKiPfP15HIP_vector_typeIfLj2EEffffjfiS5_IjLj3EEiiiiiiiiiiiliiliiiiil.has_recursion, 0
	.set _ZL15flash_attn_tileILi128ELi128ELi4ELi1ELb1EEvPKcS1_S1_S1_S1_PKiPfP15HIP_vector_typeIfLj2EEffffjfiS5_IjLj3EEiiiiiiiiiiiliiliiiiil.has_indirect_call, 0
	.section	.AMDGPU.csdata,"",@progbits
; Kernel info:
; codeLenInByte = 17908
; TotalNumSgprs: 50
; NumVgprs: 137
; NumAgprs: 0
; TotalNumVgprs: 137
; ScratchSize: 32
; MemoryBound: 0
; FloatMode: 240
; IeeeMode: 1
; LDSByteSize: 18944 bytes/workgroup (compile time only)
; SGPRBlocks: 12
; VGPRBlocks: 17
; NumSGPRsForWavesPerEU: 102
; NumVGPRsForWavesPerEU: 137
; AccumOffset: 140
; Occupancy: 3
; WaveLimiterHint : 1
; COMPUTE_PGM_RSRC2:SCRATCH_EN: 1
; COMPUTE_PGM_RSRC2:USER_SGPR: 2
; COMPUTE_PGM_RSRC2:TRAP_HANDLER: 0
; COMPUTE_PGM_RSRC2:TGID_X_EN: 1
; COMPUTE_PGM_RSRC2:TGID_Y_EN: 1
; COMPUTE_PGM_RSRC2:TGID_Z_EN: 1
; COMPUTE_PGM_RSRC2:TIDIG_COMP_CNT: 1
; COMPUTE_PGM_RSRC3_GFX90A:ACCUM_OFFSET: 34
; COMPUTE_PGM_RSRC3_GFX90A:TG_SPLIT: 0
	.section	.text._ZL15flash_attn_tileILi128ELi128ELi2ELi1ELb1EEvPKcS1_S1_S1_S1_PKiPfP15HIP_vector_typeIfLj2EEffffjfiS5_IjLj3EEiiiiiiiiiiiliiliiiiil,"axG",@progbits,_ZL15flash_attn_tileILi128ELi128ELi2ELi1ELb1EEvPKcS1_S1_S1_S1_PKiPfP15HIP_vector_typeIfLj2EEffffjfiS5_IjLj3EEiiiiiiiiiiiliiliiiiil,comdat
	.globl	_ZL15flash_attn_tileILi128ELi128ELi2ELi1ELb1EEvPKcS1_S1_S1_S1_PKiPfP15HIP_vector_typeIfLj2EEffffjfiS5_IjLj3EEiiiiiiiiiiiliiliiiiil ; -- Begin function _ZL15flash_attn_tileILi128ELi128ELi2ELi1ELb1EEvPKcS1_S1_S1_S1_PKiPfP15HIP_vector_typeIfLj2EEffffjfiS5_IjLj3EEiiiiiiiiiiiliiliiiiil
	.p2align	8
	.type	_ZL15flash_attn_tileILi128ELi128ELi2ELi1ELb1EEvPKcS1_S1_S1_S1_PKiPfP15HIP_vector_typeIfLj2EEffffjfiS5_IjLj3EEiiiiiiiiiiiliiliiiiil,@function
_ZL15flash_attn_tileILi128ELi128ELi2ELi1ELb1EEvPKcS1_S1_S1_S1_PKiPfP15HIP_vector_typeIfLj2EEffffjfiS5_IjLj3EEiiiiiiiiiiiliiliiiiil: ; @_ZL15flash_attn_tileILi128ELi128ELi2ELi1ELb1EEvPKcS1_S1_S1_S1_PKiPfP15HIP_vector_typeIfLj2EEffffjfiS5_IjLj3EEiiiiiiiiiiiliiliiiiil
; %bb.0:
	s_load_dwordx4 s[24:27], s[0:1], 0x5c
	s_load_dwordx2 s[38:39], s[0:1], 0x80
	s_load_dwordx2 s[40:41], s[0:1], 0xb8
	s_mov_b64 s[36:37], 0
	s_waitcnt lgkmcnt(0)
	v_cvt_f32_u32_e32 v1, s27
	s_sub_i32 s5, 0, s27
	v_rcp_iflag_f32_e32 v1, v1
	s_nop 0
	v_mul_f32_e32 v1, 0x4f7ffffe, v1
	v_cvt_u32_f32_e32 v1, v1
	s_nop 0
	v_readfirstlane_b32 s6, v1
	s_mul_i32 s5, s5, s6
	s_mul_hi_u32 s5, s6, s5
	s_add_i32 s6, s6, s5
	s_mul_hi_u32 s5, s4, s6
	s_mul_i32 s6, s5, s27
	s_sub_i32 s6, s4, s6
	s_add_i32 s7, s5, 1
	s_sub_i32 s8, s6, s27
	s_cmp_ge_u32 s6, s27
	s_cselect_b32 s5, s7, s5
	s_cselect_b32 s6, s8, s6
	s_add_i32 s7, s5, 1
	s_cmp_ge_u32 s6, s27
	s_cselect_b32 s33, s7, s5
	s_abs_i32 s5, s39
	v_cvt_f32_u32_e32 v1, s5
	s_mul_i32 s8, s33, s27
	s_sub_i32 s9, 0, s5
	s_sub_i32 s34, s4, s8
	v_rcp_iflag_f32_e32 v1, v1
	s_abs_i32 s7, s27
	s_xor_b32 s6, s27, s39
	s_ashr_i32 s6, s6, 31
	v_mul_f32_e32 v1, 0x4f7ffffe, v1
	v_cvt_u32_f32_e32 v1, v1
	s_nop 0
	v_readfirstlane_b32 s4, v1
	s_mul_i32 s9, s9, s4
	s_mul_hi_u32 s8, s4, s9
	s_add_i32 s4, s4, s8
	s_mul_hi_u32 s4, s7, s4
	s_mul_i32 s8, s4, s5
	s_sub_i32 s7, s7, s8
	s_add_i32 s9, s4, 1
	s_sub_i32 s8, s7, s5
	s_cmp_ge_u32 s7, s5
	s_cselect_b32 s4, s9, s4
	s_cselect_b32 s7, s8, s7
	s_add_i32 s8, s4, 1
	s_cmp_ge_u32 s7, s5
	s_cselect_b32 s4, s8, s4
	s_xor_b32 s4, s4, s6
	s_sub_i32 s42, s4, s6
	s_abs_i32 s39, s42
	v_cvt_f32_u32_e32 v1, s39
	s_load_dwordx16 s[8:23], s[0:1], 0x0
	s_sub_i32 s4, 0, s39
	v_rcp_iflag_f32_e32 v1, v1
	s_waitcnt lgkmcnt(0)
	s_cmp_eq_u64 s[14:15], 0
	v_mul_f32_e32 v1, 0x4f7ffffe, v1
	v_cvt_u32_f32_e32 v1, v1
	s_nop 0
	v_readfirstlane_b32 s35, v1
	s_mul_i32 s4, s4, s35
	s_mul_hi_u32 s4, s35, s4
	s_cbranch_scc1 .LBB91_2
; %bb.1:
	s_abs_i32 s5, s40
	v_cvt_f32_u32_e32 v1, s5
	s_sub_i32 s30, 0, s5
	s_abs_i32 s29, s33
	s_ashr_i32 s28, s33, 31
	v_rcp_iflag_f32_e32 v1, v1
	s_load_dwordx2 s[6:7], s[0:1], 0xc8
	v_mul_f32_e32 v1, 0x4f7ffffe, v1
	v_cvt_u32_f32_e32 v1, v1
	s_nop 0
	v_readfirstlane_b32 s31, v1
	s_mul_i32 s30, s30, s31
	s_mul_hi_u32 s30, s31, s30
	s_add_i32 s31, s31, s30
	s_mul_hi_u32 s30, s29, s31
	s_mul_i32 s30, s30, s5
	s_sub_i32 s29, s29, s30
	s_sub_i32 s30, s29, s5
	s_cmp_ge_u32 s29, s5
	s_cselect_b32 s29, s30, s29
	s_sub_i32 s30, s29, s5
	s_cmp_ge_u32 s29, s5
	s_cselect_b32 s5, s30, s29
	s_xor_b32 s5, s5, s28
	s_sub_i32 s5, s5, s28
	s_ashr_i32 s28, s5, 31
	s_waitcnt lgkmcnt(0)
	s_mul_hi_u32 s29, s6, s5
	s_mul_i32 s28, s6, s28
	s_mul_i32 s7, s7, s5
	s_add_i32 s28, s29, s28
	s_add_i32 s28, s28, s7
	s_mul_i32 s5, s6, s5
	s_add_u32 s36, s14, s5
	s_addc_u32 s37, s15, s28
.LBB91_2:
	s_load_dwordx4 s[28:31], s[0:1], 0x40
	s_load_dwordx2 s[14:15], s[0:1], 0x50
	s_add_i32 s35, s35, s4
	s_abs_i32 s40, s34
	v_mov_b32_e32 v62, 1.0
	s_waitcnt lgkmcnt(0)
	v_cmp_le_f32_e64 s[4:5], s29, 0
	s_and_b64 vcc, exec, s[4:5]
	s_cbranch_vccnz .LBB91_4
; %bb.3:
	v_mov_b32_e32 v1, s14
	v_sub_co_u32_e32 v1, vcc, s34, v1
	v_mov_b32_e32 v2, s31
	v_mov_b32_e32 v3, s30
	s_add_i32 s4, s34, 1
	v_lshlrev_b32_e32 v1, 1, v1
	v_cndmask_b32_e32 v2, v2, v3, vcc
	v_or_b32_e32 v1, 1, v1
	v_mov_b32_e32 v3, s4
	v_cndmask_b32_e32 v1, v1, v3, vcc
	v_cvt_f32_i32_e32 v1, v1
	v_cmp_neq_f32_e32 vcc, 1.0, v2
	s_mov_b32 s4, 0x3f2aaaab
	s_movk_i32 s6, 0x204
	v_cndmask_b32_e32 v1, 1.0, v1, vcc
	v_cmp_neq_f32_e32 vcc, 0, v1
	s_mov_b32 s5, 0x42b17218
	s_mov_b32 s7, 0x3fb8aa3b
	v_cndmask_b32_e32 v18, 1.0, v2, vcc
	v_frexp_mant_f32_e64 v2, |v18|
	v_cmp_gt_f32_e32 vcc, s4, v2
	s_mov_b32 s4, 0x3f317218
	s_brev_b32 s14, -2
	v_cndmask_b32_e64 v3, 1.0, 2.0, vcc
	v_mul_f32_e32 v2, v2, v3
	v_add_f32_e32 v5, 1.0, v2
	v_rcp_f32_e32 v10, v5
	v_add_f32_e32 v3, -1.0, v5
	v_sub_f32_e32 v7, v2, v3
	v_add_f32_e32 v3, -1.0, v2
	v_mul_f32_e32 v11, v3, v10
	v_mul_f32_e32 v4, v5, v11
	v_fma_f32 v6, v11, v5, -v4
	v_fmac_f32_e32 v6, v11, v7
	v_add_f32_e32 v2, v4, v6
	v_sub_f32_e32 v5, v3, v2
	v_pk_add_f32 v[8:9], v[2:3], v[4:5] neg_lo:[0,1] neg_hi:[0,1]
	v_mov_b32_e32 v7, v2
	v_pk_add_f32 v[2:3], v[8:9], v[6:7] neg_lo:[0,1] neg_hi:[0,1]
	v_mov_b32_e32 v6, 0x3e91f4c4
	v_add_f32_e32 v2, v2, v3
	v_add_f32_e32 v2, v5, v2
	v_mul_f32_e32 v3, v10, v2
	v_add_f32_e32 v2, v11, v3
	v_sub_f32_e32 v4, v2, v11
	v_sub_f32_e32 v12, v3, v4
	v_mul_f32_e32 v3, v2, v2
	v_fma_f32 v5, v2, v2, -v3
	v_add_f32_e32 v4, v12, v12
	v_fmac_f32_e32 v5, v2, v4
	v_add_f32_e32 v4, v3, v5
	v_fmac_f32_e32 v6, 0x3e76c4e1, v4
	v_fmaak_f32 v6, v4, v6, 0x3ecccdef
	v_sub_f32_e32 v3, v4, v3
	v_sub_f32_e32 v13, v5, v3
	v_mul_f32_e32 v3, v4, v6
	v_fma_f32 v5, v4, v6, -v3
	v_fmac_f32_e32 v5, v13, v6
	v_add_f32_e32 v6, v3, v5
	v_add_f32_e32 v7, 0x3f2aaaaa, v6
	v_sub_f32_e32 v3, v6, v3
	v_sub_f32_e32 v3, v5, v3
	v_add_f32_e32 v5, 0xbf2aaaaa, v7
	v_add_f32_e32 v3, 0x31739010, v3
	v_sub_f32_e32 v5, v6, v5
	v_pk_mul_f32 v[8:9], v[2:3], v[4:5]
	v_pk_add_f32 v[10:11], v[2:3], v[4:5]
	v_fma_f32 v6, v4, v2, -v8
	v_fmac_f32_e32 v6, v4, v12
	v_mov_b32_e32 v9, v11
	v_fmac_f32_e32 v6, v13, v2
	v_pk_add_f32 v[4:5], v[8:9], v[6:7]
	v_ldexp_f32 v14, v12, 1
	v_sub_f32_e32 v3, v4, v8
	v_sub_f32_e32 v3, v6, v3
	;; [unrolled: 1-line block ×3, first 2 shown]
	v_add_f32_e32 v9, v11, v6
	v_pk_mul_f32 v[6:7], v[4:5], v[4:5] op_sel:[0,1] op_sel_hi:[1,0]
	v_cvt_f64_f32_e64 v[10:11], |v18|
	v_frexp_exp_i32_f64_e32 v7, v[10:11]
	v_subbrev_co_u32_e32 v7, vcc, 0, v7, vcc
	v_cvt_f32_i32_e32 v7, v7
	v_fma_f32 v8, v4, v5, -v6
	v_fmac_f32_e32 v8, v4, v9
	v_fmac_f32_e32 v8, v3, v5
	v_mul_f32_e32 v4, 0x3f317218, v7
	v_fma_f32 v3, v7, s4, -v4
	v_fmamk_f32 v10, v7, 0xb102e308, v3
	v_ldexp_f32 v11, v2, 1
	v_add_f32_e32 v5, v6, v8
	v_pk_add_f32 v[2:3], v[4:5], v[10:11]
	v_mov_b32_e32 v12, v5
	v_mov_b32_e32 v13, v3
	;; [unrolled: 1-line block ×3, first 2 shown]
	v_pk_add_f32 v[6:7], v[12:13], v[6:7] neg_lo:[0,1] neg_hi:[0,1]
	v_mov_b32_e32 v9, v5
	v_pk_add_f32 v[6:7], v[8:9], v[6:7] neg_lo:[0,1] neg_hi:[0,1]
	v_mov_b32_e32 v11, v2
	v_add_f32_e32 v5, v14, v6
	v_add_f32_e32 v5, v5, v7
	v_pk_add_f32 v[6:7], v[2:3], v[4:5] neg_lo:[0,1] neg_hi:[0,1]
	v_pk_add_f32 v[8:9], v[2:3], v[4:5]
	v_mov_b32_e32 v16, v3
	v_mov_b32_e32 v7, v9
	v_pk_add_f32 v[12:13], v[10:11], v[6:7] neg_lo:[0,1] neg_hi:[0,1]
	v_pk_add_f32 v[6:7], v[10:11], v[6:7]
	v_mov_b32_e32 v4, v5
	v_pk_add_f32 v[10:11], v[6:7], v[2:3] op_sel:[1,0] op_sel_hi:[0,1] neg_lo:[0,1] neg_hi:[0,1]
	v_pk_add_f32 v[14:15], v[8:9], v[10:11] op_sel_hi:[1,0] neg_lo:[0,1] neg_hi:[0,1]
	v_mov_b32_e32 v8, v9
	v_mov_b32_e32 v9, v7
	v_mov_b32_e32 v17, v10
	v_pk_add_f32 v[8:9], v[8:9], v[16:17] neg_lo:[0,1] neg_hi:[0,1]
	v_mov_b32_e32 v5, v2
	v_pk_add_f32 v[2:3], v[4:5], v[8:9] neg_lo:[0,1] neg_hi:[0,1]
	v_mov_b32_e32 v14, v12
	v_pk_add_f32 v[4:5], v[14:15], v[2:3]
	v_mov_b32_e32 v13, v7
	v_pk_add_f32 v[8:9], v[4:5], v[4:5] op_sel:[0,1] op_sel_hi:[1,0]
	s_mov_b32 s4, 0x7f800000
	v_pk_add_f32 v[6:7], v[6:7], v[8:9] op_sel:[1,0] op_sel_hi:[0,1]
	v_mov_b32_e32 v5, v6
	v_pk_add_f32 v[10:11], v[4:5], v[12:13] neg_lo:[0,1] neg_hi:[0,1]
	v_mov_b32_e32 v3, v8
	v_sub_f32_e32 v4, v4, v10
	v_pk_add_f32 v[2:3], v[2:3], v[10:11] neg_lo:[0,1] neg_hi:[0,1]
	v_sub_f32_e32 v4, v12, v4
	v_add_f32_e32 v2, v2, v4
	v_add_f32_e32 v2, v2, v3
	;; [unrolled: 1-line block ×3, first 2 shown]
	v_sub_f32_e32 v4, v3, v6
	v_sub_f32_e32 v2, v2, v4
	v_mul_f32_e32 v4, v1, v3
	v_fma_f32 v3, v1, v3, -v4
	v_fmac_f32_e32 v3, v1, v2
	v_add_f32_e32 v2, v4, v3
	v_cmp_class_f32_e64 vcc, v4, s6
	v_sub_f32_e32 v5, v2, v4
	v_sub_f32_e32 v3, v3, v5
	v_cndmask_b32_e32 v2, v2, v4, vcc
	v_mov_b32_e32 v4, 0x37000000
	v_cmp_eq_f32_e32 vcc, s5, v2
	v_cmp_class_f32_e64 s[30:31], v18, s6
	s_nop 0
	v_cndmask_b32_e32 v4, 0, v4, vcc
	v_sub_f32_e32 v5, v2, v4
	v_mul_f32_e32 v6, 0x3fb8aa3b, v5
	v_fma_f32 v7, v5, s7, -v6
	v_rndne_f32_e32 v8, v6
	v_fmamk_f32 v7, v5, 0x32a5705f, v7
	v_sub_f32_e32 v6, v6, v8
	v_add_f32_e32 v6, v6, v7
	v_exp_f32_e32 v6, v6
	v_cvt_i32_f32_e32 v7, v8
	v_cmp_neq_f32_e64 vcc, |v2|, s4
	s_mov_b32 s4, 0xc2ce8ed0
	s_nop 0
	v_cndmask_b32_e32 v2, 0, v3, vcc
	v_ldexp_f32 v3, v6, v7
	v_cmp_ngt_f32_e32 vcc, s4, v5
	v_add_f32_e32 v2, v4, v2
	v_mov_b32_e32 v4, 0x7f800000
	v_cndmask_b32_e32 v3, 0, v3, vcc
	v_cmp_nlt_f32_e32 vcc, s5, v5
	v_mov_b32_e32 v5, 0x7fc00000
	s_nop 0
	v_cndmask_b32_e32 v3, v4, v3, vcc
	v_fma_f32 v2, v3, v2, v3
	v_cmp_class_f32_e64 vcc, v3, s6
	v_cmp_gt_f32_e64 s[6:7], 0, v1
	s_nop 0
	v_cndmask_b32_e32 v2, v2, v3, vcc
	v_trunc_f32_e32 v3, v1
	v_cmp_eq_f32_e32 vcc, v3, v1
	v_mul_f32_e32 v3, 0.5, v1
	v_trunc_f32_e32 v6, v3
	v_cmp_neq_f32_e64 s[4:5], v6, v3
	s_and_b64 s[4:5], vcc, s[4:5]
	s_nop 0
	v_cndmask_b32_e64 v3, 1.0, v18, s[4:5]
	v_bfi_b32 v2, s14, v2, v3
	v_cndmask_b32_e32 v3, v5, v2, vcc
	v_cmp_gt_f32_e32 vcc, 0, v18
	s_nop 1
	v_cndmask_b32_e32 v2, v2, v3, vcc
	v_cmp_eq_f32_e32 vcc, 0, v18
	s_xor_b64 s[6:7], s[6:7], vcc
	v_cndmask_b32_e64 v1, v4, 0, s[6:7]
	v_cndmask_b32_e64 v3, 0, v18, s[4:5]
	v_bfi_b32 v1, s14, v1, v3
	s_or_b64 vcc, vcc, s[30:31]
	v_cndmask_b32_e32 v1, v2, v1, vcc
	v_cmp_o_f32_e32 vcc, v18, v18
	s_nop 1
	v_cndmask_b32_e32 v62, v5, v1, vcc
.LBB91_4:
	v_bfe_u32 v59, v0, 10, 10
	v_lshlrev_b32_e32 v2, 7, v59
	v_and_b32_e32 v31, 0x3ff, v0
	v_lshrrev_b32_e32 v1, 10, v0
	v_and_b32_e32 v2, 0x180, v2
	v_lshlrev_b32_e32 v35, 2, v31
	s_lshl_b32 s4, s2, 1
	v_bfe_u32 v1, v1, 2, 8
	v_add_u32_e32 v3, v2, v35
	s_movk_i32 s5, 0x80
	s_mul_hi_u32 s6, s40, s35
	v_cmp_gt_u32_e32 vcc, s5, v3
	v_bfe_u32 v33, v0, 10, 2
	v_lshlrev_b32_e32 v60, 3, v31
	v_add_u32_e32 v58, s4, v1
	s_and_saveexec_b64 s[4:5], vcc
	s_cbranch_execz .LBB91_6
; %bb.5:
	s_load_dwordx4 s[44:47], s[0:1], 0x70
	v_mul_hi_u32 v0, s24, v58
	v_add_u32_e32 v0, v58, v0
	v_lshrrev_b32_e32 v0, s25, v0
	v_mul_lo_u32 v0, v0, s26
	s_waitcnt lgkmcnt(0)
	s_mul_i32 s7, s33, s46
	s_ashr_i32 s30, s7, 31
	s_mul_i32 s14, s34, s45
	s_add_u32 s7, s8, s7
	s_addc_u32 s9, s9, s30
	s_ashr_i32 s30, s14, 31
	s_add_u32 s8, s7, s14
	s_addc_u32 s9, s9, s30
	s_ashr_i32 s45, s44, 31
	s_lshr_b64 s[30:31], s[44:45], 2
	v_sub_u32_e32 v3, v58, v0
	v_mad_u64_u32 v[4:5], s[30:31], s30, v3, 0
	v_mov_b32_e32 v0, v5
	s_lshr_b32 s7, s45, 2
	v_mad_u64_u32 v[6:7], s[30:31], s7, v3, v[0:1]
	v_mov_b32_e32 v5, v6
	v_lshl_add_u64 v[4:5], v[4:5], 2, s[8:9]
	v_lshlrev_b32_e32 v2, 2, v2
	v_mov_b32_e32 v3, 0
	v_lshl_add_u64 v[4:5], v[4:5], 0, v[2:3]
	v_lshlrev_b32_e32 v2, 2, v35
	v_lshl_add_u64 v[2:3], v[4:5], 0, v[2:3]
	global_load_dwordx4 v[2:5], v[2:3], off
	v_add_u32_e32 v0, v1, v33
	v_lshl_add_u32 v6, v0, 8, v60
	s_waitcnt vmcnt(0)
	v_fma_mixlo_f16 v0, s28, v2, 0
	v_fma_mixlo_f16 v1, s28, v4, 0
	v_mov_b32_e32 v2, v5
	v_and_b32_e32 v4, 0xffff, v0
	v_and_b32_e32 v5, 0xffff, v1
	v_pk_mul_f32 v[0:1], s[28:29], v[2:3] op_sel_hi:[0,1]
	v_cvt_pk_f16_f32 v0, v0, v1
	v_lshlrev_b32_e32 v1, 16, v0
	v_and_b32_e32 v0, 0xffff0000, v0
	v_or_b32_e32 v0, v0, v4
	v_or3_b32 v1, v1, v5, 0
	v_or3_b32 v0, 0, 0, v0
	ds_write_b64 v6, v[0:1] offset:18944
.LBB91_6:
	s_or_b64 exec, exec, s[4:5]
	s_ashr_i32 s35, s34, 31
	s_ashr_i32 s4, s42, 31
	s_cmp_eq_u64 s[18:19], 0
	s_waitcnt lgkmcnt(0)
	s_barrier
	s_cbranch_scc1 .LBB91_8
; %bb.7:
	s_load_dword s5, s[0:1], 0xd0
	s_mov_b32 s9, 0
	s_waitcnt lgkmcnt(0)
	s_mul_i32 s5, s5, s33
	s_add_i32 s8, s5, s2
	s_lshl_b64 s[8:9], s[8:9], 2
	s_add_u32 s8, s18, s8
	s_addc_u32 s9, s19, s9
	s_load_dword s38, s[8:9], 0x0
.LBB91_8:
	s_nop 0
	s_load_dwordx2 s[8:9], s[0:1], 0x8c
	s_load_dwordx4 s[28:31], s[0:1], 0x98
	s_load_dwordx2 s[42:43], s[0:1], 0xa8
	s_ashr_i32 s5, s33, 31
	s_ashr_i32 s18, s41, 1
	s_waitcnt lgkmcnt(0)
	s_ashr_i32 s19, s8, 2
	s_mul_hi_u32 s7, s28, s33
	s_mul_i32 s8, s28, s5
	s_add_i32 s7, s7, s8
	s_mul_i32 s8, s29, s33
	s_ashr_i32 s2, s30, 2
	s_add_i32 s7, s7, s8
	s_mul_i32 s8, s28, s33
	s_add_u32 s8, s10, s8
	s_mul_i32 s10, s6, s39
	s_addc_u32 s7, s11, s7
	s_sub_i32 s10, s40, s10
	s_xor_b32 s4, s35, s4
	s_add_i32 s11, s6, 1
	s_sub_i32 s14, s10, s39
	s_cmp_ge_u32 s10, s39
	s_cselect_b32 s6, s11, s6
	s_cselect_b32 s10, s14, s10
	s_add_i32 s11, s6, 1
	s_cmp_ge_u32 s10, s39
	s_cselect_b32 s6, s11, s6
	s_xor_b32 s6, s6, s4
	s_sub_i32 s4, s6, s4
	s_mul_i32 s6, s4, s9
	s_ashr_i32 s9, s6, 31
	s_add_u32 s28, s8, s6
	s_mul_hi_u32 s6, s42, s33
	s_mul_i32 s5, s42, s5
	s_addc_u32 s29, s7, s9
	s_add_i32 s5, s6, s5
	s_mul_i32 s6, s43, s33
	s_add_i32 s5, s5, s6
	s_mul_i32 s6, s42, s33
	s_add_u32 s6, s12, s6
	s_mul_i32 s4, s4, s31
	s_addc_u32 s5, s13, s5
	s_ashr_i32 s7, s4, 31
	s_add_u32 s12, s6, s4
	s_addc_u32 s13, s5, s7
	s_lshl_b32 s14, s3, 7
	s_add_i32 s30, s38, 0xffffff80
	s_cmp_ge_i32 s14, s30
	v_lshlrev_b32_e32 v61, 2, v59
	v_lshrrev_b32_e32 v68, 3, v31
	v_and_b32_e32 v34, 28, v35
	v_lshlrev_b32_e32 v64, 5, v59
	v_lshlrev_b32_e32 v67, 6, v59
	v_and_b32_e32 v65, 3, v31
	v_lshrrev_b32_e32 v63, 4, v31
	v_and_b32_e32 v30, 60, v35
	v_mbcnt_lo_u32_b32 v66, -1, 0
	s_cbranch_scc1 .LBB91_21
; %bb.9:
	v_mul_hi_u32 v3, s24, v58
	v_add_u32_e32 v0, v68, v61
	v_lshlrev_b32_e32 v1, 2, v34
	s_movk_i32 s4, 0x90
	v_add_u32_e32 v3, v58, v3
	v_mad_u32_u24 v69, v0, s4, v1
	v_mul_lo_u32 v38, s19, v0
	s_lshl_b32 s4, s19, 5
	v_lshrrev_b32_e32 v3, s25, v3
	v_add_u32_e32 v40, s4, v38
	v_and_b32_e32 v1, 0x60, v64
	v_mul_lo_u32 v3, v3, s26
	v_add_u32_e32 v42, s4, v40
	v_add_u32_e32 v0, v1, v31
	v_sub_u32_e32 v3, v58, v3
	s_movk_i32 s6, 0x3fc
	v_add_u32_e32 v44, s4, v42
	v_mul_u32_u24_e32 v73, 0x90, v0
	v_and_b32_e32 v2, 0xff00, v67
	v_mad_u64_u32 v[46:47], s[4:5], v3, s18, v[0:1]
	v_and_or_b32 v0, v59, s6, v65
	v_mov_b32_e32 v3, 0x4c00
	v_lshl_add_u32 v76, v0, 2, v3
	v_add_u32_e32 v0, 0x4800, v2
	v_lshl_or_b32 v1, v1, 1, v0
	v_add_u32_e32 v74, 0x4a00, v2
	s_cmp_lg_u64 s[36:37], 0
	v_lshl_add_u32 v77, v31, 1, v1
	v_lshl_add_u32 v1, v59, 1, v63
	v_lshlrev_b32_e32 v2, 2, v30
	s_cselect_b64 s[8:9], -1, 0
	v_lshl_or_b32 v78, v1, 8, v2
	v_mul_lo_u32 v2, s2, v1
	s_lshl_b32 s6, s2, 4
	v_add_u32_e32 v4, s6, v2
	v_add_u32_e32 v6, s6, v4
	;; [unrolled: 1-line block ×3, first 2 shown]
	v_mov_b32_e32 v37, 0
	v_ashrrev_i32_e32 v3, 31, v2
	v_ashrrev_i32_e32 v5, 31, v4
	;; [unrolled: 1-line block ×4, first 2 shown]
	v_lshlrev_b32_e32 v1, 8, v33
	s_add_u32 s10, s0, 0xd0
	v_ashrrev_i32_e32 v39, 31, v38
	v_add_u32_e32 v70, 0x1200, v69
	v_ashrrev_i32_e32 v41, 31, v40
	v_add_u32_e32 v71, 0x2400, v69
	;; [unrolled: 2-line block ×3, first 2 shown]
	v_ashrrev_i32_e32 v45, 31, v44
	v_cmp_eq_u32_e64 s[4:5], 0, v31
	v_add_u32_e32 v75, 0x4c00, v61
	v_add_u32_e32 v79, 0x1000, v78
	;; [unrolled: 1-line block ×4, first 2 shown]
	v_lshl_or_b32 v82, v33, 1, v0
	s_addc_u32 s11, s1, 0
	v_mov_b32_e32 v0, 0xfeffffff
	v_lshlrev_b32_e32 v48, 2, v34
	v_mov_b32_e32 v49, v37
	s_mov_b32 s31, 0x3f200000
	s_mov_b32 s39, 0x3fb8aa3b
	;; [unrolled: 1-line block ×4, first 2 shown]
	v_mov_b32_e32 v83, 0x3ca908c9
	s_brev_b32 s42, -2
	v_mbcnt_hi_u32_b32 v84, -1, v66
	v_lshlrev_b64 v[50:51], 2, v[2:3]
	v_lshlrev_b32_e32 v36, 2, v30
	v_lshlrev_b64 v[52:53], 2, v[4:5]
	v_lshlrev_b64 v[54:55], 2, v[6:7]
	;; [unrolled: 1-line block ×3, first 2 shown]
	v_add_u32_e32 v85, v60, v1
	v_mov_b32_e32 v86, 0x7f800000
	v_mov_b32_e32 v28, v37
	;; [unrolled: 1-line block ×4, first 2 shown]
                                        ; implicit-def: $vgpr10
                                        ; implicit-def: $vgpr10
	;; [unrolled: 1-line block ×3, first 2 shown]
.LBB91_10:                              ; =>This Inner Loop Header: Depth=1
	s_mul_hi_i32 s7, s14, s19
	s_mul_i32 s6, s14, s19
	s_lshl_b64 s[6:7], s[6:7], 2
	s_add_u32 s6, s28, s6
	s_addc_u32 s7, s29, s7
	v_lshl_add_u64 v[2:3], v[38:39], 2, s[6:7]
	v_lshl_add_u64 v[10:11], v[42:43], 2, s[6:7]
	;; [unrolled: 1-line block ×7, first 2 shown]
	global_load_dwordx4 v[2:5], v[18:19], off
	global_load_dwordx4 v[6:9], v[20:21], off
	v_lshl_add_u64 v[24:25], v[10:11], 0, v[48:49]
	global_load_dwordx4 v[10:13], v[22:23], off
	global_load_dwordx4 v[14:17], v[24:25], off
	v_mov_b32_e32 v1, 0
	s_waitcnt vmcnt(3)
	ds_write_b128 v69, v[2:5]
	s_waitcnt vmcnt(2)
	ds_write_b128 v70, v[6:9]
	;; [unrolled: 2-line block ×4, first 2 shown]
	s_waitcnt lgkmcnt(0)
	s_barrier
	ds_read_b128 v[2:5], v73
	ds_read_b128 v[6:9], v74
	s_waitcnt lgkmcnt(0)
	;;#ASMSTART
	v_dot2_f32_f16 v1, v2, v6, v1
	;;#ASMEND
	s_nop 0
	;;#ASMSTART
	v_dot2_f32_f16 v1, v3, v7, v1
	;;#ASMEND
	s_nop 0
	;;#ASMSTART
	v_dot2_f32_f16 v1, v4, v8, v1
	;;#ASMEND
	s_nop 0
	;;#ASMSTART
	v_dot2_f32_f16 v1, v5, v9, v1
	;;#ASMEND
	ds_read_b128 v[2:5], v73 offset:16
	ds_read_b128 v[6:9], v74 offset:16
	s_waitcnt lgkmcnt(0)
	;;#ASMSTART
	v_dot2_f32_f16 v1, v2, v6, v1
	;;#ASMEND
	s_nop 0
	;;#ASMSTART
	v_dot2_f32_f16 v1, v3, v7, v1
	;;#ASMEND
	s_nop 0
	;;#ASMSTART
	v_dot2_f32_f16 v1, v4, v8, v1
	;;#ASMEND
	s_nop 0
	;;#ASMSTART
	v_dot2_f32_f16 v1, v5, v9, v1
	;;#ASMEND
	ds_read_b128 v[2:5], v73 offset:32
	ds_read_b128 v[6:9], v74 offset:32
	;; [unrolled: 18-line block ×7, first 2 shown]
	s_waitcnt lgkmcnt(0)
	;;#ASMSTART
	v_dot2_f32_f16 v1, v2, v6, v1
	;;#ASMEND
	s_nop 0
	;;#ASMSTART
	v_dot2_f32_f16 v1, v3, v7, v1
	;;#ASMEND
	s_nop 0
	;; [unrolled: 4-line block ×3, first 2 shown]
	;;#ASMSTART
	v_dot2_f32_f16 v1, v5, v9, v1
	;;#ASMEND
	s_barrier
	global_load_dwordx4 v[2:5], v[18:19], off offset:128
	global_load_dwordx4 v[6:9], v[20:21], off offset:128
	;; [unrolled: 1-line block ×4, first 2 shown]
	s_waitcnt vmcnt(3)
	ds_write_b128 v69, v[2:5]
	s_waitcnt vmcnt(2)
	ds_write_b128 v70, v[6:9]
	;; [unrolled: 2-line block ×4, first 2 shown]
	s_waitcnt lgkmcnt(0)
	s_barrier
	ds_read_b128 v[2:5], v73
	ds_read_b128 v[6:9], v74 offset:128
	s_waitcnt lgkmcnt(0)
	;;#ASMSTART
	v_dot2_f32_f16 v1, v2, v6, v1
	;;#ASMEND
	s_nop 0
	;;#ASMSTART
	v_dot2_f32_f16 v1, v3, v7, v1
	;;#ASMEND
	s_nop 0
	;;#ASMSTART
	v_dot2_f32_f16 v1, v4, v8, v1
	;;#ASMEND
	s_nop 0
	;;#ASMSTART
	v_dot2_f32_f16 v1, v5, v9, v1
	;;#ASMEND
	ds_read_b128 v[2:5], v73 offset:16
	ds_read_b128 v[6:9], v74 offset:144
	s_waitcnt lgkmcnt(0)
	;;#ASMSTART
	v_dot2_f32_f16 v1, v2, v6, v1
	;;#ASMEND
	s_nop 0
	;;#ASMSTART
	v_dot2_f32_f16 v1, v3, v7, v1
	;;#ASMEND
	s_nop 0
	;;#ASMSTART
	v_dot2_f32_f16 v1, v4, v8, v1
	;;#ASMEND
	s_nop 0
	;;#ASMSTART
	v_dot2_f32_f16 v1, v5, v9, v1
	;;#ASMEND
	ds_read_b128 v[2:5], v73 offset:32
	;; [unrolled: 18-line block ×7, first 2 shown]
	ds_read_b128 v[6:9], v74 offset:240
	s_waitcnt lgkmcnt(0)
	;;#ASMSTART
	v_dot2_f32_f16 v1, v2, v6, v1
	;;#ASMEND
	s_nop 0
	;;#ASMSTART
	v_dot2_f32_f16 v1, v3, v7, v1
	;;#ASMEND
                                        ; implicit-def: $vgpr3
	s_nop 0
	;;#ASMSTART
	v_dot2_f32_f16 v1, v4, v8, v1
	;;#ASMEND
	s_nop 0
	;;#ASMSTART
	v_dot2_f32_f16 v1, v5, v9, v1
	;;#ASMEND
	s_nop 0
	v_cmp_nlt_f32_e64 s[6:7], |v1|, s31
	s_and_saveexec_b64 s[44:45], s[6:7]
	s_xor_b64 s[6:7], exec, s[44:45]
	s_cbranch_execnz .LBB91_14
; %bb.11:                               ;   in Loop: Header=BB91_10 Depth=1
	s_andn2_saveexec_b64 s[6:7], s[6:7]
	s_cbranch_execnz .LBB91_15
.LBB91_12:                              ;   in Loop: Header=BB91_10 Depth=1
	s_or_b64 exec, exec, s[6:7]
	s_andn2_b64 vcc, exec, s[8:9]
	s_cbranch_vccnz .LBB91_16
.LBB91_13:                              ;   in Loop: Header=BB91_10 Depth=1
	v_add_u32_e32 v4, s14, v46
	v_ashrrev_i32_e32 v5, 31, v4
	v_lshl_add_u64 v[4:5], v[4:5], 1, s[36:37]
	global_load_ushort v2, v[4:5], off
	s_waitcnt vmcnt(0)
	v_cvt_f32_f16_e32 v2, v2
	v_mul_f32_e32 v2, v62, v2
	s_branch .LBB91_17
.LBB91_14:                              ;   in Loop: Header=BB91_10 Depth=1
	v_add_f32_e64 v2, |v1|, |v1|
	v_mul_f32_e32 v3, 0x3fb8aa3b, v2
	v_rndne_f32_e32 v4, v3
	v_sub_f32_e32 v5, v3, v4
	v_fma_f32 v3, v2, s39, -v3
	v_fmac_f32_e32 v3, 0x32a5705f, v2
	v_add_f32_e32 v3, v5, v3
	v_cvt_i32_f32_e32 v4, v4
	v_exp_f32_e32 v3, v3
	v_cmp_ngt_f32_e32 vcc, s40, v2
	v_ldexp_f32 v3, v3, v4
	s_nop 0
	v_cndmask_b32_e32 v3, 0, v3, vcc
	v_cmp_nlt_f32_e32 vcc, s41, v2
	s_nop 1
	v_cndmask_b32_e32 v2, v86, v3, vcc
	v_add_f32_e32 v2, 1.0, v2
	v_rcp_f32_e32 v2, v2
	s_nop 0
	v_fma_f32 v3, v2, -2.0, 1.0
	s_andn2_saveexec_b64 s[6:7], s[6:7]
	s_cbranch_execz .LBB91_12
.LBB91_15:                              ;   in Loop: Header=BB91_10 Depth=1
	v_mul_f32_e32 v2, v1, v1
	v_fmamk_f32 v3, v2, 0xbbbac73d, v83
	v_fmaak_f32 v3, v2, v3, 0xbd5c1c4e
	v_fmaak_f32 v3, v2, v3, 0x3e088382
	;; [unrolled: 1-line block ×3, first 2 shown]
	v_mul_f32_e64 v3, |v1|, v3
	v_fma_f32 v3, v2, v3, |v1|
	s_or_b64 exec, exec, s[6:7]
	s_andn2_b64 vcc, exec, s[8:9]
	s_cbranch_vccz .LBB91_13
.LBB91_16:                              ;   in Loop: Header=BB91_10 Depth=1
	v_mov_b32_e32 v2, 0
.LBB91_17:                              ;   in Loop: Header=BB91_10 Depth=1
	v_bfi_b32 v1, s42, v3, v1
	v_and_b32_e32 v3, 0x60, v84
	v_add_u32_e32 v4, 32, v3
	v_xor_b32_e32 v3, 16, v84
	v_cmp_lt_i32_e32 vcc, v3, v4
	v_fmac_f32_e32 v2, s15, v1
	v_add_f32_e32 v1, 0x40051340, v2
	v_cndmask_b32_e32 v3, v84, v3, vcc
	v_max_f32_e32 v5, v0, v0
	v_lshlrev_b32_e32 v3, 2, v3
	v_max_f32_e32 v1, v5, v1
	ds_bpermute_b32 v3, v3, v1
	v_xor_b32_e32 v5, 8, v84
	v_cmp_lt_i32_e32 vcc, v5, v4
	s_waitcnt lgkmcnt(0)
	v_max_f32_e32 v3, v3, v3
	v_cndmask_b32_e32 v5, v84, v5, vcc
	v_lshlrev_b32_e32 v5, 2, v5
	v_max_f32_e32 v1, v1, v3
	ds_bpermute_b32 v3, v5, v1
	v_xor_b32_e32 v5, 4, v84
	v_cmp_lt_i32_e32 vcc, v5, v4
	s_waitcnt lgkmcnt(0)
	v_max_f32_e32 v3, v3, v3
	v_cndmask_b32_e32 v5, v84, v5, vcc
	;; [unrolled: 8-line block ×3, first 2 shown]
	v_lshlrev_b32_e32 v6, 2, v6
	v_max_f32_e32 v5, v3, v5
	ds_bpermute_b32 v6, v6, v5
	v_xor_b32_e32 v3, 1, v84
	v_cmp_lt_i32_e32 vcc, v3, v4
	s_nop 1
	v_cndmask_b32_e32 v4, v84, v3, vcc
	v_lshlrev_b32_e32 v7, 2, v4
	s_waitcnt lgkmcnt(0)
	v_max_f32_e32 v4, v6, v6
	v_max_f32_e32 v4, v5, v4
	ds_bpermute_b32 v5, v7, v4
	s_and_saveexec_b64 s[6:7], s[4:5]
	s_cbranch_execz .LBB91_19
; %bb.18:                               ;   in Loop: Header=BB91_10 Depth=1
	s_waitcnt lgkmcnt(0)
	v_max_f32_e32 v5, v5, v5
	v_max_f32_e32 v4, v4, v4
	;; [unrolled: 1-line block ×3, first 2 shown]
	ds_write_b32 v75, v4
.LBB91_19:                              ;   in Loop: Header=BB91_10 Depth=1
	s_or_b64 exec, exec, s[6:7]
	s_mul_hi_i32 s7, s14, s2
	s_mul_i32 s6, s14, s2
	s_lshl_b64 s[6:7], s[6:7], 2
	s_add_u32 s6, s12, s6
	s_addc_u32 s7, s13, s7
	s_waitcnt lgkmcnt(0)
	v_lshl_add_u64 v[4:5], s[6:7], 0, v[50:51]
	v_lshl_add_u64 v[12:13], v[4:5], 0, v[36:37]
	;; [unrolled: 1-line block ×3, first 2 shown]
	s_barrier
	v_lshl_add_u64 v[14:15], v[4:5], 0, v[36:37]
	global_load_dwordx4 v[4:7], v[12:13], off
	global_load_dwordx4 v[8:11], v[14:15], off
	v_lshl_add_u64 v[12:13], s[6:7], 0, v[54:55]
	v_lshl_add_u64 v[20:21], v[12:13], 0, v[36:37]
	;; [unrolled: 1-line block ×4, first 2 shown]
	global_load_dwordx4 v[12:15], v[20:21], off
	global_load_dwordx4 v[16:19], v[22:23], off
	ds_read_b32 v20, v76
	v_and_b32_e32 v21, 0x7c, v84
	v_add_u32_e32 v21, 4, v21
	v_cmp_lt_i32_e32 vcc, v1, v21
	s_nop 1
	v_cndmask_b32_e32 v1, v84, v1, vcc
	v_lshlrev_b32_e32 v1, 2, v1
	s_waitcnt lgkmcnt(0)
	ds_bpermute_b32 v1, v1, v20
	v_cmp_lt_i32_e32 vcc, v3, v21
	v_max_f32_e32 v20, v20, v20
	s_waitcnt lgkmcnt(0)
	v_max_f32_e32 v1, v1, v1
	v_cndmask_b32_e32 v3, v84, v3, vcc
	v_lshlrev_b32_e32 v3, 2, v3
	v_max_f32_e32 v1, v20, v1
	ds_bpermute_b32 v3, v3, v1
	s_waitcnt lgkmcnt(0)
	v_max_f32_e32 v3, v3, v3
	v_max_f32_e32 v32, v1, v3
	v_sub_f32_e32 v1, v2, v32
	v_sub_f32_e32 v87, v0, v32
	v_mul_f32_e32 v0, 0x3fb8aa3b, v1
	v_fma_f32 v3, v1, s39, -v0
	v_rndne_f32_e32 v20, v0
	v_fmac_f32_e32 v3, 0x32a5705f, v1
	v_sub_f32_e32 v0, v0, v20
	v_mul_f32_e32 v2, 0x3fb8aa3b, v87
	v_add_f32_e32 v0, v0, v3
	v_cmp_ngt_f32_e32 vcc, s40, v1
	v_cmp_nlt_f32_e64 s[6:7], s41, v1
	v_fma_f32 v21, v87, s39, -v2
	v_rndne_f32_e32 v22, v2
	v_cvt_i32_f32_e32 v1, v20
	v_exp_f32_e32 v0, v0
	v_fmac_f32_e32 v21, 0x32a5705f, v87
	v_sub_f32_e32 v2, v2, v22
	v_add_f32_e32 v2, v2, v21
	v_cvt_i32_f32_e32 v3, v22
	v_exp_f32_e32 v2, v2
	v_ldexp_f32 v0, v0, v1
	v_cndmask_b32_e32 v0, 0, v0, vcc
	v_cndmask_b32_e64 v106, v86, v0, s[6:7]
	s_or_b32 s6, s14, 64
	v_ldexp_f32 v94, v2, v3
	s_mul_hi_i32 s7, s6, s2
	s_mul_i32 s6, s6, s2
	v_cmp_ngt_f32_e32 vcc, s40, v87
	s_lshl_b64 s[6:7], s[6:7], 2
	v_cvt_f16_f32_e32 v0, v106
	v_cndmask_b32_e32 v94, 0, v94, vcc
	v_cmp_nlt_f32_e32 vcc, s41, v87
	s_add_u32 s6, s12, s6
	s_addc_u32 s7, s13, s7
	v_cndmask_b32_e32 v87, v86, v94, vcc
	v_cvt_f16_f32_e32 v121, v87
	v_lshl_add_u64 v[92:93], s[6:7], 0, v[50:51]
	v_lshl_add_u64 v[100:101], v[92:93], 0, v[36:37]
	;; [unrolled: 1-line block ×4, first 2 shown]
	v_fma_f32 v47, v47, v87, v106
	ds_write_b16 v77, v0
	s_waitcnt vmcnt(3)
	ds_write_b128 v78, v[4:7]
	s_waitcnt vmcnt(2)
	ds_write_b128 v79, v[8:11]
	;; [unrolled: 2-line block ×4, first 2 shown]
	s_waitcnt lgkmcnt(0)
	s_barrier
	ds_read2st64_b64 v[88:91], v85 offset1:2
	ds_read_u16 v104, v82
	ds_read_u16 v105, v82 offset:8
	ds_read_u16 v107, v82 offset:16
	;; [unrolled: 1-line block ×7, first 2 shown]
	ds_read2st64_b64 v[24:27], v85 offset0:4 offset1:6
	ds_read2st64_b64 v[20:23], v85 offset0:8 offset1:10
	;; [unrolled: 1-line block ×7, first 2 shown]
	ds_read_u16 v113, v82 offset:64
	ds_read_u16 v114, v82 offset:72
	;; [unrolled: 1-line block ×8, first 2 shown]
	s_waitcnt lgkmcnt(0)
	s_barrier
	global_load_dwordx4 v[92:95], v[100:101], off
	global_load_dwordx4 v[96:99], v[102:103], off
	v_mul_u32_u24_e32 v101, 0x10001, v104
	v_mul_u32_u24_e32 v100, 0x10001, v121
	v_pk_mul_f16 v88, v88, v101
	s_nop 0
	v_pk_fma_f16 v88, v28, v100, v88
	v_pk_mul_f16 v28, v89, v101
	s_nop 0
	v_pk_fma_f16 v89, v29, v100, v28
	v_lshl_add_u64 v[28:29], s[6:7], 0, v[54:55]
	v_mul_u32_u24_e32 v100, 0x10001, v105
	v_lshl_add_u64 v[28:29], v[28:29], 0, v[36:37]
	v_pk_fma_f16 v121, v90, v100, v88
	v_pk_fma_f16 v122, v91, v100, v89
	v_lshl_add_u64 v[88:89], s[6:7], 0, v[56:57]
	v_lshl_add_u64 v[104:105], v[88:89], 0, v[36:37]
	global_load_dwordx4 v[88:91], v[28:29], off
	global_load_dwordx4 v[100:103], v[104:105], off
	v_mul_u32_u24_e32 v28, 0x10001, v107
	v_pk_fma_f16 v24, v24, v28, v121
	v_pk_fma_f16 v25, v25, v28, v122
	v_mul_u32_u24_e32 v28, 0x10001, v108
	v_pk_fma_f16 v24, v26, v28, v24
	v_pk_fma_f16 v25, v27, v28, v25
	;; [unrolled: 3-line block ×14, first 2 shown]
	s_waitcnt vmcnt(3)
	ds_write_b128 v78, v[92:95]
	s_waitcnt vmcnt(2)
	ds_write_b128 v79, v[96:99]
	;; [unrolled: 2-line block ×4, first 2 shown]
	s_waitcnt lgkmcnt(0)
	s_barrier
	ds_read2st64_b64 v[0:3], v85 offset1:2
	ds_read_u16 v6, v82 offset:128
	ds_read_u16 v8, v82 offset:136
	;; [unrolled: 1-line block ×8, first 2 shown]
	s_waitcnt lgkmcnt(7)
	v_mul_u32_u24_e32 v6, 0x10001, v6
	v_pk_fma_f16 v0, v0, v6, v5
	v_pk_fma_f16 v1, v1, v6, v4
	ds_read2st64_b64 v[4:7], v85 offset0:4 offset1:6
	s_waitcnt lgkmcnt(7)
	v_mul_u32_u24_e32 v8, 0x10001, v8
	v_pk_fma_f16 v0, v2, v8, v0
	v_pk_fma_f16 v1, v3, v8, v1
	s_waitcnt lgkmcnt(6)
	v_mul_u32_u24_e32 v2, 0x10001, v9
	s_waitcnt lgkmcnt(0)
	v_pk_fma_f16 v4, v4, v2, v0
	v_pk_fma_f16 v5, v5, v2, v1
	ds_read2st64_b64 v[0:3], v85 offset0:8 offset1:10
	v_mul_u32_u24_e32 v8, 0x10001, v10
	v_pk_fma_f16 v4, v6, v8, v4
	v_pk_fma_f16 v5, v7, v8, v5
	v_mul_u32_u24_e32 v6, 0x10001, v11
	s_waitcnt lgkmcnt(0)
	v_pk_fma_f16 v0, v0, v6, v4
	v_pk_fma_f16 v1, v1, v6, v5
	ds_read2st64_b64 v[4:7], v85 offset0:12 offset1:14
	v_mul_u32_u24_e32 v8, 0x10001, v12
	v_pk_fma_f16 v0, v2, v8, v0
	v_pk_fma_f16 v1, v3, v8, v1
	v_mul_u32_u24_e32 v2, 0x10001, v13
	s_waitcnt lgkmcnt(0)
	v_pk_fma_f16 v0, v4, v2, v0
	v_pk_fma_f16 v1, v5, v2, v1
	v_mul_u32_u24_e32 v2, 0x10001, v14
	v_pk_fma_f16 v4, v6, v2, v0
	v_pk_fma_f16 v5, v7, v2, v1
	ds_read2st64_b64 v[0:3], v85 offset0:16 offset1:18
	ds_read_u16 v6, v82 offset:192
	ds_read_u16 v8, v82 offset:200
	;; [unrolled: 1-line block ×8, first 2 shown]
	s_waitcnt lgkmcnt(7)
	v_mul_u32_u24_e32 v6, 0x10001, v6
	v_pk_fma_f16 v0, v0, v6, v4
	v_pk_fma_f16 v1, v1, v6, v5
	ds_read2st64_b64 v[4:7], v85 offset0:20 offset1:22
	s_waitcnt lgkmcnt(7)
	v_mul_u32_u24_e32 v8, 0x10001, v8
	v_pk_fma_f16 v0, v2, v8, v0
	v_pk_fma_f16 v1, v3, v8, v1
	s_waitcnt lgkmcnt(6)
	v_mul_u32_u24_e32 v2, 0x10001, v9
	s_waitcnt lgkmcnt(0)
	v_pk_fma_f16 v4, v4, v2, v0
	v_pk_fma_f16 v5, v5, v2, v1
	ds_read2st64_b64 v[0:3], v85 offset0:24 offset1:26
	v_mul_u32_u24_e32 v8, 0x10001, v10
	v_pk_fma_f16 v4, v6, v8, v4
	v_pk_fma_f16 v5, v7, v8, v5
	v_mul_u32_u24_e32 v6, 0x10001, v11
	s_waitcnt lgkmcnt(0)
	v_pk_fma_f16 v0, v0, v6, v4
	v_pk_fma_f16 v1, v1, v6, v5
	v_mul_u32_u24_e32 v4, 0x10001, v12
	v_pk_fma_f16 v5, v2, v4, v0
	v_pk_fma_f16 v4, v3, v4, v1
	ds_read2st64_b64 v[0:3], v85 offset0:28 offset1:30
	s_waitcnt lgkmcnt(0)
	s_barrier
	s_load_dword s6, s[10:11], 0x4
	v_mul_u32_u24_e32 v6, 0x10001, v13
	v_pk_fma_f16 v0, v0, v6, v5
	v_pk_fma_f16 v1, v1, v6, v4
	v_mul_u32_u24_e32 v4, 0x10001, v14
	s_waitcnt lgkmcnt(0)
	s_lshl_b32 s6, s6, 7
	s_add_i32 s14, s6, s14
	v_pk_fma_f16 v28, v2, v4, v0
	s_cmp_lt_i32 s14, s30
	v_pk_fma_f16 v29, v3, v4, v1
	s_cbranch_scc0 .LBB91_22
; %bb.20:                               ;   in Loop: Header=BB91_10 Depth=1
	v_mov_b32_e32 v0, v32
	s_branch .LBB91_10
.LBB91_21:
	v_mov_b32_e32 v29, 0
	v_mov_b32_e32 v47, 0
	;; [unrolled: 1-line block ×4, first 2 shown]
.LBB91_22:
	s_cmp_gt_i32 s38, s14
	s_cbranch_scc1 .LBB91_24
; %bb.23:
	v_mbcnt_hi_u32_b32 v2, -1, v66
	v_and_b32_e32 v0, 0x60, v2
	v_add_u32_e32 v3, 32, v0
	v_xor_b32_e32 v4, 16, v2
	v_xor_b32_e32 v5, 8, v2
	;; [unrolled: 1-line block ×5, first 2 shown]
	s_cbranch_execz .LBB91_25
	s_branch .LBB91_37
.LBB91_24:
                                        ; implicit-def: $vgpr2
                                        ; implicit-def: $vgpr3
                                        ; implicit-def: $vgpr4
                                        ; implicit-def: $vgpr5
                                        ; implicit-def: $vgpr6
                                        ; implicit-def: $vgpr7
                                        ; implicit-def: $vgpr8
.LBB91_25:
	s_mul_hi_i32 s5, s14, s19
	s_mul_i32 s4, s14, s19
	s_sub_i32 s10, s38, s14
	s_lshl_b64 s[4:5], s[4:5], 2
	v_lshl_add_u32 v7, v59, 2, v68
	s_add_u32 s28, s28, s4
	v_mul_lo_u32 v2, s19, v7
	s_mov_b64 s[6:7], src_private_base
	s_addc_u32 s29, s29, s5
	v_ashrrev_i32_e32 v3, 31, v2
	s_mov_b32 s4, 0
	v_lshlrev_b32_e32 v0, 2, v34
	v_mov_b32_e32 v1, 0
	s_mov_b32 s5, s4
	s_mov_b32 s6, s4
	v_mov_b32_e32 v4, s4
	v_lshl_add_u64 v[8:9], v[2:3], 2, s[28:29]
	v_mov_b32_e32 v5, s5
	v_mov_b32_e32 v6, s6
	v_lshl_add_u64 v[20:21], v[8:9], 0, v[0:1]
	v_mov_b32_e32 v34, s7
	v_cmp_gt_i32_e32 vcc, s10, v7
	v_mov_b32_e32 v36, 0
	scratch_store_dword off, v1, off
	scratch_store_dwordx3 off, v[4:6], off offset:4
	v_cndmask_b32_e32 v9, v34, v21, vcc
	v_cndmask_b32_e32 v8, v36, v20, vcc
	flat_load_dwordx4 v[8:11], v[8:9]
	s_lshl_b32 s6, s19, 5
	v_add_u32_e32 v2, s6, v2
	v_ashrrev_i32_e32 v3, 31, v2
	s_movk_i32 s4, 0x90
	v_add_u32_e32 v14, 32, v7
	v_lshl_add_u64 v[12:13], v[2:3], 2, s[28:29]
	v_mad_u32_u24 v37, v7, s4, v0
	v_lshl_add_u64 v[22:23], v[12:13], 0, v[0:1]
	v_cmp_gt_i32_e64 s[8:9], s10, v14
	scratch_store_dword off, v1, off
	scratch_store_dwordx3 off, v[4:6], off offset:4
	v_cndmask_b32_e64 v13, v34, v23, s[8:9]
	v_cndmask_b32_e64 v12, v36, v22, s[8:9]
	v_add_u32_e32 v2, s6, v2
	v_ashrrev_i32_e32 v3, 31, v2
	v_add_u32_e32 v14, 64, v7
	v_cmp_gt_i32_e64 s[4:5], s10, v14
	v_add_u32_e32 v7, 0x60, v7
	s_waitcnt vmcnt(0) lgkmcnt(0)
	ds_write_b128 v37, v[8:11]
	flat_load_dwordx4 v[8:11], v[12:13]
	v_lshl_add_u64 v[12:13], v[2:3], 2, s[28:29]
	v_lshl_add_u64 v[24:25], v[12:13], 0, v[0:1]
	v_cndmask_b32_e64 v13, v34, v25, s[4:5]
	v_cndmask_b32_e64 v12, v36, v24, s[4:5]
	scratch_store_dword off, v1, off
	scratch_store_dwordx3 off, v[4:6], off offset:4
	v_add_u32_e32 v2, s6, v2
	v_ashrrev_i32_e32 v3, 31, v2
	v_lshl_add_u64 v[2:3], v[2:3], 2, s[28:29]
	v_lshl_add_u64 v[26:27], v[2:3], 0, v[0:1]
	v_cmp_gt_i32_e64 s[6:7], s10, v7
	v_and_b32_e32 v0, 0x60, v64
	s_mov_b64 s[28:29], 0x80
	v_cndmask_b32_e64 v3, v34, v27, s[6:7]
	v_cndmask_b32_e64 v2, v36, v26, s[6:7]
	s_waitcnt vmcnt(0) lgkmcnt(0)
	ds_write_b128 v37, v[8:11] offset:4608
	flat_load_dwordx4 v[8:11], v[12:13]
	s_nop 0
	scratch_store_dword off, v1, off
	scratch_store_dwordx3 off, v[4:6], off offset:4
	s_waitcnt vmcnt(0) lgkmcnt(0)
	ds_write_b128 v37, v[8:11] offset:9216
	flat_load_dwordx4 v[12:15], v[2:3]
	v_add_u32_e32 v10, v0, v31
	v_mul_u32_u24_e32 v11, 0x90, v10
	v_and_b32_e32 v3, 0xff00, v67
	v_mov_b32_e32 v2, v1
	v_lshl_add_u64 v[8:9], v[20:21], 0, s[28:29]
	v_cndmask_b32_e32 v9, v34, v9, vcc
	v_cndmask_b32_e32 v8, v36, v8, vcc
	s_waitcnt vmcnt(0) lgkmcnt(0)
	ds_write_b128 v37, v[12:15] offset:13824
	s_waitcnt lgkmcnt(0)
	s_barrier
	ds_read_b128 v[12:15], v11
	ds_read_b128 v[16:19], v3 offset:18944
	s_waitcnt lgkmcnt(0)
	;;#ASMSTART
	v_dot2_f32_f16 v2, v12, v16, v2
	;;#ASMEND
	s_nop 0
	;;#ASMSTART
	v_dot2_f32_f16 v2, v13, v17, v2
	;;#ASMEND
	s_nop 0
	;;#ASMSTART
	v_dot2_f32_f16 v2, v14, v18, v2
	;;#ASMEND
	s_nop 0
	;;#ASMSTART
	v_dot2_f32_f16 v2, v15, v19, v2
	;;#ASMEND
	ds_read_b128 v[12:15], v11 offset:16
	ds_read_b128 v[16:19], v3 offset:18960
	s_waitcnt lgkmcnt(0)
	;;#ASMSTART
	v_dot2_f32_f16 v2, v12, v16, v2
	;;#ASMEND
	s_nop 0
	;;#ASMSTART
	v_dot2_f32_f16 v2, v13, v17, v2
	;;#ASMEND
	s_nop 0
	;;#ASMSTART
	v_dot2_f32_f16 v2, v14, v18, v2
	;;#ASMEND
	s_nop 0
	;;#ASMSTART
	v_dot2_f32_f16 v2, v15, v19, v2
	;;#ASMEND
	ds_read_b128 v[12:15], v11 offset:32
	;; [unrolled: 18-line block ×7, first 2 shown]
	ds_read_b128 v[16:19], v3 offset:19056
	s_waitcnt lgkmcnt(0)
	;;#ASMSTART
	v_dot2_f32_f16 v2, v12, v16, v2
	;;#ASMEND
	s_nop 0
	;;#ASMSTART
	v_dot2_f32_f16 v2, v13, v17, v2
	;;#ASMEND
	s_nop 0
	;; [unrolled: 4-line block ×3, first 2 shown]
	;;#ASMSTART
	v_dot2_f32_f16 v2, v15, v19, v2
	;;#ASMEND
	s_barrier
	scratch_store_dword off, v1, off
	scratch_store_dwordx3 off, v[4:6], off offset:4
	flat_load_dwordx4 v[12:15], v[8:9]
	v_lshl_add_u64 v[8:9], v[22:23], 0, s[28:29]
	v_cndmask_b32_e64 v9, v34, v9, s[8:9]
	v_cndmask_b32_e64 v8, v36, v8, s[8:9]
	scratch_store_dword off, v1, off
	scratch_store_dwordx3 off, v[4:6], off offset:4
	s_waitcnt vmcnt(0) lgkmcnt(0)
	ds_write_b128 v37, v[12:15]
	flat_load_dwordx4 v[12:15], v[8:9]
	v_lshl_add_u64 v[8:9], v[24:25], 0, s[28:29]
	v_cndmask_b32_e64 v9, v34, v9, s[4:5]
	v_cndmask_b32_e64 v8, v36, v8, s[4:5]
	scratch_store_dword off, v1, off
	scratch_store_dwordx3 off, v[4:6], off offset:4
	s_mov_b32 s4, 0x3f200000
	s_waitcnt vmcnt(0) lgkmcnt(0)
	ds_write_b128 v37, v[12:15] offset:4608
	flat_load_dwordx4 v[12:15], v[8:9]
	v_lshl_add_u64 v[8:9], v[26:27], 0, s[28:29]
	v_cndmask_b32_e64 v9, v34, v9, s[6:7]
	v_cndmask_b32_e64 v8, v36, v8, s[6:7]
	scratch_store_dword off, v1, off
	scratch_store_dwordx3 off, v[4:6], off offset:4
                                        ; implicit-def: $vgpr1
	s_waitcnt vmcnt(0) lgkmcnt(0)
	ds_write_b128 v37, v[12:15] offset:9216
	flat_load_dwordx4 v[4:7], v[8:9]
	s_waitcnt vmcnt(0) lgkmcnt(0)
	ds_write_b128 v37, v[4:7] offset:13824
	s_waitcnt lgkmcnt(0)
	s_barrier
	ds_read_b128 v[4:7], v11
	ds_read_b128 v[12:15], v3 offset:19072
	s_waitcnt lgkmcnt(0)
	;;#ASMSTART
	v_dot2_f32_f16 v2, v4, v12, v2
	;;#ASMEND
	s_nop 0
	;;#ASMSTART
	v_dot2_f32_f16 v2, v5, v13, v2
	;;#ASMEND
	s_nop 0
	;;#ASMSTART
	v_dot2_f32_f16 v2, v6, v14, v2
	;;#ASMEND
	s_nop 0
	;;#ASMSTART
	v_dot2_f32_f16 v2, v7, v15, v2
	;;#ASMEND
	ds_read_b128 v[4:7], v11 offset:16
	ds_read_b128 v[12:15], v3 offset:19088
	s_waitcnt lgkmcnt(0)
	;;#ASMSTART
	v_dot2_f32_f16 v2, v4, v12, v2
	;;#ASMEND
	s_nop 0
	;;#ASMSTART
	v_dot2_f32_f16 v2, v5, v13, v2
	;;#ASMEND
	s_nop 0
	;;#ASMSTART
	v_dot2_f32_f16 v2, v6, v14, v2
	;;#ASMEND
	s_nop 0
	;;#ASMSTART
	v_dot2_f32_f16 v2, v7, v15, v2
	;;#ASMEND
	ds_read_b128 v[4:7], v11 offset:32
	ds_read_b128 v[12:15], v3 offset:19104
	s_waitcnt lgkmcnt(0)
	;;#ASMSTART
	v_dot2_f32_f16 v2, v4, v12, v2
	;;#ASMEND
	s_nop 0
	;;#ASMSTART
	v_dot2_f32_f16 v2, v5, v13, v2
	;;#ASMEND
	s_nop 0
	;;#ASMSTART
	v_dot2_f32_f16 v2, v6, v14, v2
	;;#ASMEND
	s_nop 0
	;;#ASMSTART
	v_dot2_f32_f16 v2, v7, v15, v2
	;;#ASMEND
	ds_read_b128 v[4:7], v11 offset:48
	ds_read_b128 v[12:15], v3 offset:19120
	s_waitcnt lgkmcnt(0)
	;;#ASMSTART
	v_dot2_f32_f16 v2, v4, v12, v2
	;;#ASMEND
	s_nop 0
	;;#ASMSTART
	v_dot2_f32_f16 v2, v5, v13, v2
	;;#ASMEND
	s_nop 0
	;;#ASMSTART
	v_dot2_f32_f16 v2, v6, v14, v2
	;;#ASMEND
	s_nop 0
	;;#ASMSTART
	v_dot2_f32_f16 v2, v7, v15, v2
	;;#ASMEND
	ds_read_b128 v[4:7], v11 offset:64
	ds_read_b128 v[12:15], v3 offset:19136
	s_waitcnt lgkmcnt(0)
	;;#ASMSTART
	v_dot2_f32_f16 v2, v4, v12, v2
	;;#ASMEND
	s_nop 0
	;;#ASMSTART
	v_dot2_f32_f16 v2, v5, v13, v2
	;;#ASMEND
	s_nop 0
	;;#ASMSTART
	v_dot2_f32_f16 v2, v6, v14, v2
	;;#ASMEND
	s_nop 0
	;;#ASMSTART
	v_dot2_f32_f16 v2, v7, v15, v2
	;;#ASMEND
	ds_read_b128 v[4:7], v11 offset:80
	ds_read_b128 v[12:15], v3 offset:19152
	s_waitcnt lgkmcnt(0)
	;;#ASMSTART
	v_dot2_f32_f16 v2, v4, v12, v2
	;;#ASMEND
	s_nop 0
	;;#ASMSTART
	v_dot2_f32_f16 v2, v5, v13, v2
	;;#ASMEND
	s_nop 0
	;;#ASMSTART
	v_dot2_f32_f16 v2, v6, v14, v2
	;;#ASMEND
	s_nop 0
	;;#ASMSTART
	v_dot2_f32_f16 v2, v7, v15, v2
	;;#ASMEND
	ds_read_b128 v[4:7], v11 offset:96
	ds_read_b128 v[12:15], v3 offset:19168
	s_waitcnt lgkmcnt(0)
	;;#ASMSTART
	v_dot2_f32_f16 v2, v4, v12, v2
	;;#ASMEND
	s_nop 0
	;;#ASMSTART
	v_dot2_f32_f16 v2, v5, v13, v2
	;;#ASMEND
	s_nop 0
	;;#ASMSTART
	v_dot2_f32_f16 v2, v6, v14, v2
	;;#ASMEND
	s_nop 0
	;;#ASMSTART
	v_dot2_f32_f16 v2, v7, v15, v2
	;;#ASMEND
	ds_read_b128 v[4:7], v11 offset:112
	ds_read_b128 v[12:15], v3 offset:19184
	s_waitcnt lgkmcnt(0)
	;;#ASMSTART
	v_dot2_f32_f16 v2, v4, v12, v2
	;;#ASMEND
	s_nop 0
	;;#ASMSTART
	v_dot2_f32_f16 v2, v5, v13, v2
	;;#ASMEND
	s_nop 0
	;; [unrolled: 4-line block ×4, first 2 shown]
	v_cmp_nlt_f32_e64 s[4:5], |v2|, s4
	s_and_saveexec_b64 s[6:7], s[4:5]
	s_xor_b64 s[4:5], exec, s[6:7]
	s_cbranch_execz .LBB91_27
; %bb.26:
	v_add_f32_e64 v1, |v2|, |v2|
	v_mul_f32_e32 v3, 0x3fb8aa3b, v1
	s_mov_b32 s6, 0x3fb8aa3b
	v_rndne_f32_e32 v4, v3
	v_sub_f32_e32 v5, v3, v4
	v_fma_f32 v3, v1, s6, -v3
	v_fmamk_f32 v3, v1, 0x32a5705f, v3
	v_add_f32_e32 v3, v5, v3
	v_exp_f32_e32 v3, v3
	v_cvt_i32_f32_e32 v4, v4
	s_mov_b32 s6, 0xc2ce8ed0
	v_cmp_ngt_f32_e32 vcc, s6, v1
	s_mov_b32 s6, 0x42b17218
	v_ldexp_f32 v3, v3, v4
	v_cndmask_b32_e32 v3, 0, v3, vcc
	v_mov_b32_e32 v4, 0x7f800000
	v_cmp_nlt_f32_e32 vcc, s6, v1
	s_nop 1
	v_cndmask_b32_e32 v1, v4, v3, vcc
	v_add_f32_e32 v1, 1.0, v1
	v_rcp_f32_e32 v1, v1
	s_nop 0
	v_fma_f32 v1, v1, -2.0, 1.0
.LBB91_27:
	s_andn2_saveexec_b64 s[4:5], s[4:5]
; %bb.28:
	v_mul_f32_e32 v1, v2, v2
	v_mov_b32_e32 v3, 0x3ca908c9
	v_fmac_f32_e32 v3, 0xbbbac73d, v1
	v_fmaak_f32 v3, v1, v3, 0xbd5c1c4e
	v_fmaak_f32 v3, v1, v3, 0x3e088382
	;; [unrolled: 1-line block ×3, first 2 shown]
	v_mul_f32_e64 v3, |v2|, v3
	v_fma_f32 v1, v1, v3, |v2|
; %bb.29:
	s_or_b64 exec, exec, s[4:5]
	s_brev_b32 s4, -2
	v_bfi_b32 v1, s4, v1, v2
	v_cmp_gt_i32_e32 vcc, s10, v10
	v_mul_f32_e32 v1, s15, v1
	v_mov_b32_e32 v6, v32
	s_and_saveexec_b64 s[4:5], vcc
	s_cbranch_execz .LBB91_34
; %bb.30:
	s_cmp_eq_u64 s[36:37], 0
	s_cbranch_scc1 .LBB91_32
; %bb.31:
	v_mul_hi_u32 v2, s24, v58
	v_add_u32_e32 v2, v58, v2
	v_lshrrev_b32_e32 v2, s25, v2
	v_mul_lo_u32 v2, v2, s26
	v_sub_u32_e32 v2, v58, v2
	v_mul_lo_u32 v2, v2, s18
	v_add3_u32 v2, v2, v10, s14
	v_ashrrev_i32_e32 v3, 31, v2
	v_lshl_add_u64 v[2:3], v[2:3], 1, s[36:37]
	global_load_ushort v2, v[2:3], off
	s_waitcnt vmcnt(0)
	v_cvt_f32_f16_e32 v2, v2
	v_mul_f32_e32 v2, v62, v2
	s_branch .LBB91_33
.LBB91_32:
	v_mov_b32_e32 v2, 0
.LBB91_33:
	v_add_f32_e32 v1, v1, v2
	v_add_f32_e32 v2, 0x40051340, v1
	v_max_f32_e32 v3, v32, v32
	v_max_f32_e32 v6, v3, v2
.LBB91_34:
	s_or_b64 exec, exec, s[4:5]
	v_mbcnt_hi_u32_b32 v2, -1, v66
	v_and_b32_e32 v3, 0x60, v2
	v_add_u32_e32 v3, 32, v3
	v_xor_b32_e32 v4, 16, v2
	v_cmp_lt_i32_e32 vcc, v4, v3
	s_nop 1
	v_cndmask_b32_e32 v5, v2, v4, vcc
	v_lshlrev_b32_e32 v5, 2, v5
	ds_bpermute_b32 v7, v5, v6
	v_xor_b32_e32 v5, 8, v2
	v_cmp_lt_i32_e32 vcc, v5, v3
	v_max_f32_e32 v6, v6, v6
	s_waitcnt lgkmcnt(0)
	v_max_f32_e32 v7, v7, v7
	v_cndmask_b32_e32 v8, v2, v5, vcc
	v_lshlrev_b32_e32 v8, 2, v8
	v_max_f32_e32 v7, v6, v7
	ds_bpermute_b32 v8, v8, v7
	v_xor_b32_e32 v6, 4, v2
	v_cmp_lt_i32_e32 vcc, v6, v3
	s_waitcnt lgkmcnt(0)
	v_max_f32_e32 v8, v8, v8
	v_cndmask_b32_e32 v9, v2, v6, vcc
	v_lshlrev_b32_e32 v9, 2, v9
	v_max_f32_e32 v8, v7, v8
	ds_bpermute_b32 v9, v9, v8
	v_xor_b32_e32 v7, 2, v2
	v_cmp_lt_i32_e32 vcc, v7, v3
	;; [unrolled: 8-line block ×3, first 2 shown]
	s_waitcnt lgkmcnt(0)
	v_max_f32_e32 v11, v11, v11
	v_cndmask_b32_e32 v12, v2, v8, vcc
	v_lshlrev_b32_e32 v12, 2, v12
	v_max_f32_e32 v9, v9, v11
	ds_bpermute_b32 v11, v12, v9
	v_cmp_eq_u32_e32 vcc, 0, v31
	s_and_saveexec_b64 s[4:5], vcc
	s_cbranch_execz .LBB91_36
; %bb.35:
	s_waitcnt lgkmcnt(0)
	v_max_f32_e32 v11, v11, v11
	v_max_f32_e32 v9, v9, v9
	;; [unrolled: 1-line block ×3, first 2 shown]
	ds_write_b32 v61, v9 offset:19488
.LBB91_36:
	s_or_b64 exec, exec, s[4:5]
	s_mov_b64 s[4:5], src_private_base
	s_movk_i32 s4, 0x3fc
	v_and_or_b32 v9, v59, s4, v65
	v_lshlrev_b32_e32 v9, 2, v9
	s_waitcnt lgkmcnt(0)
	s_barrier
	ds_read_b32 v9, v9 offset:19488
	v_and_b32_e32 v11, 0x7c, v2
	v_add_u32_e32 v11, 4, v11
	v_cmp_lt_i32_e32 vcc, v7, v11
	s_mov_b32 s4, 0x3fb8aa3b
	s_mov_b32 s6, 0xc2ce8ed0
	v_cndmask_b32_e32 v12, v2, v7, vcc
	v_lshlrev_b32_e32 v12, 2, v12
	s_waitcnt lgkmcnt(0)
	ds_bpermute_b32 v12, v12, v9
	v_cmp_lt_i32_e32 vcc, v8, v11
	v_max_f32_e32 v9, v9, v9
	s_mov_b32 s7, 0x42b17218
	v_cndmask_b32_e32 v11, v2, v8, vcc
	s_waitcnt lgkmcnt(0)
	v_max_f32_e32 v12, v12, v12
	v_max_f32_e32 v9, v9, v12
	v_lshlrev_b32_e32 v11, 2, v11
	ds_bpermute_b32 v11, v11, v9
	v_mov_b32_e32 v34, 0x7f800000
	v_lshl_add_u32 v24, v59, 1, v63
	s_mul_hi_i32 s9, s14, s2
	s_mul_i32 s8, s14, s2
	s_waitcnt lgkmcnt(0)
	v_max_f32_e32 v11, v11, v11
	v_max_f32_e32 v9, v9, v11
	v_sub_f32_e32 v1, v1, v9
	v_mul_f32_e32 v11, 0x3fb8aa3b, v1
	v_fma_f32 v12, v1, s4, -v11
	v_rndne_f32_e32 v13, v11
	v_fmac_f32_e32 v12, 0x32a5705f, v1
	v_sub_f32_e32 v11, v11, v13
	v_add_f32_e32 v11, v11, v12
	v_exp_f32_e32 v11, v11
	v_cvt_i32_f32_e32 v12, v13
	v_cmp_ngt_f32_e32 vcc, s6, v1
	v_mul_lo_u32 v18, s2, v24
	s_lshl_b32 s11, s2, 4
	v_ldexp_f32 v11, v11, v12
	v_cndmask_b32_e32 v11, 0, v11, vcc
	v_cmp_nlt_f32_e32 vcc, s7, v1
	s_lshl_b64 s[8:9], s[8:9], 2
	v_ashrrev_i32_e32 v19, 31, v18
	v_cndmask_b32_e32 v1, v34, v11, vcc
	v_cmp_gt_u32_e32 vcc, s10, v10
	v_mov_b32_e32 v10, 0x4800
	s_add_u32 s8, s12, s8
	v_cndmask_b32_e32 v46, 0, v1, vcc
	v_and_b32_e32 v1, 0x7f80, v64
	v_cvt_f16_f32_e32 v11, v46
	v_lshl_add_u32 v13, v1, 1, v10
	v_lshl_or_b32 v0, v0, 1, v13
	v_lshl_add_u32 v0, v31, 1, v0
	s_addc_u32 s9, s13, s9
	s_mov_b32 s28, 0
	v_lshlrev_b64 v[20:21], 2, v[18:19]
	ds_write_b16 v0, v11
	v_lshlrev_b32_e32 v0, 2, v30
	v_mov_b32_e32 v1, 0
	s_mov_b32 s29, s28
	s_mov_b32 s30, s28
	v_mov_b32_e32 v10, s28
	v_lshl_add_u64 v[14:15], s[8:9], 0, v[20:21]
	v_mov_b32_e32 v11, s29
	v_mov_b32_e32 v12, s30
	v_lshl_add_u64 v[14:15], v[14:15], 0, v[0:1]
	v_mov_b32_e32 v30, s5
	v_cmp_gt_i32_e32 vcc, s10, v24
	v_mov_b32_e32 v70, 0
	scratch_store_dword off, v1, off
	scratch_store_dwordx3 off, v[10:12], off offset:4
	v_cndmask_b32_e32 v15, v30, v15, vcc
	v_cndmask_b32_e32 v14, v70, v14, vcc
	flat_load_dwordx4 v[14:17], v[14:15]
	v_add_u32_e32 v18, s11, v18
	v_ashrrev_i32_e32 v19, 31, v18
	v_lshlrev_b64 v[26:27], 2, v[18:19]
	v_add_u32_e32 v72, 16, v24
	v_lshl_add_u64 v[22:23], s[8:9], 0, v[26:27]
	v_lshl_or_b32 v71, v24, 8, v0
	v_lshl_add_u64 v[22:23], v[22:23], 0, v[0:1]
	v_cmp_gt_i32_e32 vcc, s10, v72
	scratch_store_dword off, v1, off
	scratch_store_dwordx3 off, v[10:12], off offset:4
	v_cndmask_b32_e32 v23, v30, v23, vcc
	v_cndmask_b32_e32 v22, v70, v22, vcc
	v_add_u32_e32 v18, s11, v18
	v_ashrrev_i32_e32 v19, 31, v18
	v_lshlrev_b64 v[44:45], 2, v[18:19]
	v_add_u32_e32 v73, 32, v24
	v_lshl_or_b32 v74, v72, 8, v0
	v_cmp_gt_i32_e32 vcc, s10, v73
	v_add_u32_e32 v18, s11, v18
	v_ashrrev_i32_e32 v19, 31, v18
	v_lshlrev_b64 v[56:57], 2, v[18:19]
	v_add_u32_e32 v75, 48, v24
	v_lshl_add_u64 v[18:19], s[8:9], 0, v[56:57]
	v_lshl_or_b32 v76, v73, 8, v0
	v_lshl_add_u64 v[18:19], v[18:19], 0, v[0:1]
	s_or_b32 s5, s14, 64
	v_lshl_add_u32 v77, v33, 8, v60
	v_lshl_or_b32 v78, v75, 8, v0
	v_lshl_or_b32 v79, v33, 1, v13
	s_waitcnt vmcnt(0) lgkmcnt(0)
	ds_write_b128 v71, v[14:17]
	flat_load_dwordx4 v[14:17], v[22:23]
	v_lshl_add_u64 v[22:23], s[8:9], 0, v[44:45]
	v_lshl_add_u64 v[22:23], v[22:23], 0, v[0:1]
	v_cndmask_b32_e32 v23, v30, v23, vcc
	v_cndmask_b32_e32 v22, v70, v22, vcc
	scratch_store_dword off, v1, off
	scratch_store_dwordx3 off, v[10:12], off offset:4
	v_cmp_gt_i32_e32 vcc, s10, v75
	s_mul_hi_i32 s9, s5, s2
	s_mul_i32 s8, s5, s2
	v_cndmask_b32_e32 v19, v30, v19, vcc
	v_cndmask_b32_e32 v18, v70, v18, vcc
	s_lshl_b64 s[8:9], s[8:9], 2
	s_add_u32 s8, s12, s8
	s_addc_u32 s9, s13, s9
	s_sub_i32 s2, s10, 64
	v_cmp_gt_i32_e32 vcc, s2, v24
	v_lshl_add_u64 v[26:27], s[8:9], 0, v[26:27]
	v_lshl_add_u64 v[26:27], v[26:27], 0, v[0:1]
	s_waitcnt vmcnt(0) lgkmcnt(0)
	ds_write_b128 v74, v[14:17]
	flat_load_dwordx4 v[14:17], v[22:23]
	s_nop 0
	scratch_store_dword off, v1, off
	scratch_store_dwordx3 off, v[10:12], off offset:4
	s_waitcnt vmcnt(0) lgkmcnt(0)
	ds_write_b128 v76, v[14:17]
	flat_load_dwordx4 v[14:17], v[18:19]
	v_lshl_add_u64 v[18:19], s[8:9], 0, v[20:21]
	v_lshl_add_u64 v[18:19], v[18:19], 0, v[0:1]
	v_cndmask_b32_e32 v67, v30, v19, vcc
	v_cndmask_b32_e32 v66, v70, v18, vcc
	v_cmp_gt_i32_e32 vcc, s2, v72
	s_waitcnt vmcnt(0) lgkmcnt(0)
	ds_write_b128 v78, v[14:17]
	s_waitcnt lgkmcnt(0)
	s_barrier
	ds_read2st64_b64 v[14:17], v77 offset1:2
	ds_read_u16 v80, v79
	ds_read_u16 v81, v79 offset:8
	ds_read_u16 v82, v79 offset:16
	;; [unrolled: 1-line block ×7, first 2 shown]
	ds_read2st64_b64 v[18:21], v77 offset0:4 offset1:6
	ds_read2st64_b64 v[22:25], v77 offset0:8 offset1:10
	;; [unrolled: 1-line block ×7, first 2 shown]
	ds_read_u16 v88, v79 offset:64
	ds_read_u16 v89, v79 offset:72
	ds_read_u16 v90, v79 offset:80
	ds_read_u16 v91, v79 offset:88
	ds_read_u16 v92, v79 offset:96
	ds_read_u16 v93, v79 offset:104
	ds_read_u16 v94, v79 offset:112
	ds_read_u16 v95, v79 offset:120
	s_waitcnt lgkmcnt(0)
	s_barrier
	scratch_store_dword off, v1, off
	scratch_store_dwordx3 off, v[10:12], off offset:4
	flat_load_dwordx4 v[66:69], v[66:67]
	v_cndmask_b32_e32 v27, v30, v27, vcc
	v_cndmask_b32_e32 v26, v70, v26, vcc
	scratch_store_dword off, v1, off
	scratch_store_dwordx3 off, v[10:12], off offset:4
	v_cmp_gt_i32_e32 vcc, s2, v73
	s_waitcnt vmcnt(0) lgkmcnt(0)
	ds_write_b128 v71, v[66:69]
	flat_load_dwordx4 v[66:69], v[26:27]
	v_lshl_add_u64 v[26:27], s[8:9], 0, v[44:45]
	v_lshl_add_u64 v[26:27], v[26:27], 0, v[0:1]
	v_cndmask_b32_e32 v27, v30, v27, vcc
	v_cndmask_b32_e32 v26, v70, v26, vcc
	scratch_store_dword off, v1, off
	scratch_store_dwordx3 off, v[10:12], off offset:4
	v_cmp_gt_i32_e32 vcc, s2, v75
	v_mul_u32_u24_e32 v44, 0x10001, v86
	v_mul_u32_u24_e32 v45, 0x10001, v87
	s_waitcnt vmcnt(0) lgkmcnt(0)
	ds_write_b128 v74, v[66:69]
	flat_load_dwordx4 v[66:69], v[26:27]
	v_lshl_add_u64 v[26:27], s[8:9], 0, v[56:57]
	v_lshl_add_u64 v[26:27], v[26:27], 0, v[0:1]
	v_cndmask_b32_e32 v27, v30, v27, vcc
	v_cndmask_b32_e32 v26, v70, v26, vcc
	scratch_store_dword off, v1, off
	scratch_store_dwordx3 off, v[10:12], off offset:4
	v_sub_f32_e32 v0, v32, v9
	v_mul_f32_e32 v1, 0x3fb8aa3b, v0
	v_cmp_ngt_f32_e32 vcc, s6, v0
	v_mul_u32_u24_e32 v30, 0x10001, v83
	v_mul_u32_u24_e32 v32, 0x10001, v84
	;; [unrolled: 1-line block ×5, first 2 shown]
	s_waitcnt vmcnt(0) lgkmcnt(0)
	ds_write_b128 v76, v[66:69]
	flat_load_dwordx4 v[10:13], v[26:27]
	v_fma_f32 v26, v0, s4, -v1
	v_rndne_f32_e32 v27, v1
	v_fmac_f32_e32 v26, 0x32a5705f, v0
	v_sub_f32_e32 v1, v1, v27
	v_add_f32_e32 v1, v1, v26
	v_cvt_i32_f32_e32 v27, v27
	v_exp_f32_e32 v1, v1
	v_mul_u32_u24_e32 v26, 0x10001, v81
	v_mul_u32_u24_e32 v66, 0x10001, v91
	;; [unrolled: 1-line block ×3, first 2 shown]
	v_ldexp_f32 v1, v1, v27
	v_cndmask_b32_e32 v1, 0, v1, vcc
	v_cmp_nlt_f32_e32 vcc, s7, v0
	v_mul_u32_u24_e32 v27, 0x10001, v82
	v_mul_u32_u24_e32 v68, 0x10001, v93
	v_cndmask_b32_e32 v0, v34, v1, vcc
	v_cvt_f16_f32_e32 v1, v0
	v_fma_f32 v47, v47, v0, v46
	v_mul_u32_u24_e32 v34, 0x10001, v85
	v_mul_u32_u24_e32 v46, 0x10001, v88
	;; [unrolled: 1-line block ×4, first 2 shown]
	v_pk_mul_f16 v14, v14, v1
	v_pk_mul_f16 v1, v15, v1
	v_pk_fma_f16 v14, v28, v0, v14
	v_pk_fma_f16 v0, v29, v0, v1
	;; [unrolled: 1-line block ×26, first 2 shown]
	v_mul_u32_u24_e32 v69, 0x10001, v94
	v_pk_fma_f16 v1, v54, v68, v1
	v_pk_fma_f16 v0, v55, v68, v0
	;; [unrolled: 1-line block ×6, first 2 shown]
	s_waitcnt vmcnt(0) lgkmcnt(0)
	ds_write_b128 v78, v[10:13]
	s_waitcnt lgkmcnt(0)
	s_barrier
	ds_read2st64_b64 v[10:13], v77 offset1:2
	ds_read_u16 v30, v79 offset:128
	ds_read_u16 v32, v79 offset:136
	;; [unrolled: 1-line block ×8, first 2 shown]
	ds_read2st64_b64 v[14:17], v77 offset0:4 offset1:6
	ds_read2st64_b64 v[18:21], v77 offset0:8 offset1:10
	;; [unrolled: 1-line block ×7, first 2 shown]
	ds_read_u16 v54, v79 offset:192
	ds_read_u16 v55, v79 offset:200
	;; [unrolled: 1-line block ×8, first 2 shown]
	s_waitcnt lgkmcnt(14)
	v_mul_u32_u24_e32 v30, 0x10001, v30
	v_mul_u32_u24_e32 v32, 0x10001, v32
	v_pk_fma_f16 v1, v10, v30, v1
	v_pk_fma_f16 v0, v11, v30, v0
	v_mul_u32_u24_e32 v34, 0x10001, v34
	v_pk_fma_f16 v1, v12, v32, v1
	v_pk_fma_f16 v0, v13, v32, v0
	;; [unrolled: 3-line block ×4, first 2 shown]
	v_mul_u32_u24_e32 v46, 0x10001, v46
	s_waitcnt lgkmcnt(13)
	v_pk_fma_f16 v1, v18, v45, v1
	v_pk_fma_f16 v0, v19, v45, v0
	v_mul_u32_u24_e32 v52, 0x10001, v52
	v_pk_fma_f16 v1, v20, v46, v1
	v_pk_fma_f16 v0, v21, v46, v0
	v_mul_u32_u24_e32 v53, 0x10001, v53
	s_waitcnt lgkmcnt(12)
	v_pk_fma_f16 v1, v22, v52, v1
	v_pk_fma_f16 v0, v23, v52, v0
	s_waitcnt lgkmcnt(7)
	v_mul_u32_u24_e32 v54, 0x10001, v54
	v_pk_fma_f16 v1, v24, v53, v1
	v_pk_fma_f16 v0, v25, v53, v0
	s_waitcnt lgkmcnt(6)
	v_mul_u32_u24_e32 v55, 0x10001, v55
	;; [unrolled: 4-line block ×8, first 2 shown]
	v_pk_fma_f16 v1, v48, v64, v1
	v_pk_fma_f16 v0, v49, v64, v0
	v_pk_fma_f16 v28, v50, v65, v1
	v_pk_fma_f16 v29, v51, v65, v0
	v_mov_b32_e32 v32, v9
	s_barrier
.LBB91_37:
	v_cmp_lt_i32_e32 vcc, v4, v3
	v_cmp_ne_u32_e64 s[4:5], 0, v33
	s_nop 0
	v_cndmask_b32_e32 v0, v2, v4, vcc
	v_lshlrev_b32_e32 v0, 2, v0
	ds_bpermute_b32 v0, v0, v47
	v_cmp_lt_i32_e32 vcc, v5, v3
	s_waitcnt lgkmcnt(0)
	v_add_f32_e32 v0, v47, v0
	v_cndmask_b32_e32 v1, v2, v5, vcc
	v_lshlrev_b32_e32 v1, 2, v1
	ds_bpermute_b32 v1, v1, v0
	v_cmp_lt_i32_e32 vcc, v6, v3
	s_waitcnt lgkmcnt(0)
	v_add_f32_e32 v0, v0, v1
	;; [unrolled: 6-line block ×4, first 2 shown]
	v_cndmask_b32_e32 v2, v2, v8, vcc
	v_lshlrev_b32_e32 v2, 2, v2
	ds_bpermute_b32 v1, v2, v0
	v_cmp_eq_u32_e32 vcc, 0, v33
	s_waitcnt lgkmcnt(0)
	v_add_f32_e32 v33, v0, v1
	v_lshl_add_u32 v0, v59, 8, v60
	s_and_saveexec_b64 s[6:7], s[4:5]
	s_xor_b64 s[6:7], exec, s[6:7]
	s_cbranch_execnz .LBB91_41
; %bb.38:
	s_andn2_saveexec_b64 s[4:5], s[6:7]
	s_cbranch_execnz .LBB91_44
.LBB91_39:
	s_or_b64 exec, exec, s[4:5]
	s_and_saveexec_b64 s[4:5], vcc
	s_cbranch_execnz .LBB91_45
.LBB91_40:
	s_endpgm
.LBB91_41:
	v_cmp_eq_u32_e64 s[4:5], 0, v31
	ds_write_b64 v0, v[28:29]
	s_and_saveexec_b64 s[8:9], s[4:5]
; %bb.42:
	ds_write_b32 v61, v33 offset:18944
; %bb.43:
	s_or_b64 exec, exec, s[8:9]
                                        ; implicit-def: $vgpr0
                                        ; implicit-def: $vgpr61
	s_andn2_saveexec_b64 s[4:5], s[6:7]
	s_cbranch_execz .LBB91_39
.LBB91_44:
	v_add_u32_e32 v1, 0x4a04, v61
	s_waitcnt lgkmcnt(0)
	s_barrier
	ds_read2_b64 v[2:5], v0 offset0:32 offset1:64
	ds_read2_b32 v[6:7], v1 offset1:1
	ds_read_b64 v[0:1], v0 offset:768
	ds_read_b32 v8, v61 offset:18956
	s_waitcnt lgkmcnt(3)
	v_pk_add_f16 v2, v2, v28
	v_pk_add_f16 v3, v3, v29
	s_waitcnt lgkmcnt(2)
	v_add_f32_e32 v6, v33, v6
	v_pk_add_f16 v2, v4, v2
	v_pk_add_f16 v3, v5, v3
	v_add_f32_e32 v4, v6, v7
	s_waitcnt lgkmcnt(1)
	v_pk_add_f16 v28, v0, v2
	v_pk_add_f16 v29, v1, v3
	s_waitcnt lgkmcnt(0)
	v_add_f32_e32 v33, v4, v8
	s_or_b64 exec, exec, s[4:5]
	s_and_saveexec_b64 s[4:5], vcc
	s_cbranch_execz .LBB91_40
.LBB91_45:
	s_cmp_eq_u64 s[16:17], 0
	s_cselect_b64 s[4:5], -1, 0
	s_cmp_lg_u32 s3, 0
	s_cselect_b64 s[6:7], -1, 0
	s_or_b64 s[4:5], s[6:7], s[4:5]
	s_and_b64 vcc, exec, s[4:5]
	s_cbranch_vccnz .LBB91_47
; %bb.46:
	s_lshl_b64 s[4:5], s[34:35], 2
	s_add_u32 s4, s16, s4
	s_addc_u32 s5, s17, s5
	v_mov_b32_e32 v0, 0
	global_load_dword v1, v0, s[4:5]
	v_max_f32_e32 v0, v32, v32
	s_mov_b32 s2, 0x3fb8aa3b
	s_mov_b32 s4, 0xc2ce8ed0
	s_waitcnt vmcnt(0)
	v_max_f32_e32 v2, v1, v1
	v_max_f32_e32 v0, v0, v2
	v_sub_f32_e32 v2, v32, v0
	v_sub_f32_e32 v1, v1, v0
	v_mul_f32_e32 v3, 0x3fb8aa3b, v2
	v_mul_f32_e32 v4, 0x3fb8aa3b, v1
	v_fma_f32 v5, v2, s2, -v3
	v_rndne_f32_e32 v6, v3
	v_fma_f32 v7, v1, s2, -v4
	v_rndne_f32_e32 v8, v4
	v_fmac_f32_e32 v5, 0x32a5705f, v2
	v_sub_f32_e32 v3, v3, v6
	v_fmac_f32_e32 v7, 0x32a5705f, v1
	v_sub_f32_e32 v4, v4, v8
	v_add_f32_e32 v3, v3, v5
	v_cvt_i32_f32_e32 v6, v6
	v_add_f32_e32 v4, v4, v7
	v_exp_f32_e32 v3, v3
	v_cvt_i32_f32_e32 v8, v8
	v_exp_f32_e32 v4, v4
	v_cmp_ngt_f32_e32 vcc, s4, v2
	v_ldexp_f32 v3, v3, v6
	s_mov_b32 s2, 0x42b17218
	v_ldexp_f32 v4, v4, v8
	v_cndmask_b32_e32 v3, 0, v3, vcc
	v_cmp_ngt_f32_e32 vcc, s4, v1
	v_mov_b32_e32 v5, 0x7f800000
	s_nop 0
	v_cndmask_b32_e32 v4, 0, v4, vcc
	v_cmp_nlt_f32_e32 vcc, s2, v2
	s_nop 1
	v_cndmask_b32_e32 v2, v5, v3, vcc
	v_cvt_f16_f32_e32 v3, v2
	v_cmp_nlt_f32_e32 vcc, s2, v1
	s_nop 1
	v_cndmask_b32_e32 v1, v5, v4, vcc
	v_fmac_f32_e32 v1, v33, v2
	v_mul_u32_u24_e32 v2, 0x10001, v3
	v_pk_mul_f16 v28, v28, v2
	v_pk_mul_f16 v29, v29, v2
	v_mov_b64_e32 v[32:33], v[0:1]
	v_cmp_gt_i32_e32 vcc, s26, v58
	s_and_b64 exec, exec, vcc
	s_cbranch_execz .LBB91_40
	s_branch .LBB91_48
.LBB91_47:
	v_mov_b32_e32 v1, v33
	v_cmp_gt_i32_e32 vcc, s26, v58
	s_and_b64 exec, exec, vcc
	s_cbranch_execz .LBB91_40
.LBB91_48:
	s_load_dword s2, s[0:1], 0xd4
	v_div_scale_f32 v0, s[0:1], v1, v1, 1.0
	v_rcp_f32_e32 v4, v0
	s_mul_i32 s33, s33, s26
	s_waitcnt lgkmcnt(0)
	s_cmp_lg_u32 s2, 1
	s_cselect_b64 s[0:1], -1, 0
	v_fma_f32 v5, -v0, v4, 1.0
	v_fmac_f32_e32 v4, v5, v4
	v_div_scale_f32 v5, vcc, 1.0, v1, 1.0
	v_mul_f32_e32 v6, v5, v4
	v_fma_f32 v7, -v0, v6, v5
	v_fmac_f32_e32 v6, v7, v4
	v_fma_f32 v0, -v0, v6, v5
	v_div_fmas_f32 v0, v0, v4, v6
	v_div_fixup_f32 v0, v0, v1, 1.0
	v_cndmask_b32_e64 v4, v0, 1.0, s[0:1]
	v_add_u32_e32 v0, s33, v58
	v_mul_lo_u32 v0, v0, s27
	v_add_u32_e32 v0, s34, v0
	v_mul_lo_u32 v0, s2, v0
	v_add_u32_e32 v0, s3, v0
	v_mov_b32_e32 v2, s20
	v_mov_b32_e32 v3, s21
	v_lshl_add_u32 v6, v0, 7, v35
	v_mov_b32_e32 v7, 0
	v_lshl_add_u64 v[6:7], v[6:7], 2, v[2:3]
	v_cvt_f32_f16_sdwa v3, v28 dst_sel:DWORD dst_unused:UNUSED_PAD src0_sel:WORD_1
	v_cvt_f32_f16_e32 v2, v28
	v_cvt_f32_f16_sdwa v9, v29 dst_sel:DWORD dst_unused:UNUSED_PAD src0_sel:WORD_1
	v_cvt_f32_f16_e32 v8, v29
	v_cmp_eq_u32_e32 vcc, 0, v31
	s_and_b64 s[0:1], vcc, s[0:1]
	v_pk_mul_f32 v[2:3], v[4:5], v[2:3] op_sel_hi:[0,1]
	v_pk_mul_f32 v[4:5], v[4:5], v[8:9] op_sel_hi:[0,1]
	global_store_dwordx4 v[6:7], v[2:5], off
	s_and_b64 exec, exec, s[0:1]
	s_cbranch_execz .LBB91_40
; %bb.49:
	v_mov_b32_e32 v2, s22
	v_mov_b32_e32 v3, s23
	v_ashrrev_i32_e32 v1, 31, v0
	v_lshl_add_u64 v[0:1], v[0:1], 3, v[2:3]
	global_store_dwordx2 v[0:1], v[32:33], off
	s_endpgm
	.section	.rodata,"a",@progbits
	.p2align	6, 0x0
	.amdhsa_kernel _ZL15flash_attn_tileILi128ELi128ELi2ELi1ELb1EEvPKcS1_S1_S1_S1_PKiPfP15HIP_vector_typeIfLj2EEffffjfiS5_IjLj3EEiiiiiiiiiiiliiliiiiil
		.amdhsa_group_segment_fixed_size 19520
		.amdhsa_private_segment_fixed_size 32
		.amdhsa_kernarg_size 464
		.amdhsa_user_sgpr_count 2
		.amdhsa_user_sgpr_dispatch_ptr 0
		.amdhsa_user_sgpr_queue_ptr 0
		.amdhsa_user_sgpr_kernarg_segment_ptr 1
		.amdhsa_user_sgpr_dispatch_id 0
		.amdhsa_user_sgpr_kernarg_preload_length 0
		.amdhsa_user_sgpr_kernarg_preload_offset 0
		.amdhsa_user_sgpr_private_segment_size 0
		.amdhsa_uses_dynamic_stack 0
		.amdhsa_enable_private_segment 1
		.amdhsa_system_sgpr_workgroup_id_x 1
		.amdhsa_system_sgpr_workgroup_id_y 1
		.amdhsa_system_sgpr_workgroup_id_z 1
		.amdhsa_system_sgpr_workgroup_info 0
		.amdhsa_system_vgpr_workitem_id 1
		.amdhsa_next_free_vgpr 123
		.amdhsa_next_free_sgpr 48
		.amdhsa_accum_offset 124
		.amdhsa_reserve_vcc 1
		.amdhsa_float_round_mode_32 0
		.amdhsa_float_round_mode_16_64 0
		.amdhsa_float_denorm_mode_32 3
		.amdhsa_float_denorm_mode_16_64 3
		.amdhsa_dx10_clamp 1
		.amdhsa_ieee_mode 1
		.amdhsa_fp16_overflow 0
		.amdhsa_tg_split 0
		.amdhsa_exception_fp_ieee_invalid_op 0
		.amdhsa_exception_fp_denorm_src 0
		.amdhsa_exception_fp_ieee_div_zero 0
		.amdhsa_exception_fp_ieee_overflow 0
		.amdhsa_exception_fp_ieee_underflow 0
		.amdhsa_exception_fp_ieee_inexact 0
		.amdhsa_exception_int_div_zero 0
	.end_amdhsa_kernel
	.section	.text._ZL15flash_attn_tileILi128ELi128ELi2ELi1ELb1EEvPKcS1_S1_S1_S1_PKiPfP15HIP_vector_typeIfLj2EEffffjfiS5_IjLj3EEiiiiiiiiiiiliiliiiiil,"axG",@progbits,_ZL15flash_attn_tileILi128ELi128ELi2ELi1ELb1EEvPKcS1_S1_S1_S1_PKiPfP15HIP_vector_typeIfLj2EEffffjfiS5_IjLj3EEiiiiiiiiiiiliiliiiiil,comdat
.Lfunc_end91:
	.size	_ZL15flash_attn_tileILi128ELi128ELi2ELi1ELb1EEvPKcS1_S1_S1_S1_PKiPfP15HIP_vector_typeIfLj2EEffffjfiS5_IjLj3EEiiiiiiiiiiiliiliiiiil, .Lfunc_end91-_ZL15flash_attn_tileILi128ELi128ELi2ELi1ELb1EEvPKcS1_S1_S1_S1_PKiPfP15HIP_vector_typeIfLj2EEffffjfiS5_IjLj3EEiiiiiiiiiiiliiliiiiil
                                        ; -- End function
	.set _ZL15flash_attn_tileILi128ELi128ELi2ELi1ELb1EEvPKcS1_S1_S1_S1_PKiPfP15HIP_vector_typeIfLj2EEffffjfiS5_IjLj3EEiiiiiiiiiiiliiliiiiil.num_vgpr, 123
	.set _ZL15flash_attn_tileILi128ELi128ELi2ELi1ELb1EEvPKcS1_S1_S1_S1_PKiPfP15HIP_vector_typeIfLj2EEffffjfiS5_IjLj3EEiiiiiiiiiiiliiliiiiil.num_agpr, 0
	.set _ZL15flash_attn_tileILi128ELi128ELi2ELi1ELb1EEvPKcS1_S1_S1_S1_PKiPfP15HIP_vector_typeIfLj2EEffffjfiS5_IjLj3EEiiiiiiiiiiiliiliiiiil.numbered_sgpr, 48
	.set _ZL15flash_attn_tileILi128ELi128ELi2ELi1ELb1EEvPKcS1_S1_S1_S1_PKiPfP15HIP_vector_typeIfLj2EEffffjfiS5_IjLj3EEiiiiiiiiiiiliiliiiiil.num_named_barrier, 0
	.set _ZL15flash_attn_tileILi128ELi128ELi2ELi1ELb1EEvPKcS1_S1_S1_S1_PKiPfP15HIP_vector_typeIfLj2EEffffjfiS5_IjLj3EEiiiiiiiiiiiliiliiiiil.private_seg_size, 32
	.set _ZL15flash_attn_tileILi128ELi128ELi2ELi1ELb1EEvPKcS1_S1_S1_S1_PKiPfP15HIP_vector_typeIfLj2EEffffjfiS5_IjLj3EEiiiiiiiiiiiliiliiiiil.uses_vcc, 1
	.set _ZL15flash_attn_tileILi128ELi128ELi2ELi1ELb1EEvPKcS1_S1_S1_S1_PKiPfP15HIP_vector_typeIfLj2EEffffjfiS5_IjLj3EEiiiiiiiiiiiliiliiiiil.uses_flat_scratch, 0
	.set _ZL15flash_attn_tileILi128ELi128ELi2ELi1ELb1EEvPKcS1_S1_S1_S1_PKiPfP15HIP_vector_typeIfLj2EEffffjfiS5_IjLj3EEiiiiiiiiiiiliiliiiiil.has_dyn_sized_stack, 0
	.set _ZL15flash_attn_tileILi128ELi128ELi2ELi1ELb1EEvPKcS1_S1_S1_S1_PKiPfP15HIP_vector_typeIfLj2EEffffjfiS5_IjLj3EEiiiiiiiiiiiliiliiiiil.has_recursion, 0
	.set _ZL15flash_attn_tileILi128ELi128ELi2ELi1ELb1EEvPKcS1_S1_S1_S1_PKiPfP15HIP_vector_typeIfLj2EEffffjfiS5_IjLj3EEiiiiiiiiiiiliiliiiiil.has_indirect_call, 0
	.section	.AMDGPU.csdata,"",@progbits
; Kernel info:
; codeLenInByte = 13204
; TotalNumSgprs: 54
; NumVgprs: 123
; NumAgprs: 0
; TotalNumVgprs: 123
; ScratchSize: 32
; MemoryBound: 0
; FloatMode: 240
; IeeeMode: 1
; LDSByteSize: 19520 bytes/workgroup (compile time only)
; SGPRBlocks: 6
; VGPRBlocks: 15
; NumSGPRsForWavesPerEU: 54
; NumVGPRsForWavesPerEU: 123
; AccumOffset: 124
; Occupancy: 4
; WaveLimiterHint : 1
; COMPUTE_PGM_RSRC2:SCRATCH_EN: 1
; COMPUTE_PGM_RSRC2:USER_SGPR: 2
; COMPUTE_PGM_RSRC2:TRAP_HANDLER: 0
; COMPUTE_PGM_RSRC2:TGID_X_EN: 1
; COMPUTE_PGM_RSRC2:TGID_Y_EN: 1
; COMPUTE_PGM_RSRC2:TGID_Z_EN: 1
; COMPUTE_PGM_RSRC2:TIDIG_COMP_CNT: 1
; COMPUTE_PGM_RSRC3_GFX90A:ACCUM_OFFSET: 30
; COMPUTE_PGM_RSRC3_GFX90A:TG_SPLIT: 0
	.section	.AMDGPU.gpr_maximums,"",@progbits
	.set amdgpu.max_num_vgpr, 0
	.set amdgpu.max_num_agpr, 0
	.set amdgpu.max_num_sgpr, 0
	.section	.AMDGPU.csdata,"",@progbits
	.type	__hip_cuid_d8dbe05d3f4b949d,@object ; @__hip_cuid_d8dbe05d3f4b949d
	.section	.bss,"aw",@nobits
	.globl	__hip_cuid_d8dbe05d3f4b949d
__hip_cuid_d8dbe05d3f4b949d:
	.byte	0                               ; 0x0
	.size	__hip_cuid_d8dbe05d3f4b949d, 1

	.ident	"AMD clang version 22.0.0git (https://github.com/RadeonOpenCompute/llvm-project roc-7.2.4 26084 f58b06dce1f9c15707c5f808fd002e18c2accf7e)"
	.section	".note.GNU-stack","",@progbits
	.addrsig
	.addrsig_sym __hip_cuid_d8dbe05d3f4b949d
	.amdgpu_metadata
---
amdhsa.kernels:
  - .agpr_count:     0
    .args:
      - .address_space:  global
        .offset:         0
        .size:           8
        .value_kind:     global_buffer
      - .address_space:  global
        .offset:         8
        .size:           8
        .value_kind:     global_buffer
      - .address_space:  global
        .offset:         16
        .size:           8
        .value_kind:     global_buffer
      - .address_space:  global
        .offset:         24
        .size:           8
        .value_kind:     global_buffer
      - .address_space:  global
        .offset:         32
        .size:           8
        .value_kind:     global_buffer
      - .address_space:  global
        .offset:         40
        .size:           8
        .value_kind:     global_buffer
      - .address_space:  global
        .offset:         48
        .size:           8
        .value_kind:     global_buffer
      - .address_space:  global
        .offset:         56
        .size:           8
        .value_kind:     global_buffer
      - .offset:         64
        .size:           4
        .value_kind:     by_value
      - .offset:         68
        .size:           4
        .value_kind:     by_value
      - .offset:         72
        .size:           4
        .value_kind:     by_value
      - .offset:         76
        .size:           4
        .value_kind:     by_value
      - .offset:         80
        .size:           4
        .value_kind:     by_value
      - .offset:         84
        .size:           4
        .value_kind:     by_value
      - .offset:         88
        .size:           4
        .value_kind:     by_value
      - .offset:         92
        .size:           12
        .value_kind:     by_value
      - .offset:         104
        .size:           4
        .value_kind:     by_value
      - .offset:         108
        .size:           4
        .value_kind:     by_value
      - .offset:         112
        .size:           4
        .value_kind:     by_value
      - .offset:         116
        .size:           4
        .value_kind:     by_value
      - .offset:         120
        .size:           4
        .value_kind:     by_value
      - .offset:         124
        .size:           4
        .value_kind:     by_value
      - .offset:         128
        .size:           4
        .value_kind:     by_value
      - .offset:         132
        .size:           4
        .value_kind:     by_value
      - .offset:         136
        .size:           4
        .value_kind:     by_value
      - .offset:         140
        .size:           4
        .value_kind:     by_value
      - .offset:         144
        .size:           4
        .value_kind:     by_value
      - .offset:         152
        .size:           8
        .value_kind:     by_value
      - .offset:         160
        .size:           4
        .value_kind:     by_value
      - .offset:         164
        .size:           4
        .value_kind:     by_value
      - .offset:         168
        .size:           8
        .value_kind:     by_value
      - .offset:         176
        .size:           4
        .value_kind:     by_value
      - .offset:         180
        .size:           4
        .value_kind:     by_value
      - .offset:         184
        .size:           4
        .value_kind:     by_value
      - .offset:         188
        .size:           4
        .value_kind:     by_value
      - .offset:         192
        .size:           4
        .value_kind:     by_value
      - .offset:         200
        .size:           8
        .value_kind:     by_value
      - .offset:         208
        .size:           4
        .value_kind:     hidden_block_count_x
      - .offset:         212
        .size:           4
        .value_kind:     hidden_block_count_y
      - .offset:         216
        .size:           4
        .value_kind:     hidden_block_count_z
      - .offset:         220
        .size:           2
        .value_kind:     hidden_group_size_x
      - .offset:         222
        .size:           2
        .value_kind:     hidden_group_size_y
      - .offset:         224
        .size:           2
        .value_kind:     hidden_group_size_z
      - .offset:         226
        .size:           2
        .value_kind:     hidden_remainder_x
      - .offset:         228
        .size:           2
        .value_kind:     hidden_remainder_y
      - .offset:         230
        .size:           2
        .value_kind:     hidden_remainder_z
      - .offset:         248
        .size:           8
        .value_kind:     hidden_global_offset_x
      - .offset:         256
        .size:           8
        .value_kind:     hidden_global_offset_y
      - .offset:         264
        .size:           8
        .value_kind:     hidden_global_offset_z
      - .offset:         272
        .size:           2
        .value_kind:     hidden_grid_dims
    .group_segment_fixed_size: 29696
    .kernarg_segment_align: 8
    .kernarg_segment_size: 464
    .language:       OpenCL C
    .language_version:
      - 2
      - 0
    .max_flat_workgroup_size: 256
    .name:           _ZL15flash_attn_tileILi128ELi128ELi8ELi8ELb0EEvPKcS1_S1_S1_S1_PKiPfP15HIP_vector_typeIfLj2EEffffjfiS5_IjLj3EEiiiiiiiiiiiliiliiiiil
    .private_segment_fixed_size: 0
    .sgpr_count:     96
    .sgpr_spill_count: 0
    .symbol:         _ZL15flash_attn_tileILi128ELi128ELi8ELi8ELb0EEvPKcS1_S1_S1_S1_PKiPfP15HIP_vector_typeIfLj2EEffffjfiS5_IjLj3EEiiiiiiiiiiiliiliiiiil.kd
    .uniform_work_group_size: 1
    .uses_dynamic_stack: false
    .vgpr_count:     120
    .vgpr_spill_count: 0
    .wavefront_size: 64
  - .agpr_count:     0
    .args:
      - .actual_access:  read_only
        .address_space:  global
        .offset:         0
        .size:           8
        .value_kind:     global_buffer
      - .actual_access:  write_only
        .address_space:  global
        .offset:         8
        .size:           8
        .value_kind:     global_buffer
      - .offset:         16
        .size:           4
        .value_kind:     by_value
      - .offset:         20
        .size:           4
        .value_kind:     by_value
      - .offset:         24
        .size:           4
        .value_kind:     by_value
      - .offset:         32
        .size:           4
        .value_kind:     hidden_block_count_x
      - .offset:         36
        .size:           4
        .value_kind:     hidden_block_count_y
      - .offset:         40
        .size:           4
        .value_kind:     hidden_block_count_z
      - .offset:         44
        .size:           2
        .value_kind:     hidden_group_size_x
      - .offset:         46
        .size:           2
        .value_kind:     hidden_group_size_y
      - .offset:         48
        .size:           2
        .value_kind:     hidden_group_size_z
      - .offset:         50
        .size:           2
        .value_kind:     hidden_remainder_x
      - .offset:         52
        .size:           2
        .value_kind:     hidden_remainder_y
      - .offset:         54
        .size:           2
        .value_kind:     hidden_remainder_z
      - .offset:         72
        .size:           8
        .value_kind:     hidden_global_offset_x
      - .offset:         80
        .size:           8
        .value_kind:     hidden_global_offset_y
      - .offset:         88
        .size:           8
        .value_kind:     hidden_global_offset_z
      - .offset:         96
        .size:           2
        .value_kind:     hidden_grid_dims
    .group_segment_fixed_size: 128
    .kernarg_segment_align: 8
    .kernarg_segment_size: 288
    .language:       OpenCL C
    .language_version:
      - 2
      - 0
    .max_flat_workgroup_size: 128
    .name:           _ZL25flash_attn_mask_to_KV_maxILi8EEvPK7__half2Piiii
    .private_segment_fixed_size: 0
    .sgpr_count:     52
    .sgpr_spill_count: 0
    .symbol:         _ZL25flash_attn_mask_to_KV_maxILi8EEvPK7__half2Piiii.kd
    .uniform_work_group_size: 1
    .uses_dynamic_stack: false
    .vgpr_count:     12
    .vgpr_spill_count: 0
    .wavefront_size: 64
  - .agpr_count:     0
    .args:
      - .address_space:  global
        .offset:         0
        .size:           8
        .value_kind:     global_buffer
      - .address_space:  global
        .offset:         8
        .size:           8
        .value_kind:     global_buffer
      - .offset:         16
        .size:           4
        .value_kind:     by_value
      - .offset:         20
        .size:           4
        .value_kind:     by_value
      - .offset:         24
        .size:           4
        .value_kind:     by_value
      - .offset:         28
        .size:           4
        .value_kind:     by_value
      - .offset:         32
        .size:           4
        .value_kind:     by_value
      - .offset:         36
        .size:           4
        .value_kind:     by_value
      - .offset:         40
        .size:           12
        .value_kind:     by_value
      - .offset:         52
        .size:           12
        .value_kind:     by_value
      - .offset:         64
        .size:           12
        .value_kind:     by_value
    .group_segment_fixed_size: 0
    .kernarg_segment_align: 8
    .kernarg_segment_size: 76
    .language:       OpenCL C
    .language_version:
      - 2
      - 0
    .max_flat_workgroup_size: 128
    .name:           _ZL33flash_attn_stream_k_fixup_uniformILi128ELi8ELi8EEvPfPK15HIP_vector_typeIfLj2EEiiiiiiS1_IjLj3EES5_S5_
    .private_segment_fixed_size: 0
    .sgpr_count:     30
    .sgpr_spill_count: 0
    .symbol:         _ZL33flash_attn_stream_k_fixup_uniformILi128ELi8ELi8EEvPfPK15HIP_vector_typeIfLj2EEiiiiiiS1_IjLj3EES5_S5_.kd
    .uniform_work_group_size: 1
    .uses_dynamic_stack: false
    .vgpr_count:     17
    .vgpr_spill_count: 0
    .wavefront_size: 64
  - .agpr_count:     0
    .args:
      - .address_space:  global
        .offset:         0
        .size:           8
        .value_kind:     global_buffer
      - .address_space:  global
        .offset:         8
        .size:           8
        .value_kind:     global_buffer
      - .offset:         16
        .size:           4
        .value_kind:     by_value
      - .offset:         20
        .size:           4
        .value_kind:     by_value
      - .offset:         24
        .size:           4
        .value_kind:     by_value
      - .offset:         28
        .size:           4
        .value_kind:     by_value
      - .offset:         32
        .size:           12
        .value_kind:     by_value
      - .offset:         44
        .size:           12
        .value_kind:     by_value
      - .offset:         56
        .size:           12
        .value_kind:     by_value
      - .offset:         68
        .size:           12
        .value_kind:     by_value
      - .offset:         80
        .size:           4
        .value_kind:     hidden_block_count_x
      - .offset:         84
        .size:           4
        .value_kind:     hidden_block_count_y
      - .offset:         88
        .size:           4
        .value_kind:     hidden_block_count_z
      - .offset:         92
        .size:           2
        .value_kind:     hidden_group_size_x
      - .offset:         94
        .size:           2
        .value_kind:     hidden_group_size_y
      - .offset:         96
        .size:           2
        .value_kind:     hidden_group_size_z
      - .offset:         98
        .size:           2
        .value_kind:     hidden_remainder_x
      - .offset:         100
        .size:           2
        .value_kind:     hidden_remainder_y
      - .offset:         102
        .size:           2
        .value_kind:     hidden_remainder_z
      - .offset:         120
        .size:           8
        .value_kind:     hidden_global_offset_x
      - .offset:         128
        .size:           8
        .value_kind:     hidden_global_offset_y
      - .offset:         136
        .size:           8
        .value_kind:     hidden_global_offset_z
      - .offset:         144
        .size:           2
        .value_kind:     hidden_grid_dims
    .group_segment_fixed_size: 0
    .kernarg_segment_align: 8
    .kernarg_segment_size: 336
    .language:       OpenCL C
    .language_version:
      - 2
      - 0
    .max_flat_workgroup_size: 128
    .name:           _ZL33flash_attn_stream_k_fixup_generalILi128ELi8ELi8EEvPfPK15HIP_vector_typeIfLj2EEiiiiS1_IjLj3EES5_S5_S5_
    .private_segment_fixed_size: 0
    .sgpr_count:     42
    .sgpr_spill_count: 0
    .symbol:         _ZL33flash_attn_stream_k_fixup_generalILi128ELi8ELi8EEvPfPK15HIP_vector_typeIfLj2EEiiiiS1_IjLj3EES5_S5_S5_.kd
    .uniform_work_group_size: 1
    .uses_dynamic_stack: false
    .vgpr_count:     18
    .vgpr_spill_count: 0
    .wavefront_size: 64
  - .agpr_count:     0
    .args:
      - .address_space:  global
        .offset:         0
        .size:           8
        .value_kind:     global_buffer
      - .address_space:  global
        .offset:         8
        .size:           8
        .value_kind:     global_buffer
      - .address_space:  global
        .offset:         16
        .size:           8
        .value_kind:     global_buffer
      - .offset:         24
        .size:           4
        .value_kind:     by_value
      - .offset:         32
        .size:           4
        .value_kind:     hidden_block_count_x
      - .offset:         36
        .size:           4
        .value_kind:     hidden_block_count_y
      - .offset:         40
        .size:           4
        .value_kind:     hidden_block_count_z
      - .offset:         44
        .size:           2
        .value_kind:     hidden_group_size_x
      - .offset:         46
        .size:           2
        .value_kind:     hidden_group_size_y
      - .offset:         48
        .size:           2
        .value_kind:     hidden_group_size_z
      - .offset:         50
        .size:           2
        .value_kind:     hidden_remainder_x
      - .offset:         52
        .size:           2
        .value_kind:     hidden_remainder_y
      - .offset:         54
        .size:           2
        .value_kind:     hidden_remainder_z
      - .offset:         72
        .size:           8
        .value_kind:     hidden_global_offset_x
      - .offset:         80
        .size:           8
        .value_kind:     hidden_global_offset_y
      - .offset:         88
        .size:           8
        .value_kind:     hidden_global_offset_z
      - .offset:         96
        .size:           2
        .value_kind:     hidden_grid_dims
      - .offset:         152
        .size:           4
        .value_kind:     hidden_dynamic_lds_size
    .group_segment_fixed_size: 0
    .kernarg_segment_align: 8
    .kernarg_segment_size: 288
    .language:       OpenCL C
    .language_version:
      - 2
      - 0
    .max_flat_workgroup_size: 128
    .name:           _ZL26flash_attn_combine_resultsILi128EEvPKfPK15HIP_vector_typeIfLj2EEPfi
    .private_segment_fixed_size: 0
    .sgpr_count:     32
    .sgpr_spill_count: 0
    .symbol:         _ZL26flash_attn_combine_resultsILi128EEvPKfPK15HIP_vector_typeIfLj2EEPfi.kd
    .uniform_work_group_size: 1
    .uses_dynamic_stack: false
    .vgpr_count:     59
    .vgpr_spill_count: 0
    .wavefront_size: 64
  - .agpr_count:     0
    .args:
      - .address_space:  global
        .offset:         0
        .size:           8
        .value_kind:     global_buffer
      - .address_space:  global
        .offset:         8
        .size:           8
        .value_kind:     global_buffer
      - .address_space:  global
        .offset:         16
        .size:           8
        .value_kind:     global_buffer
      - .address_space:  global
        .offset:         24
        .size:           8
        .value_kind:     global_buffer
      - .address_space:  global
        .offset:         32
        .size:           8
        .value_kind:     global_buffer
      - .address_space:  global
        .offset:         40
        .size:           8
        .value_kind:     global_buffer
      - .address_space:  global
        .offset:         48
        .size:           8
        .value_kind:     global_buffer
      - .address_space:  global
        .offset:         56
        .size:           8
        .value_kind:     global_buffer
      - .offset:         64
        .size:           4
        .value_kind:     by_value
      - .offset:         68
        .size:           4
        .value_kind:     by_value
      - .offset:         72
        .size:           4
        .value_kind:     by_value
      - .offset:         76
        .size:           4
        .value_kind:     by_value
      - .offset:         80
        .size:           4
        .value_kind:     by_value
      - .offset:         84
        .size:           4
        .value_kind:     by_value
      - .offset:         88
        .size:           4
        .value_kind:     by_value
      - .offset:         92
        .size:           12
        .value_kind:     by_value
      - .offset:         104
        .size:           4
        .value_kind:     by_value
      - .offset:         108
        .size:           4
        .value_kind:     by_value
      - .offset:         112
        .size:           4
        .value_kind:     by_value
      - .offset:         116
        .size:           4
        .value_kind:     by_value
      - .offset:         120
        .size:           4
        .value_kind:     by_value
      - .offset:         124
        .size:           4
        .value_kind:     by_value
      - .offset:         128
        .size:           4
        .value_kind:     by_value
      - .offset:         132
        .size:           4
        .value_kind:     by_value
      - .offset:         136
        .size:           4
        .value_kind:     by_value
      - .offset:         140
        .size:           4
        .value_kind:     by_value
      - .offset:         144
        .size:           4
        .value_kind:     by_value
      - .offset:         152
        .size:           8
        .value_kind:     by_value
      - .offset:         160
        .size:           4
        .value_kind:     by_value
      - .offset:         164
        .size:           4
        .value_kind:     by_value
      - .offset:         168
        .size:           8
        .value_kind:     by_value
      - .offset:         176
        .size:           4
        .value_kind:     by_value
      - .offset:         180
        .size:           4
        .value_kind:     by_value
      - .offset:         184
        .size:           4
        .value_kind:     by_value
      - .offset:         188
        .size:           4
        .value_kind:     by_value
      - .offset:         192
        .size:           4
        .value_kind:     by_value
      - .offset:         200
        .size:           8
        .value_kind:     by_value
      - .offset:         208
        .size:           4
        .value_kind:     hidden_block_count_x
      - .offset:         212
        .size:           4
        .value_kind:     hidden_block_count_y
      - .offset:         216
        .size:           4
        .value_kind:     hidden_block_count_z
      - .offset:         220
        .size:           2
        .value_kind:     hidden_group_size_x
      - .offset:         222
        .size:           2
        .value_kind:     hidden_group_size_y
      - .offset:         224
        .size:           2
        .value_kind:     hidden_group_size_z
      - .offset:         226
        .size:           2
        .value_kind:     hidden_remainder_x
      - .offset:         228
        .size:           2
        .value_kind:     hidden_remainder_y
      - .offset:         230
        .size:           2
        .value_kind:     hidden_remainder_z
      - .offset:         248
        .size:           8
        .value_kind:     hidden_global_offset_x
      - .offset:         256
        .size:           8
        .value_kind:     hidden_global_offset_y
      - .offset:         264
        .size:           8
        .value_kind:     hidden_global_offset_z
      - .offset:         272
        .size:           2
        .value_kind:     hidden_grid_dims
    .group_segment_fixed_size: 21504
    .kernarg_segment_align: 8
    .kernarg_segment_size: 464
    .language:       OpenCL C
    .language_version:
      - 2
      - 0
    .max_flat_workgroup_size: 256
    .name:           _ZL15flash_attn_tileILi128ELi128ELi4ELi8ELb0EEvPKcS1_S1_S1_S1_PKiPfP15HIP_vector_typeIfLj2EEffffjfiS5_IjLj3EEiiiiiiiiiiiliiliiiiil
    .private_segment_fixed_size: 0
    .sgpr_count:     50
    .sgpr_spill_count: 0
    .symbol:         _ZL15flash_attn_tileILi128ELi128ELi4ELi8ELb0EEvPKcS1_S1_S1_S1_PKiPfP15HIP_vector_typeIfLj2EEffffjfiS5_IjLj3EEiiiiiiiiiiiliiliiiiil.kd
    .uniform_work_group_size: 1
    .uses_dynamic_stack: false
    .vgpr_count:     115
    .vgpr_spill_count: 0
    .wavefront_size: 64
  - .agpr_count:     0
    .args:
      - .actual_access:  read_only
        .address_space:  global
        .offset:         0
        .size:           8
        .value_kind:     global_buffer
      - .actual_access:  write_only
        .address_space:  global
        .offset:         8
        .size:           8
        .value_kind:     global_buffer
      - .offset:         16
        .size:           4
        .value_kind:     by_value
      - .offset:         20
        .size:           4
        .value_kind:     by_value
      - .offset:         24
        .size:           4
        .value_kind:     by_value
      - .offset:         32
        .size:           4
        .value_kind:     hidden_block_count_x
      - .offset:         36
        .size:           4
        .value_kind:     hidden_block_count_y
      - .offset:         40
        .size:           4
        .value_kind:     hidden_block_count_z
      - .offset:         44
        .size:           2
        .value_kind:     hidden_group_size_x
      - .offset:         46
        .size:           2
        .value_kind:     hidden_group_size_y
      - .offset:         48
        .size:           2
        .value_kind:     hidden_group_size_z
      - .offset:         50
        .size:           2
        .value_kind:     hidden_remainder_x
      - .offset:         52
        .size:           2
        .value_kind:     hidden_remainder_y
      - .offset:         54
        .size:           2
        .value_kind:     hidden_remainder_z
      - .offset:         72
        .size:           8
        .value_kind:     hidden_global_offset_x
      - .offset:         80
        .size:           8
        .value_kind:     hidden_global_offset_y
      - .offset:         88
        .size:           8
        .value_kind:     hidden_global_offset_z
      - .offset:         96
        .size:           2
        .value_kind:     hidden_grid_dims
    .group_segment_fixed_size: 128
    .kernarg_segment_align: 8
    .kernarg_segment_size: 288
    .language:       OpenCL C
    .language_version:
      - 2
      - 0
    .max_flat_workgroup_size: 128
    .name:           _ZL25flash_attn_mask_to_KV_maxILi4EEvPK7__half2Piiii
    .private_segment_fixed_size: 0
    .sgpr_count:     36
    .sgpr_spill_count: 0
    .symbol:         _ZL25flash_attn_mask_to_KV_maxILi4EEvPK7__half2Piiii.kd
    .uniform_work_group_size: 1
    .uses_dynamic_stack: false
    .vgpr_count:     17
    .vgpr_spill_count: 0
    .wavefront_size: 64
  - .agpr_count:     0
    .args:
      - .address_space:  global
        .offset:         0
        .size:           8
        .value_kind:     global_buffer
      - .address_space:  global
        .offset:         8
        .size:           8
        .value_kind:     global_buffer
      - .offset:         16
        .size:           4
        .value_kind:     by_value
      - .offset:         20
        .size:           4
        .value_kind:     by_value
      - .offset:         24
        .size:           4
        .value_kind:     by_value
      - .offset:         28
        .size:           4
        .value_kind:     by_value
      - .offset:         32
        .size:           4
        .value_kind:     by_value
      - .offset:         36
        .size:           4
        .value_kind:     by_value
      - .offset:         40
        .size:           12
        .value_kind:     by_value
      - .offset:         52
        .size:           12
        .value_kind:     by_value
      - .offset:         64
        .size:           12
        .value_kind:     by_value
    .group_segment_fixed_size: 0
    .kernarg_segment_align: 8
    .kernarg_segment_size: 76
    .language:       OpenCL C
    .language_version:
      - 2
      - 0
    .max_flat_workgroup_size: 128
    .name:           _ZL33flash_attn_stream_k_fixup_uniformILi128ELi4ELi8EEvPfPK15HIP_vector_typeIfLj2EEiiiiiiS1_IjLj3EES5_S5_
    .private_segment_fixed_size: 0
    .sgpr_count:     30
    .sgpr_spill_count: 0
    .symbol:         _ZL33flash_attn_stream_k_fixup_uniformILi128ELi4ELi8EEvPfPK15HIP_vector_typeIfLj2EEiiiiiiS1_IjLj3EES5_S5_.kd
    .uniform_work_group_size: 1
    .uses_dynamic_stack: false
    .vgpr_count:     17
    .vgpr_spill_count: 0
    .wavefront_size: 64
  - .agpr_count:     0
    .args:
      - .address_space:  global
        .offset:         0
        .size:           8
        .value_kind:     global_buffer
      - .address_space:  global
        .offset:         8
        .size:           8
        .value_kind:     global_buffer
      - .offset:         16
        .size:           4
        .value_kind:     by_value
      - .offset:         20
        .size:           4
        .value_kind:     by_value
      - .offset:         24
        .size:           4
        .value_kind:     by_value
      - .offset:         28
        .size:           4
        .value_kind:     by_value
      - .offset:         32
        .size:           12
        .value_kind:     by_value
      - .offset:         44
        .size:           12
        .value_kind:     by_value
      - .offset:         56
        .size:           12
        .value_kind:     by_value
      - .offset:         68
        .size:           12
        .value_kind:     by_value
      - .offset:         80
        .size:           4
        .value_kind:     hidden_block_count_x
      - .offset:         84
        .size:           4
        .value_kind:     hidden_block_count_y
      - .offset:         88
        .size:           4
        .value_kind:     hidden_block_count_z
      - .offset:         92
        .size:           2
        .value_kind:     hidden_group_size_x
      - .offset:         94
        .size:           2
        .value_kind:     hidden_group_size_y
      - .offset:         96
        .size:           2
        .value_kind:     hidden_group_size_z
      - .offset:         98
        .size:           2
        .value_kind:     hidden_remainder_x
      - .offset:         100
        .size:           2
        .value_kind:     hidden_remainder_y
      - .offset:         102
        .size:           2
        .value_kind:     hidden_remainder_z
      - .offset:         120
        .size:           8
        .value_kind:     hidden_global_offset_x
      - .offset:         128
        .size:           8
        .value_kind:     hidden_global_offset_y
      - .offset:         136
        .size:           8
        .value_kind:     hidden_global_offset_z
      - .offset:         144
        .size:           2
        .value_kind:     hidden_grid_dims
    .group_segment_fixed_size: 0
    .kernarg_segment_align: 8
    .kernarg_segment_size: 336
    .language:       OpenCL C
    .language_version:
      - 2
      - 0
    .max_flat_workgroup_size: 128
    .name:           _ZL33flash_attn_stream_k_fixup_generalILi128ELi4ELi8EEvPfPK15HIP_vector_typeIfLj2EEiiiiS1_IjLj3EES5_S5_S5_
    .private_segment_fixed_size: 0
    .sgpr_count:     42
    .sgpr_spill_count: 0
    .symbol:         _ZL33flash_attn_stream_k_fixup_generalILi128ELi4ELi8EEvPfPK15HIP_vector_typeIfLj2EEiiiiS1_IjLj3EES5_S5_S5_.kd
    .uniform_work_group_size: 1
    .uses_dynamic_stack: false
    .vgpr_count:     18
    .vgpr_spill_count: 0
    .wavefront_size: 64
  - .agpr_count:     0
    .args:
      - .address_space:  global
        .offset:         0
        .size:           8
        .value_kind:     global_buffer
      - .address_space:  global
        .offset:         8
        .size:           8
        .value_kind:     global_buffer
      - .address_space:  global
        .offset:         16
        .size:           8
        .value_kind:     global_buffer
      - .address_space:  global
        .offset:         24
        .size:           8
        .value_kind:     global_buffer
      - .address_space:  global
        .offset:         32
        .size:           8
        .value_kind:     global_buffer
      - .address_space:  global
        .offset:         40
        .size:           8
        .value_kind:     global_buffer
      - .address_space:  global
        .offset:         48
        .size:           8
        .value_kind:     global_buffer
      - .address_space:  global
        .offset:         56
        .size:           8
        .value_kind:     global_buffer
      - .offset:         64
        .size:           4
        .value_kind:     by_value
      - .offset:         68
        .size:           4
        .value_kind:     by_value
      - .offset:         72
        .size:           4
        .value_kind:     by_value
      - .offset:         76
        .size:           4
        .value_kind:     by_value
      - .offset:         80
        .size:           4
        .value_kind:     by_value
      - .offset:         84
        .size:           4
        .value_kind:     by_value
      - .offset:         88
        .size:           4
        .value_kind:     by_value
      - .offset:         92
        .size:           12
        .value_kind:     by_value
      - .offset:         104
        .size:           4
        .value_kind:     by_value
      - .offset:         108
        .size:           4
        .value_kind:     by_value
      - .offset:         112
        .size:           4
        .value_kind:     by_value
      - .offset:         116
        .size:           4
        .value_kind:     by_value
      - .offset:         120
        .size:           4
        .value_kind:     by_value
      - .offset:         124
        .size:           4
        .value_kind:     by_value
      - .offset:         128
        .size:           4
        .value_kind:     by_value
      - .offset:         132
        .size:           4
        .value_kind:     by_value
      - .offset:         136
        .size:           4
        .value_kind:     by_value
      - .offset:         140
        .size:           4
        .value_kind:     by_value
      - .offset:         144
        .size:           4
        .value_kind:     by_value
      - .offset:         152
        .size:           8
        .value_kind:     by_value
      - .offset:         160
        .size:           4
        .value_kind:     by_value
      - .offset:         164
        .size:           4
        .value_kind:     by_value
      - .offset:         168
        .size:           8
        .value_kind:     by_value
      - .offset:         176
        .size:           4
        .value_kind:     by_value
      - .offset:         180
        .size:           4
        .value_kind:     by_value
      - .offset:         184
        .size:           4
        .value_kind:     by_value
      - .offset:         188
        .size:           4
        .value_kind:     by_value
      - .offset:         192
        .size:           4
        .value_kind:     by_value
      - .offset:         200
        .size:           8
        .value_kind:     by_value
      - .offset:         208
        .size:           4
        .value_kind:     hidden_block_count_x
      - .offset:         212
        .size:           4
        .value_kind:     hidden_block_count_y
      - .offset:         216
        .size:           4
        .value_kind:     hidden_block_count_z
      - .offset:         220
        .size:           2
        .value_kind:     hidden_group_size_x
      - .offset:         222
        .size:           2
        .value_kind:     hidden_group_size_y
      - .offset:         224
        .size:           2
        .value_kind:     hidden_group_size_z
      - .offset:         226
        .size:           2
        .value_kind:     hidden_remainder_x
      - .offset:         228
        .size:           2
        .value_kind:     hidden_remainder_y
      - .offset:         230
        .size:           2
        .value_kind:     hidden_remainder_z
      - .offset:         248
        .size:           8
        .value_kind:     hidden_global_offset_x
      - .offset:         256
        .size:           8
        .value_kind:     hidden_global_offset_y
      - .offset:         264
        .size:           8
        .value_kind:     hidden_global_offset_z
      - .offset:         272
        .size:           2
        .value_kind:     hidden_grid_dims
    .group_segment_fixed_size: 23552
    .kernarg_segment_align: 8
    .kernarg_segment_size: 464
    .language:       OpenCL C
    .language_version:
      - 2
      - 0
    .max_flat_workgroup_size: 256
    .name:           _ZL15flash_attn_tileILi128ELi128ELi2ELi8ELb0EEvPKcS1_S1_S1_S1_PKiPfP15HIP_vector_typeIfLj2EEffffjfiS5_IjLj3EEiiiiiiiiiiiliiliiiiil
    .private_segment_fixed_size: 0
    .sgpr_count:     50
    .sgpr_spill_count: 0
    .symbol:         _ZL15flash_attn_tileILi128ELi128ELi2ELi8ELb0EEvPKcS1_S1_S1_S1_PKiPfP15HIP_vector_typeIfLj2EEffffjfiS5_IjLj3EEiiiiiiiiiiiliiliiiiil.kd
    .uniform_work_group_size: 1
    .uses_dynamic_stack: false
    .vgpr_count:     88
    .vgpr_spill_count: 0
    .wavefront_size: 64
  - .agpr_count:     0
    .args:
      - .actual_access:  read_only
        .address_space:  global
        .offset:         0
        .size:           8
        .value_kind:     global_buffer
      - .actual_access:  write_only
        .address_space:  global
        .offset:         8
        .size:           8
        .value_kind:     global_buffer
      - .offset:         16
        .size:           4
        .value_kind:     by_value
      - .offset:         20
        .size:           4
        .value_kind:     by_value
      - .offset:         24
        .size:           4
        .value_kind:     by_value
      - .offset:         32
        .size:           4
        .value_kind:     hidden_block_count_x
      - .offset:         36
        .size:           4
        .value_kind:     hidden_block_count_y
      - .offset:         40
        .size:           4
        .value_kind:     hidden_block_count_z
      - .offset:         44
        .size:           2
        .value_kind:     hidden_group_size_x
      - .offset:         46
        .size:           2
        .value_kind:     hidden_group_size_y
      - .offset:         48
        .size:           2
        .value_kind:     hidden_group_size_z
      - .offset:         50
        .size:           2
        .value_kind:     hidden_remainder_x
      - .offset:         52
        .size:           2
        .value_kind:     hidden_remainder_y
      - .offset:         54
        .size:           2
        .value_kind:     hidden_remainder_z
      - .offset:         72
        .size:           8
        .value_kind:     hidden_global_offset_x
      - .offset:         80
        .size:           8
        .value_kind:     hidden_global_offset_y
      - .offset:         88
        .size:           8
        .value_kind:     hidden_global_offset_z
      - .offset:         96
        .size:           2
        .value_kind:     hidden_grid_dims
    .group_segment_fixed_size: 128
    .kernarg_segment_align: 8
    .kernarg_segment_size: 288
    .language:       OpenCL C
    .language_version:
      - 2
      - 0
    .max_flat_workgroup_size: 128
    .name:           _ZL25flash_attn_mask_to_KV_maxILi2EEvPK7__half2Piiii
    .private_segment_fixed_size: 0
    .sgpr_count:     28
    .sgpr_spill_count: 0
    .symbol:         _ZL25flash_attn_mask_to_KV_maxILi2EEvPK7__half2Piiii.kd
    .uniform_work_group_size: 1
    .uses_dynamic_stack: false
    .vgpr_count:     17
    .vgpr_spill_count: 0
    .wavefront_size: 64
  - .agpr_count:     0
    .args:
      - .address_space:  global
        .offset:         0
        .size:           8
        .value_kind:     global_buffer
      - .address_space:  global
        .offset:         8
        .size:           8
        .value_kind:     global_buffer
      - .offset:         16
        .size:           4
        .value_kind:     by_value
      - .offset:         20
        .size:           4
        .value_kind:     by_value
      - .offset:         24
        .size:           4
        .value_kind:     by_value
      - .offset:         28
        .size:           4
        .value_kind:     by_value
      - .offset:         32
        .size:           4
        .value_kind:     by_value
      - .offset:         36
        .size:           4
        .value_kind:     by_value
      - .offset:         40
        .size:           12
        .value_kind:     by_value
      - .offset:         52
        .size:           12
        .value_kind:     by_value
      - .offset:         64
        .size:           12
        .value_kind:     by_value
    .group_segment_fixed_size: 0
    .kernarg_segment_align: 8
    .kernarg_segment_size: 76
    .language:       OpenCL C
    .language_version:
      - 2
      - 0
    .max_flat_workgroup_size: 128
    .name:           _ZL33flash_attn_stream_k_fixup_uniformILi128ELi2ELi8EEvPfPK15HIP_vector_typeIfLj2EEiiiiiiS1_IjLj3EES5_S5_
    .private_segment_fixed_size: 0
    .sgpr_count:     30
    .sgpr_spill_count: 0
    .symbol:         _ZL33flash_attn_stream_k_fixup_uniformILi128ELi2ELi8EEvPfPK15HIP_vector_typeIfLj2EEiiiiiiS1_IjLj3EES5_S5_.kd
    .uniform_work_group_size: 1
    .uses_dynamic_stack: false
    .vgpr_count:     17
    .vgpr_spill_count: 0
    .wavefront_size: 64
  - .agpr_count:     0
    .args:
      - .address_space:  global
        .offset:         0
        .size:           8
        .value_kind:     global_buffer
      - .address_space:  global
        .offset:         8
        .size:           8
        .value_kind:     global_buffer
      - .offset:         16
        .size:           4
        .value_kind:     by_value
      - .offset:         20
        .size:           4
        .value_kind:     by_value
      - .offset:         24
        .size:           4
        .value_kind:     by_value
      - .offset:         28
        .size:           4
        .value_kind:     by_value
      - .offset:         32
        .size:           12
        .value_kind:     by_value
      - .offset:         44
        .size:           12
        .value_kind:     by_value
      - .offset:         56
        .size:           12
        .value_kind:     by_value
      - .offset:         68
        .size:           12
        .value_kind:     by_value
      - .offset:         80
        .size:           4
        .value_kind:     hidden_block_count_x
      - .offset:         84
        .size:           4
        .value_kind:     hidden_block_count_y
      - .offset:         88
        .size:           4
        .value_kind:     hidden_block_count_z
      - .offset:         92
        .size:           2
        .value_kind:     hidden_group_size_x
      - .offset:         94
        .size:           2
        .value_kind:     hidden_group_size_y
      - .offset:         96
        .size:           2
        .value_kind:     hidden_group_size_z
      - .offset:         98
        .size:           2
        .value_kind:     hidden_remainder_x
      - .offset:         100
        .size:           2
        .value_kind:     hidden_remainder_y
      - .offset:         102
        .size:           2
        .value_kind:     hidden_remainder_z
      - .offset:         120
        .size:           8
        .value_kind:     hidden_global_offset_x
      - .offset:         128
        .size:           8
        .value_kind:     hidden_global_offset_y
      - .offset:         136
        .size:           8
        .value_kind:     hidden_global_offset_z
      - .offset:         144
        .size:           2
        .value_kind:     hidden_grid_dims
    .group_segment_fixed_size: 0
    .kernarg_segment_align: 8
    .kernarg_segment_size: 336
    .language:       OpenCL C
    .language_version:
      - 2
      - 0
    .max_flat_workgroup_size: 128
    .name:           _ZL33flash_attn_stream_k_fixup_generalILi128ELi2ELi8EEvPfPK15HIP_vector_typeIfLj2EEiiiiS1_IjLj3EES5_S5_S5_
    .private_segment_fixed_size: 0
    .sgpr_count:     42
    .sgpr_spill_count: 0
    .symbol:         _ZL33flash_attn_stream_k_fixup_generalILi128ELi2ELi8EEvPfPK15HIP_vector_typeIfLj2EEiiiiS1_IjLj3EES5_S5_S5_.kd
    .uniform_work_group_size: 1
    .uses_dynamic_stack: false
    .vgpr_count:     18
    .vgpr_spill_count: 0
    .wavefront_size: 64
  - .agpr_count:     0
    .args:
      - .address_space:  global
        .offset:         0
        .size:           8
        .value_kind:     global_buffer
      - .address_space:  global
        .offset:         8
        .size:           8
        .value_kind:     global_buffer
      - .address_space:  global
        .offset:         16
        .size:           8
        .value_kind:     global_buffer
      - .address_space:  global
        .offset:         24
        .size:           8
        .value_kind:     global_buffer
      - .address_space:  global
        .offset:         32
        .size:           8
        .value_kind:     global_buffer
      - .address_space:  global
        .offset:         40
        .size:           8
        .value_kind:     global_buffer
      - .address_space:  global
        .offset:         48
        .size:           8
        .value_kind:     global_buffer
      - .address_space:  global
        .offset:         56
        .size:           8
        .value_kind:     global_buffer
      - .offset:         64
        .size:           4
        .value_kind:     by_value
      - .offset:         68
        .size:           4
        .value_kind:     by_value
      - .offset:         72
        .size:           4
        .value_kind:     by_value
      - .offset:         76
        .size:           4
        .value_kind:     by_value
      - .offset:         80
        .size:           4
        .value_kind:     by_value
      - .offset:         84
        .size:           4
        .value_kind:     by_value
      - .offset:         88
        .size:           4
        .value_kind:     by_value
      - .offset:         92
        .size:           12
        .value_kind:     by_value
      - .offset:         104
        .size:           4
        .value_kind:     by_value
      - .offset:         108
        .size:           4
        .value_kind:     by_value
      - .offset:         112
        .size:           4
        .value_kind:     by_value
      - .offset:         116
        .size:           4
        .value_kind:     by_value
      - .offset:         120
        .size:           4
        .value_kind:     by_value
      - .offset:         124
        .size:           4
        .value_kind:     by_value
      - .offset:         128
        .size:           4
        .value_kind:     by_value
      - .offset:         132
        .size:           4
        .value_kind:     by_value
      - .offset:         136
        .size:           4
        .value_kind:     by_value
      - .offset:         140
        .size:           4
        .value_kind:     by_value
      - .offset:         144
        .size:           4
        .value_kind:     by_value
      - .offset:         152
        .size:           8
        .value_kind:     by_value
      - .offset:         160
        .size:           4
        .value_kind:     by_value
      - .offset:         164
        .size:           4
        .value_kind:     by_value
      - .offset:         168
        .size:           8
        .value_kind:     by_value
      - .offset:         176
        .size:           4
        .value_kind:     by_value
      - .offset:         180
        .size:           4
        .value_kind:     by_value
      - .offset:         184
        .size:           4
        .value_kind:     by_value
      - .offset:         188
        .size:           4
        .value_kind:     by_value
      - .offset:         192
        .size:           4
        .value_kind:     by_value
      - .offset:         200
        .size:           8
        .value_kind:     by_value
      - .offset:         208
        .size:           4
        .value_kind:     hidden_block_count_x
      - .offset:         212
        .size:           4
        .value_kind:     hidden_block_count_y
      - .offset:         216
        .size:           4
        .value_kind:     hidden_block_count_z
      - .offset:         220
        .size:           2
        .value_kind:     hidden_group_size_x
      - .offset:         222
        .size:           2
        .value_kind:     hidden_group_size_y
      - .offset:         224
        .size:           2
        .value_kind:     hidden_group_size_z
      - .offset:         226
        .size:           2
        .value_kind:     hidden_remainder_x
      - .offset:         228
        .size:           2
        .value_kind:     hidden_remainder_y
      - .offset:         230
        .size:           2
        .value_kind:     hidden_remainder_z
      - .offset:         248
        .size:           8
        .value_kind:     hidden_global_offset_x
      - .offset:         256
        .size:           8
        .value_kind:     hidden_global_offset_y
      - .offset:         264
        .size:           8
        .value_kind:     hidden_global_offset_z
      - .offset:         272
        .size:           2
        .value_kind:     hidden_grid_dims
    .group_segment_fixed_size: 20480
    .kernarg_segment_align: 8
    .kernarg_segment_size: 464
    .language:       OpenCL C
    .language_version:
      - 2
      - 0
    .max_flat_workgroup_size: 256
    .name:           _ZL15flash_attn_tileILi128ELi128ELi1ELi8ELb0EEvPKcS1_S1_S1_S1_PKiPfP15HIP_vector_typeIfLj2EEffffjfiS5_IjLj3EEiiiiiiiiiiiliiliiiiil
    .private_segment_fixed_size: 0
    .sgpr_count:     45
    .sgpr_spill_count: 0
    .symbol:         _ZL15flash_attn_tileILi128ELi128ELi1ELi8ELb0EEvPKcS1_S1_S1_S1_PKiPfP15HIP_vector_typeIfLj2EEffffjfiS5_IjLj3EEiiiiiiiiiiiliiliiiiil.kd
    .uniform_work_group_size: 1
    .uses_dynamic_stack: false
    .vgpr_count:     76
    .vgpr_spill_count: 0
    .wavefront_size: 64
  - .agpr_count:     0
    .args:
      - .actual_access:  read_only
        .address_space:  global
        .offset:         0
        .size:           8
        .value_kind:     global_buffer
      - .actual_access:  write_only
        .address_space:  global
        .offset:         8
        .size:           8
        .value_kind:     global_buffer
      - .offset:         16
        .size:           4
        .value_kind:     by_value
      - .offset:         20
        .size:           4
        .value_kind:     by_value
      - .offset:         24
        .size:           4
        .value_kind:     by_value
      - .offset:         32
        .size:           4
        .value_kind:     hidden_block_count_x
      - .offset:         36
        .size:           4
        .value_kind:     hidden_block_count_y
      - .offset:         40
        .size:           4
        .value_kind:     hidden_block_count_z
      - .offset:         44
        .size:           2
        .value_kind:     hidden_group_size_x
      - .offset:         46
        .size:           2
        .value_kind:     hidden_group_size_y
      - .offset:         48
        .size:           2
        .value_kind:     hidden_group_size_z
      - .offset:         50
        .size:           2
        .value_kind:     hidden_remainder_x
      - .offset:         52
        .size:           2
        .value_kind:     hidden_remainder_y
      - .offset:         54
        .size:           2
        .value_kind:     hidden_remainder_z
      - .offset:         72
        .size:           8
        .value_kind:     hidden_global_offset_x
      - .offset:         80
        .size:           8
        .value_kind:     hidden_global_offset_y
      - .offset:         88
        .size:           8
        .value_kind:     hidden_global_offset_z
      - .offset:         96
        .size:           2
        .value_kind:     hidden_grid_dims
    .group_segment_fixed_size: 128
    .kernarg_segment_align: 8
    .kernarg_segment_size: 288
    .language:       OpenCL C
    .language_version:
      - 2
      - 0
    .max_flat_workgroup_size: 128
    .name:           _ZL25flash_attn_mask_to_KV_maxILi1EEvPK7__half2Piiii
    .private_segment_fixed_size: 0
    .sgpr_count:     26
    .sgpr_spill_count: 0
    .symbol:         _ZL25flash_attn_mask_to_KV_maxILi1EEvPK7__half2Piiii.kd
    .uniform_work_group_size: 1
    .uses_dynamic_stack: false
    .vgpr_count:     17
    .vgpr_spill_count: 0
    .wavefront_size: 64
  - .agpr_count:     0
    .args:
      - .address_space:  global
        .offset:         0
        .size:           8
        .value_kind:     global_buffer
      - .address_space:  global
        .offset:         8
        .size:           8
        .value_kind:     global_buffer
      - .offset:         16
        .size:           4
        .value_kind:     by_value
      - .offset:         20
        .size:           4
        .value_kind:     by_value
      - .offset:         24
        .size:           4
        .value_kind:     by_value
      - .offset:         28
        .size:           4
        .value_kind:     by_value
      - .offset:         32
        .size:           4
        .value_kind:     by_value
      - .offset:         36
        .size:           4
        .value_kind:     by_value
      - .offset:         40
        .size:           12
        .value_kind:     by_value
      - .offset:         52
        .size:           12
        .value_kind:     by_value
      - .offset:         64
        .size:           12
        .value_kind:     by_value
    .group_segment_fixed_size: 0
    .kernarg_segment_align: 8
    .kernarg_segment_size: 76
    .language:       OpenCL C
    .language_version:
      - 2
      - 0
    .max_flat_workgroup_size: 128
    .name:           _ZL33flash_attn_stream_k_fixup_uniformILi128ELi1ELi8EEvPfPK15HIP_vector_typeIfLj2EEiiiiiiS1_IjLj3EES5_S5_
    .private_segment_fixed_size: 0
    .sgpr_count:     26
    .sgpr_spill_count: 0
    .symbol:         _ZL33flash_attn_stream_k_fixup_uniformILi128ELi1ELi8EEvPfPK15HIP_vector_typeIfLj2EEiiiiiiS1_IjLj3EES5_S5_.kd
    .uniform_work_group_size: 1
    .uses_dynamic_stack: false
    .vgpr_count:     17
    .vgpr_spill_count: 0
    .wavefront_size: 64
  - .agpr_count:     0
    .args:
      - .address_space:  global
        .offset:         0
        .size:           8
        .value_kind:     global_buffer
      - .address_space:  global
        .offset:         8
        .size:           8
        .value_kind:     global_buffer
      - .offset:         16
        .size:           4
        .value_kind:     by_value
      - .offset:         20
        .size:           4
        .value_kind:     by_value
      - .offset:         24
        .size:           4
        .value_kind:     by_value
      - .offset:         28
        .size:           4
        .value_kind:     by_value
      - .offset:         32
        .size:           12
        .value_kind:     by_value
      - .offset:         44
        .size:           12
        .value_kind:     by_value
      - .offset:         56
        .size:           12
        .value_kind:     by_value
      - .offset:         68
        .size:           12
        .value_kind:     by_value
      - .offset:         80
        .size:           4
        .value_kind:     hidden_block_count_x
      - .offset:         84
        .size:           4
        .value_kind:     hidden_block_count_y
      - .offset:         88
        .size:           4
        .value_kind:     hidden_block_count_z
      - .offset:         92
        .size:           2
        .value_kind:     hidden_group_size_x
      - .offset:         94
        .size:           2
        .value_kind:     hidden_group_size_y
      - .offset:         96
        .size:           2
        .value_kind:     hidden_group_size_z
      - .offset:         98
        .size:           2
        .value_kind:     hidden_remainder_x
      - .offset:         100
        .size:           2
        .value_kind:     hidden_remainder_y
      - .offset:         102
        .size:           2
        .value_kind:     hidden_remainder_z
      - .offset:         120
        .size:           8
        .value_kind:     hidden_global_offset_x
      - .offset:         128
        .size:           8
        .value_kind:     hidden_global_offset_y
      - .offset:         136
        .size:           8
        .value_kind:     hidden_global_offset_z
      - .offset:         144
        .size:           2
        .value_kind:     hidden_grid_dims
    .group_segment_fixed_size: 0
    .kernarg_segment_align: 8
    .kernarg_segment_size: 336
    .language:       OpenCL C
    .language_version:
      - 2
      - 0
    .max_flat_workgroup_size: 128
    .name:           _ZL33flash_attn_stream_k_fixup_generalILi128ELi1ELi8EEvPfPK15HIP_vector_typeIfLj2EEiiiiS1_IjLj3EES5_S5_S5_
    .private_segment_fixed_size: 0
    .sgpr_count:     43
    .sgpr_spill_count: 0
    .symbol:         _ZL33flash_attn_stream_k_fixup_generalILi128ELi1ELi8EEvPfPK15HIP_vector_typeIfLj2EEiiiiS1_IjLj3EES5_S5_S5_.kd
    .uniform_work_group_size: 1
    .uses_dynamic_stack: false
    .vgpr_count:     18
    .vgpr_spill_count: 0
    .wavefront_size: 64
  - .agpr_count:     0
    .args:
      - .address_space:  global
        .offset:         0
        .size:           8
        .value_kind:     global_buffer
      - .address_space:  global
        .offset:         8
        .size:           8
        .value_kind:     global_buffer
      - .address_space:  global
        .offset:         16
        .size:           8
        .value_kind:     global_buffer
      - .address_space:  global
        .offset:         24
        .size:           8
        .value_kind:     global_buffer
      - .address_space:  global
        .offset:         32
        .size:           8
        .value_kind:     global_buffer
      - .address_space:  global
        .offset:         40
        .size:           8
        .value_kind:     global_buffer
      - .address_space:  global
        .offset:         48
        .size:           8
        .value_kind:     global_buffer
      - .address_space:  global
        .offset:         56
        .size:           8
        .value_kind:     global_buffer
      - .offset:         64
        .size:           4
        .value_kind:     by_value
      - .offset:         68
        .size:           4
        .value_kind:     by_value
      - .offset:         72
        .size:           4
        .value_kind:     by_value
      - .offset:         76
        .size:           4
        .value_kind:     by_value
      - .offset:         80
        .size:           4
        .value_kind:     by_value
      - .offset:         84
        .size:           4
        .value_kind:     by_value
      - .offset:         88
        .size:           4
        .value_kind:     by_value
      - .offset:         92
        .size:           12
        .value_kind:     by_value
      - .offset:         104
        .size:           4
        .value_kind:     by_value
      - .offset:         108
        .size:           4
        .value_kind:     by_value
      - .offset:         112
        .size:           4
        .value_kind:     by_value
      - .offset:         116
        .size:           4
        .value_kind:     by_value
      - .offset:         120
        .size:           4
        .value_kind:     by_value
      - .offset:         124
        .size:           4
        .value_kind:     by_value
      - .offset:         128
        .size:           4
        .value_kind:     by_value
      - .offset:         132
        .size:           4
        .value_kind:     by_value
      - .offset:         136
        .size:           4
        .value_kind:     by_value
      - .offset:         140
        .size:           4
        .value_kind:     by_value
      - .offset:         144
        .size:           4
        .value_kind:     by_value
      - .offset:         152
        .size:           8
        .value_kind:     by_value
      - .offset:         160
        .size:           4
        .value_kind:     by_value
      - .offset:         164
        .size:           4
        .value_kind:     by_value
      - .offset:         168
        .size:           8
        .value_kind:     by_value
      - .offset:         176
        .size:           4
        .value_kind:     by_value
      - .offset:         180
        .size:           4
        .value_kind:     by_value
      - .offset:         184
        .size:           4
        .value_kind:     by_value
      - .offset:         188
        .size:           4
        .value_kind:     by_value
      - .offset:         192
        .size:           4
        .value_kind:     by_value
      - .offset:         200
        .size:           8
        .value_kind:     by_value
      - .offset:         208
        .size:           4
        .value_kind:     hidden_block_count_x
      - .offset:         212
        .size:           4
        .value_kind:     hidden_block_count_y
      - .offset:         216
        .size:           4
        .value_kind:     hidden_block_count_z
      - .offset:         220
        .size:           2
        .value_kind:     hidden_group_size_x
      - .offset:         222
        .size:           2
        .value_kind:     hidden_group_size_y
      - .offset:         224
        .size:           2
        .value_kind:     hidden_group_size_z
      - .offset:         226
        .size:           2
        .value_kind:     hidden_remainder_x
      - .offset:         228
        .size:           2
        .value_kind:     hidden_remainder_y
      - .offset:         230
        .size:           2
        .value_kind:     hidden_remainder_z
      - .offset:         248
        .size:           8
        .value_kind:     hidden_global_offset_x
      - .offset:         256
        .size:           8
        .value_kind:     hidden_global_offset_y
      - .offset:         264
        .size:           8
        .value_kind:     hidden_global_offset_z
      - .offset:         272
        .size:           2
        .value_kind:     hidden_grid_dims
    .group_segment_fixed_size: 29696
    .kernarg_segment_align: 8
    .kernarg_segment_size: 464
    .language:       OpenCL C
    .language_version:
      - 2
      - 0
    .max_flat_workgroup_size: 256
    .name:           _ZL15flash_attn_tileILi128ELi128ELi16ELi4ELb0EEvPKcS1_S1_S1_S1_PKiPfP15HIP_vector_typeIfLj2EEffffjfiS5_IjLj3EEiiiiiiiiiiiliiliiiiil
    .private_segment_fixed_size: 0
    .sgpr_count:     54
    .sgpr_spill_count: 0
    .symbol:         _ZL15flash_attn_tileILi128ELi128ELi16ELi4ELb0EEvPKcS1_S1_S1_S1_PKiPfP15HIP_vector_typeIfLj2EEffffjfiS5_IjLj3EEiiiiiiiiiiiliiliiiiil.kd
    .uniform_work_group_size: 1
    .uses_dynamic_stack: false
    .vgpr_count:     148
    .vgpr_spill_count: 0
    .wavefront_size: 64
  - .agpr_count:     0
    .args:
      - .actual_access:  read_only
        .address_space:  global
        .offset:         0
        .size:           8
        .value_kind:     global_buffer
      - .actual_access:  write_only
        .address_space:  global
        .offset:         8
        .size:           8
        .value_kind:     global_buffer
      - .offset:         16
        .size:           4
        .value_kind:     by_value
      - .offset:         20
        .size:           4
        .value_kind:     by_value
      - .offset:         24
        .size:           4
        .value_kind:     by_value
      - .offset:         32
        .size:           4
        .value_kind:     hidden_block_count_x
      - .offset:         36
        .size:           4
        .value_kind:     hidden_block_count_y
      - .offset:         40
        .size:           4
        .value_kind:     hidden_block_count_z
      - .offset:         44
        .size:           2
        .value_kind:     hidden_group_size_x
      - .offset:         46
        .size:           2
        .value_kind:     hidden_group_size_y
      - .offset:         48
        .size:           2
        .value_kind:     hidden_group_size_z
      - .offset:         50
        .size:           2
        .value_kind:     hidden_remainder_x
      - .offset:         52
        .size:           2
        .value_kind:     hidden_remainder_y
      - .offset:         54
        .size:           2
        .value_kind:     hidden_remainder_z
      - .offset:         72
        .size:           8
        .value_kind:     hidden_global_offset_x
      - .offset:         80
        .size:           8
        .value_kind:     hidden_global_offset_y
      - .offset:         88
        .size:           8
        .value_kind:     hidden_global_offset_z
      - .offset:         96
        .size:           2
        .value_kind:     hidden_grid_dims
    .group_segment_fixed_size: 128
    .kernarg_segment_align: 8
    .kernarg_segment_size: 288
    .language:       OpenCL C
    .language_version:
      - 2
      - 0
    .max_flat_workgroup_size: 128
    .name:           _ZL25flash_attn_mask_to_KV_maxILi16EEvPK7__half2Piiii
    .private_segment_fixed_size: 0
    .sgpr_count:     84
    .sgpr_spill_count: 0
    .symbol:         _ZL25flash_attn_mask_to_KV_maxILi16EEvPK7__half2Piiii.kd
    .uniform_work_group_size: 1
    .uses_dynamic_stack: false
    .vgpr_count:     12
    .vgpr_spill_count: 0
    .wavefront_size: 64
  - .agpr_count:     0
    .args:
      - .address_space:  global
        .offset:         0
        .size:           8
        .value_kind:     global_buffer
      - .address_space:  global
        .offset:         8
        .size:           8
        .value_kind:     global_buffer
      - .offset:         16
        .size:           4
        .value_kind:     by_value
      - .offset:         20
        .size:           4
        .value_kind:     by_value
      - .offset:         24
        .size:           4
        .value_kind:     by_value
      - .offset:         28
        .size:           4
        .value_kind:     by_value
      - .offset:         32
        .size:           4
        .value_kind:     by_value
      - .offset:         36
        .size:           4
        .value_kind:     by_value
      - .offset:         40
        .size:           12
        .value_kind:     by_value
      - .offset:         52
        .size:           12
        .value_kind:     by_value
      - .offset:         64
        .size:           12
        .value_kind:     by_value
    .group_segment_fixed_size: 0
    .kernarg_segment_align: 8
    .kernarg_segment_size: 76
    .language:       OpenCL C
    .language_version:
      - 2
      - 0
    .max_flat_workgroup_size: 128
    .name:           _ZL33flash_attn_stream_k_fixup_uniformILi128ELi16ELi4EEvPfPK15HIP_vector_typeIfLj2EEiiiiiiS1_IjLj3EES5_S5_
    .private_segment_fixed_size: 0
    .sgpr_count:     30
    .sgpr_spill_count: 0
    .symbol:         _ZL33flash_attn_stream_k_fixup_uniformILi128ELi16ELi4EEvPfPK15HIP_vector_typeIfLj2EEiiiiiiS1_IjLj3EES5_S5_.kd
    .uniform_work_group_size: 1
    .uses_dynamic_stack: false
    .vgpr_count:     17
    .vgpr_spill_count: 0
    .wavefront_size: 64
  - .agpr_count:     0
    .args:
      - .address_space:  global
        .offset:         0
        .size:           8
        .value_kind:     global_buffer
      - .address_space:  global
        .offset:         8
        .size:           8
        .value_kind:     global_buffer
      - .offset:         16
        .size:           4
        .value_kind:     by_value
      - .offset:         20
        .size:           4
        .value_kind:     by_value
      - .offset:         24
        .size:           4
        .value_kind:     by_value
      - .offset:         28
        .size:           4
        .value_kind:     by_value
      - .offset:         32
        .size:           12
        .value_kind:     by_value
      - .offset:         44
        .size:           12
        .value_kind:     by_value
      - .offset:         56
        .size:           12
        .value_kind:     by_value
      - .offset:         68
        .size:           12
        .value_kind:     by_value
      - .offset:         80
        .size:           4
        .value_kind:     hidden_block_count_x
      - .offset:         84
        .size:           4
        .value_kind:     hidden_block_count_y
      - .offset:         88
        .size:           4
        .value_kind:     hidden_block_count_z
      - .offset:         92
        .size:           2
        .value_kind:     hidden_group_size_x
      - .offset:         94
        .size:           2
        .value_kind:     hidden_group_size_y
      - .offset:         96
        .size:           2
        .value_kind:     hidden_group_size_z
      - .offset:         98
        .size:           2
        .value_kind:     hidden_remainder_x
      - .offset:         100
        .size:           2
        .value_kind:     hidden_remainder_y
      - .offset:         102
        .size:           2
        .value_kind:     hidden_remainder_z
      - .offset:         120
        .size:           8
        .value_kind:     hidden_global_offset_x
      - .offset:         128
        .size:           8
        .value_kind:     hidden_global_offset_y
      - .offset:         136
        .size:           8
        .value_kind:     hidden_global_offset_z
      - .offset:         144
        .size:           2
        .value_kind:     hidden_grid_dims
    .group_segment_fixed_size: 0
    .kernarg_segment_align: 8
    .kernarg_segment_size: 336
    .language:       OpenCL C
    .language_version:
      - 2
      - 0
    .max_flat_workgroup_size: 128
    .name:           _ZL33flash_attn_stream_k_fixup_generalILi128ELi16ELi4EEvPfPK15HIP_vector_typeIfLj2EEiiiiS1_IjLj3EES5_S5_S5_
    .private_segment_fixed_size: 0
    .sgpr_count:     42
    .sgpr_spill_count: 0
    .symbol:         _ZL33flash_attn_stream_k_fixup_generalILi128ELi16ELi4EEvPfPK15HIP_vector_typeIfLj2EEiiiiS1_IjLj3EES5_S5_S5_.kd
    .uniform_work_group_size: 1
    .uses_dynamic_stack: false
    .vgpr_count:     18
    .vgpr_spill_count: 0
    .wavefront_size: 64
  - .agpr_count:     0
    .args:
      - .address_space:  global
        .offset:         0
        .size:           8
        .value_kind:     global_buffer
      - .address_space:  global
        .offset:         8
        .size:           8
        .value_kind:     global_buffer
      - .address_space:  global
        .offset:         16
        .size:           8
        .value_kind:     global_buffer
      - .address_space:  global
        .offset:         24
        .size:           8
        .value_kind:     global_buffer
      - .address_space:  global
        .offset:         32
        .size:           8
        .value_kind:     global_buffer
      - .address_space:  global
        .offset:         40
        .size:           8
        .value_kind:     global_buffer
      - .address_space:  global
        .offset:         48
        .size:           8
        .value_kind:     global_buffer
      - .address_space:  global
        .offset:         56
        .size:           8
        .value_kind:     global_buffer
      - .offset:         64
        .size:           4
        .value_kind:     by_value
      - .offset:         68
        .size:           4
        .value_kind:     by_value
      - .offset:         72
        .size:           4
        .value_kind:     by_value
      - .offset:         76
        .size:           4
        .value_kind:     by_value
      - .offset:         80
        .size:           4
        .value_kind:     by_value
      - .offset:         84
        .size:           4
        .value_kind:     by_value
      - .offset:         88
        .size:           4
        .value_kind:     by_value
      - .offset:         92
        .size:           12
        .value_kind:     by_value
      - .offset:         104
        .size:           4
        .value_kind:     by_value
      - .offset:         108
        .size:           4
        .value_kind:     by_value
      - .offset:         112
        .size:           4
        .value_kind:     by_value
      - .offset:         116
        .size:           4
        .value_kind:     by_value
      - .offset:         120
        .size:           4
        .value_kind:     by_value
      - .offset:         124
        .size:           4
        .value_kind:     by_value
      - .offset:         128
        .size:           4
        .value_kind:     by_value
      - .offset:         132
        .size:           4
        .value_kind:     by_value
      - .offset:         136
        .size:           4
        .value_kind:     by_value
      - .offset:         140
        .size:           4
        .value_kind:     by_value
      - .offset:         144
        .size:           4
        .value_kind:     by_value
      - .offset:         152
        .size:           8
        .value_kind:     by_value
      - .offset:         160
        .size:           4
        .value_kind:     by_value
      - .offset:         164
        .size:           4
        .value_kind:     by_value
      - .offset:         168
        .size:           8
        .value_kind:     by_value
      - .offset:         176
        .size:           4
        .value_kind:     by_value
      - .offset:         180
        .size:           4
        .value_kind:     by_value
      - .offset:         184
        .size:           4
        .value_kind:     by_value
      - .offset:         188
        .size:           4
        .value_kind:     by_value
      - .offset:         192
        .size:           4
        .value_kind:     by_value
      - .offset:         200
        .size:           8
        .value_kind:     by_value
      - .offset:         208
        .size:           4
        .value_kind:     hidden_block_count_x
      - .offset:         212
        .size:           4
        .value_kind:     hidden_block_count_y
      - .offset:         216
        .size:           4
        .value_kind:     hidden_block_count_z
      - .offset:         220
        .size:           2
        .value_kind:     hidden_group_size_x
      - .offset:         222
        .size:           2
        .value_kind:     hidden_group_size_y
      - .offset:         224
        .size:           2
        .value_kind:     hidden_group_size_z
      - .offset:         226
        .size:           2
        .value_kind:     hidden_remainder_x
      - .offset:         228
        .size:           2
        .value_kind:     hidden_remainder_y
      - .offset:         230
        .size:           2
        .value_kind:     hidden_remainder_z
      - .offset:         248
        .size:           8
        .value_kind:     hidden_global_offset_x
      - .offset:         256
        .size:           8
        .value_kind:     hidden_global_offset_y
      - .offset:         264
        .size:           8
        .value_kind:     hidden_global_offset_z
      - .offset:         272
        .size:           2
        .value_kind:     hidden_grid_dims
    .group_segment_fixed_size: 21504
    .kernarg_segment_align: 8
    .kernarg_segment_size: 464
    .language:       OpenCL C
    .language_version:
      - 2
      - 0
    .max_flat_workgroup_size: 256
    .name:           _ZL15flash_attn_tileILi128ELi128ELi8ELi4ELb0EEvPKcS1_S1_S1_S1_PKiPfP15HIP_vector_typeIfLj2EEffffjfiS5_IjLj3EEiiiiiiiiiiiliiliiiiil
    .private_segment_fixed_size: 0
    .sgpr_count:     50
    .sgpr_spill_count: 0
    .symbol:         _ZL15flash_attn_tileILi128ELi128ELi8ELi4ELb0EEvPKcS1_S1_S1_S1_PKiPfP15HIP_vector_typeIfLj2EEffffjfiS5_IjLj3EEiiiiiiiiiiiliiliiiiil.kd
    .uniform_work_group_size: 1
    .uses_dynamic_stack: false
    .vgpr_count:     114
    .vgpr_spill_count: 0
    .wavefront_size: 64
  - .agpr_count:     0
    .args:
      - .address_space:  global
        .offset:         0
        .size:           8
        .value_kind:     global_buffer
      - .address_space:  global
        .offset:         8
        .size:           8
        .value_kind:     global_buffer
      - .offset:         16
        .size:           4
        .value_kind:     by_value
      - .offset:         20
        .size:           4
        .value_kind:     by_value
      - .offset:         24
        .size:           4
        .value_kind:     by_value
      - .offset:         28
        .size:           4
        .value_kind:     by_value
      - .offset:         32
        .size:           4
        .value_kind:     by_value
      - .offset:         36
        .size:           4
        .value_kind:     by_value
      - .offset:         40
        .size:           12
        .value_kind:     by_value
      - .offset:         52
        .size:           12
        .value_kind:     by_value
      - .offset:         64
        .size:           12
        .value_kind:     by_value
    .group_segment_fixed_size: 0
    .kernarg_segment_align: 8
    .kernarg_segment_size: 76
    .language:       OpenCL C
    .language_version:
      - 2
      - 0
    .max_flat_workgroup_size: 128
    .name:           _ZL33flash_attn_stream_k_fixup_uniformILi128ELi8ELi4EEvPfPK15HIP_vector_typeIfLj2EEiiiiiiS1_IjLj3EES5_S5_
    .private_segment_fixed_size: 0
    .sgpr_count:     30
    .sgpr_spill_count: 0
    .symbol:         _ZL33flash_attn_stream_k_fixup_uniformILi128ELi8ELi4EEvPfPK15HIP_vector_typeIfLj2EEiiiiiiS1_IjLj3EES5_S5_.kd
    .uniform_work_group_size: 1
    .uses_dynamic_stack: false
    .vgpr_count:     17
    .vgpr_spill_count: 0
    .wavefront_size: 64
  - .agpr_count:     0
    .args:
      - .address_space:  global
        .offset:         0
        .size:           8
        .value_kind:     global_buffer
      - .address_space:  global
        .offset:         8
        .size:           8
        .value_kind:     global_buffer
      - .offset:         16
        .size:           4
        .value_kind:     by_value
      - .offset:         20
        .size:           4
        .value_kind:     by_value
      - .offset:         24
        .size:           4
        .value_kind:     by_value
      - .offset:         28
        .size:           4
        .value_kind:     by_value
      - .offset:         32
        .size:           12
        .value_kind:     by_value
      - .offset:         44
        .size:           12
        .value_kind:     by_value
      - .offset:         56
        .size:           12
        .value_kind:     by_value
      - .offset:         68
        .size:           12
        .value_kind:     by_value
      - .offset:         80
        .size:           4
        .value_kind:     hidden_block_count_x
      - .offset:         84
        .size:           4
        .value_kind:     hidden_block_count_y
      - .offset:         88
        .size:           4
        .value_kind:     hidden_block_count_z
      - .offset:         92
        .size:           2
        .value_kind:     hidden_group_size_x
      - .offset:         94
        .size:           2
        .value_kind:     hidden_group_size_y
      - .offset:         96
        .size:           2
        .value_kind:     hidden_group_size_z
      - .offset:         98
        .size:           2
        .value_kind:     hidden_remainder_x
      - .offset:         100
        .size:           2
        .value_kind:     hidden_remainder_y
      - .offset:         102
        .size:           2
        .value_kind:     hidden_remainder_z
      - .offset:         120
        .size:           8
        .value_kind:     hidden_global_offset_x
      - .offset:         128
        .size:           8
        .value_kind:     hidden_global_offset_y
      - .offset:         136
        .size:           8
        .value_kind:     hidden_global_offset_z
      - .offset:         144
        .size:           2
        .value_kind:     hidden_grid_dims
    .group_segment_fixed_size: 0
    .kernarg_segment_align: 8
    .kernarg_segment_size: 336
    .language:       OpenCL C
    .language_version:
      - 2
      - 0
    .max_flat_workgroup_size: 128
    .name:           _ZL33flash_attn_stream_k_fixup_generalILi128ELi8ELi4EEvPfPK15HIP_vector_typeIfLj2EEiiiiS1_IjLj3EES5_S5_S5_
    .private_segment_fixed_size: 0
    .sgpr_count:     42
    .sgpr_spill_count: 0
    .symbol:         _ZL33flash_attn_stream_k_fixup_generalILi128ELi8ELi4EEvPfPK15HIP_vector_typeIfLj2EEiiiiS1_IjLj3EES5_S5_S5_.kd
    .uniform_work_group_size: 1
    .uses_dynamic_stack: false
    .vgpr_count:     18
    .vgpr_spill_count: 0
    .wavefront_size: 64
  - .agpr_count:     0
    .args:
      - .address_space:  global
        .offset:         0
        .size:           8
        .value_kind:     global_buffer
      - .address_space:  global
        .offset:         8
        .size:           8
        .value_kind:     global_buffer
      - .address_space:  global
        .offset:         16
        .size:           8
        .value_kind:     global_buffer
      - .address_space:  global
        .offset:         24
        .size:           8
        .value_kind:     global_buffer
      - .address_space:  global
        .offset:         32
        .size:           8
        .value_kind:     global_buffer
      - .address_space:  global
        .offset:         40
        .size:           8
        .value_kind:     global_buffer
      - .address_space:  global
        .offset:         48
        .size:           8
        .value_kind:     global_buffer
      - .address_space:  global
        .offset:         56
        .size:           8
        .value_kind:     global_buffer
      - .offset:         64
        .size:           4
        .value_kind:     by_value
      - .offset:         68
        .size:           4
        .value_kind:     by_value
      - .offset:         72
        .size:           4
        .value_kind:     by_value
      - .offset:         76
        .size:           4
        .value_kind:     by_value
      - .offset:         80
        .size:           4
        .value_kind:     by_value
      - .offset:         84
        .size:           4
        .value_kind:     by_value
      - .offset:         88
        .size:           4
        .value_kind:     by_value
      - .offset:         92
        .size:           12
        .value_kind:     by_value
      - .offset:         104
        .size:           4
        .value_kind:     by_value
      - .offset:         108
        .size:           4
        .value_kind:     by_value
      - .offset:         112
        .size:           4
        .value_kind:     by_value
      - .offset:         116
        .size:           4
        .value_kind:     by_value
      - .offset:         120
        .size:           4
        .value_kind:     by_value
      - .offset:         124
        .size:           4
        .value_kind:     by_value
      - .offset:         128
        .size:           4
        .value_kind:     by_value
      - .offset:         132
        .size:           4
        .value_kind:     by_value
      - .offset:         136
        .size:           4
        .value_kind:     by_value
      - .offset:         140
        .size:           4
        .value_kind:     by_value
      - .offset:         144
        .size:           4
        .value_kind:     by_value
      - .offset:         152
        .size:           8
        .value_kind:     by_value
      - .offset:         160
        .size:           4
        .value_kind:     by_value
      - .offset:         164
        .size:           4
        .value_kind:     by_value
      - .offset:         168
        .size:           8
        .value_kind:     by_value
      - .offset:         176
        .size:           4
        .value_kind:     by_value
      - .offset:         180
        .size:           4
        .value_kind:     by_value
      - .offset:         184
        .size:           4
        .value_kind:     by_value
      - .offset:         188
        .size:           4
        .value_kind:     by_value
      - .offset:         192
        .size:           4
        .value_kind:     by_value
      - .offset:         200
        .size:           8
        .value_kind:     by_value
      - .offset:         208
        .size:           4
        .value_kind:     hidden_block_count_x
      - .offset:         212
        .size:           4
        .value_kind:     hidden_block_count_y
      - .offset:         216
        .size:           4
        .value_kind:     hidden_block_count_z
      - .offset:         220
        .size:           2
        .value_kind:     hidden_group_size_x
      - .offset:         222
        .size:           2
        .value_kind:     hidden_group_size_y
      - .offset:         224
        .size:           2
        .value_kind:     hidden_group_size_z
      - .offset:         226
        .size:           2
        .value_kind:     hidden_remainder_x
      - .offset:         228
        .size:           2
        .value_kind:     hidden_remainder_y
      - .offset:         230
        .size:           2
        .value_kind:     hidden_remainder_z
      - .offset:         248
        .size:           8
        .value_kind:     hidden_global_offset_x
      - .offset:         256
        .size:           8
        .value_kind:     hidden_global_offset_y
      - .offset:         264
        .size:           8
        .value_kind:     hidden_global_offset_z
      - .offset:         272
        .size:           2
        .value_kind:     hidden_grid_dims
    .group_segment_fixed_size: 23552
    .kernarg_segment_align: 8
    .kernarg_segment_size: 464
    .language:       OpenCL C
    .language_version:
      - 2
      - 0
    .max_flat_workgroup_size: 256
    .name:           _ZL15flash_attn_tileILi128ELi128ELi4ELi4ELb0EEvPKcS1_S1_S1_S1_PKiPfP15HIP_vector_typeIfLj2EEffffjfiS5_IjLj3EEiiiiiiiiiiiliiliiiiil
    .private_segment_fixed_size: 0
    .sgpr_count:     50
    .sgpr_spill_count: 0
    .symbol:         _ZL15flash_attn_tileILi128ELi128ELi4ELi4ELb0EEvPKcS1_S1_S1_S1_PKiPfP15HIP_vector_typeIfLj2EEffffjfiS5_IjLj3EEiiiiiiiiiiiliiliiiiil.kd
    .uniform_work_group_size: 1
    .uses_dynamic_stack: false
    .vgpr_count:     88
    .vgpr_spill_count: 0
    .wavefront_size: 64
  - .agpr_count:     0
    .args:
      - .address_space:  global
        .offset:         0
        .size:           8
        .value_kind:     global_buffer
      - .address_space:  global
        .offset:         8
        .size:           8
        .value_kind:     global_buffer
      - .offset:         16
        .size:           4
        .value_kind:     by_value
      - .offset:         20
        .size:           4
        .value_kind:     by_value
      - .offset:         24
        .size:           4
        .value_kind:     by_value
      - .offset:         28
        .size:           4
        .value_kind:     by_value
      - .offset:         32
        .size:           4
        .value_kind:     by_value
      - .offset:         36
        .size:           4
        .value_kind:     by_value
      - .offset:         40
        .size:           12
        .value_kind:     by_value
      - .offset:         52
        .size:           12
        .value_kind:     by_value
      - .offset:         64
        .size:           12
        .value_kind:     by_value
    .group_segment_fixed_size: 0
    .kernarg_segment_align: 8
    .kernarg_segment_size: 76
    .language:       OpenCL C
    .language_version:
      - 2
      - 0
    .max_flat_workgroup_size: 128
    .name:           _ZL33flash_attn_stream_k_fixup_uniformILi128ELi4ELi4EEvPfPK15HIP_vector_typeIfLj2EEiiiiiiS1_IjLj3EES5_S5_
    .private_segment_fixed_size: 0
    .sgpr_count:     30
    .sgpr_spill_count: 0
    .symbol:         _ZL33flash_attn_stream_k_fixup_uniformILi128ELi4ELi4EEvPfPK15HIP_vector_typeIfLj2EEiiiiiiS1_IjLj3EES5_S5_.kd
    .uniform_work_group_size: 1
    .uses_dynamic_stack: false
    .vgpr_count:     17
    .vgpr_spill_count: 0
    .wavefront_size: 64
  - .agpr_count:     0
    .args:
      - .address_space:  global
        .offset:         0
        .size:           8
        .value_kind:     global_buffer
      - .address_space:  global
        .offset:         8
        .size:           8
        .value_kind:     global_buffer
      - .offset:         16
        .size:           4
        .value_kind:     by_value
      - .offset:         20
        .size:           4
        .value_kind:     by_value
      - .offset:         24
        .size:           4
        .value_kind:     by_value
      - .offset:         28
        .size:           4
        .value_kind:     by_value
      - .offset:         32
        .size:           12
        .value_kind:     by_value
      - .offset:         44
        .size:           12
        .value_kind:     by_value
      - .offset:         56
        .size:           12
        .value_kind:     by_value
      - .offset:         68
        .size:           12
        .value_kind:     by_value
      - .offset:         80
        .size:           4
        .value_kind:     hidden_block_count_x
      - .offset:         84
        .size:           4
        .value_kind:     hidden_block_count_y
      - .offset:         88
        .size:           4
        .value_kind:     hidden_block_count_z
      - .offset:         92
        .size:           2
        .value_kind:     hidden_group_size_x
      - .offset:         94
        .size:           2
        .value_kind:     hidden_group_size_y
      - .offset:         96
        .size:           2
        .value_kind:     hidden_group_size_z
      - .offset:         98
        .size:           2
        .value_kind:     hidden_remainder_x
      - .offset:         100
        .size:           2
        .value_kind:     hidden_remainder_y
      - .offset:         102
        .size:           2
        .value_kind:     hidden_remainder_z
      - .offset:         120
        .size:           8
        .value_kind:     hidden_global_offset_x
      - .offset:         128
        .size:           8
        .value_kind:     hidden_global_offset_y
      - .offset:         136
        .size:           8
        .value_kind:     hidden_global_offset_z
      - .offset:         144
        .size:           2
        .value_kind:     hidden_grid_dims
    .group_segment_fixed_size: 0
    .kernarg_segment_align: 8
    .kernarg_segment_size: 336
    .language:       OpenCL C
    .language_version:
      - 2
      - 0
    .max_flat_workgroup_size: 128
    .name:           _ZL33flash_attn_stream_k_fixup_generalILi128ELi4ELi4EEvPfPK15HIP_vector_typeIfLj2EEiiiiS1_IjLj3EES5_S5_S5_
    .private_segment_fixed_size: 0
    .sgpr_count:     42
    .sgpr_spill_count: 0
    .symbol:         _ZL33flash_attn_stream_k_fixup_generalILi128ELi4ELi4EEvPfPK15HIP_vector_typeIfLj2EEiiiiS1_IjLj3EES5_S5_S5_.kd
    .uniform_work_group_size: 1
    .uses_dynamic_stack: false
    .vgpr_count:     18
    .vgpr_spill_count: 0
    .wavefront_size: 64
  - .agpr_count:     0
    .args:
      - .address_space:  global
        .offset:         0
        .size:           8
        .value_kind:     global_buffer
      - .address_space:  global
        .offset:         8
        .size:           8
        .value_kind:     global_buffer
      - .address_space:  global
        .offset:         16
        .size:           8
        .value_kind:     global_buffer
      - .address_space:  global
        .offset:         24
        .size:           8
        .value_kind:     global_buffer
      - .address_space:  global
        .offset:         32
        .size:           8
        .value_kind:     global_buffer
      - .address_space:  global
        .offset:         40
        .size:           8
        .value_kind:     global_buffer
      - .address_space:  global
        .offset:         48
        .size:           8
        .value_kind:     global_buffer
      - .address_space:  global
        .offset:         56
        .size:           8
        .value_kind:     global_buffer
      - .offset:         64
        .size:           4
        .value_kind:     by_value
      - .offset:         68
        .size:           4
        .value_kind:     by_value
      - .offset:         72
        .size:           4
        .value_kind:     by_value
      - .offset:         76
        .size:           4
        .value_kind:     by_value
      - .offset:         80
        .size:           4
        .value_kind:     by_value
      - .offset:         84
        .size:           4
        .value_kind:     by_value
      - .offset:         88
        .size:           4
        .value_kind:     by_value
      - .offset:         92
        .size:           12
        .value_kind:     by_value
      - .offset:         104
        .size:           4
        .value_kind:     by_value
      - .offset:         108
        .size:           4
        .value_kind:     by_value
      - .offset:         112
        .size:           4
        .value_kind:     by_value
      - .offset:         116
        .size:           4
        .value_kind:     by_value
      - .offset:         120
        .size:           4
        .value_kind:     by_value
      - .offset:         124
        .size:           4
        .value_kind:     by_value
      - .offset:         128
        .size:           4
        .value_kind:     by_value
      - .offset:         132
        .size:           4
        .value_kind:     by_value
      - .offset:         136
        .size:           4
        .value_kind:     by_value
      - .offset:         140
        .size:           4
        .value_kind:     by_value
      - .offset:         144
        .size:           4
        .value_kind:     by_value
      - .offset:         152
        .size:           8
        .value_kind:     by_value
      - .offset:         160
        .size:           4
        .value_kind:     by_value
      - .offset:         164
        .size:           4
        .value_kind:     by_value
      - .offset:         168
        .size:           8
        .value_kind:     by_value
      - .offset:         176
        .size:           4
        .value_kind:     by_value
      - .offset:         180
        .size:           4
        .value_kind:     by_value
      - .offset:         184
        .size:           4
        .value_kind:     by_value
      - .offset:         188
        .size:           4
        .value_kind:     by_value
      - .offset:         192
        .size:           4
        .value_kind:     by_value
      - .offset:         200
        .size:           8
        .value_kind:     by_value
      - .offset:         208
        .size:           4
        .value_kind:     hidden_block_count_x
      - .offset:         212
        .size:           4
        .value_kind:     hidden_block_count_y
      - .offset:         216
        .size:           4
        .value_kind:     hidden_block_count_z
      - .offset:         220
        .size:           2
        .value_kind:     hidden_group_size_x
      - .offset:         222
        .size:           2
        .value_kind:     hidden_group_size_y
      - .offset:         224
        .size:           2
        .value_kind:     hidden_group_size_z
      - .offset:         226
        .size:           2
        .value_kind:     hidden_remainder_x
      - .offset:         228
        .size:           2
        .value_kind:     hidden_remainder_y
      - .offset:         230
        .size:           2
        .value_kind:     hidden_remainder_z
      - .offset:         248
        .size:           8
        .value_kind:     hidden_global_offset_x
      - .offset:         256
        .size:           8
        .value_kind:     hidden_global_offset_y
      - .offset:         264
        .size:           8
        .value_kind:     hidden_global_offset_z
      - .offset:         272
        .size:           2
        .value_kind:     hidden_grid_dims
    .group_segment_fixed_size: 20480
    .kernarg_segment_align: 8
    .kernarg_segment_size: 464
    .language:       OpenCL C
    .language_version:
      - 2
      - 0
    .max_flat_workgroup_size: 256
    .name:           _ZL15flash_attn_tileILi128ELi128ELi2ELi4ELb0EEvPKcS1_S1_S1_S1_PKiPfP15HIP_vector_typeIfLj2EEffffjfiS5_IjLj3EEiiiiiiiiiiiliiliiiiil
    .private_segment_fixed_size: 0
    .sgpr_count:     45
    .sgpr_spill_count: 0
    .symbol:         _ZL15flash_attn_tileILi128ELi128ELi2ELi4ELb0EEvPKcS1_S1_S1_S1_PKiPfP15HIP_vector_typeIfLj2EEffffjfiS5_IjLj3EEiiiiiiiiiiiliiliiiiil.kd
    .uniform_work_group_size: 1
    .uses_dynamic_stack: false
    .vgpr_count:     76
    .vgpr_spill_count: 0
    .wavefront_size: 64
  - .agpr_count:     0
    .args:
      - .address_space:  global
        .offset:         0
        .size:           8
        .value_kind:     global_buffer
      - .address_space:  global
        .offset:         8
        .size:           8
        .value_kind:     global_buffer
      - .offset:         16
        .size:           4
        .value_kind:     by_value
      - .offset:         20
        .size:           4
        .value_kind:     by_value
      - .offset:         24
        .size:           4
        .value_kind:     by_value
      - .offset:         28
        .size:           4
        .value_kind:     by_value
      - .offset:         32
        .size:           4
        .value_kind:     by_value
      - .offset:         36
        .size:           4
        .value_kind:     by_value
      - .offset:         40
        .size:           12
        .value_kind:     by_value
      - .offset:         52
        .size:           12
        .value_kind:     by_value
      - .offset:         64
        .size:           12
        .value_kind:     by_value
    .group_segment_fixed_size: 0
    .kernarg_segment_align: 8
    .kernarg_segment_size: 76
    .language:       OpenCL C
    .language_version:
      - 2
      - 0
    .max_flat_workgroup_size: 128
    .name:           _ZL33flash_attn_stream_k_fixup_uniformILi128ELi2ELi4EEvPfPK15HIP_vector_typeIfLj2EEiiiiiiS1_IjLj3EES5_S5_
    .private_segment_fixed_size: 0
    .sgpr_count:     30
    .sgpr_spill_count: 0
    .symbol:         _ZL33flash_attn_stream_k_fixup_uniformILi128ELi2ELi4EEvPfPK15HIP_vector_typeIfLj2EEiiiiiiS1_IjLj3EES5_S5_.kd
    .uniform_work_group_size: 1
    .uses_dynamic_stack: false
    .vgpr_count:     17
    .vgpr_spill_count: 0
    .wavefront_size: 64
  - .agpr_count:     0
    .args:
      - .address_space:  global
        .offset:         0
        .size:           8
        .value_kind:     global_buffer
      - .address_space:  global
        .offset:         8
        .size:           8
        .value_kind:     global_buffer
      - .offset:         16
        .size:           4
        .value_kind:     by_value
      - .offset:         20
        .size:           4
        .value_kind:     by_value
      - .offset:         24
        .size:           4
        .value_kind:     by_value
      - .offset:         28
        .size:           4
        .value_kind:     by_value
      - .offset:         32
        .size:           12
        .value_kind:     by_value
      - .offset:         44
        .size:           12
        .value_kind:     by_value
      - .offset:         56
        .size:           12
        .value_kind:     by_value
      - .offset:         68
        .size:           12
        .value_kind:     by_value
      - .offset:         80
        .size:           4
        .value_kind:     hidden_block_count_x
      - .offset:         84
        .size:           4
        .value_kind:     hidden_block_count_y
      - .offset:         88
        .size:           4
        .value_kind:     hidden_block_count_z
      - .offset:         92
        .size:           2
        .value_kind:     hidden_group_size_x
      - .offset:         94
        .size:           2
        .value_kind:     hidden_group_size_y
      - .offset:         96
        .size:           2
        .value_kind:     hidden_group_size_z
      - .offset:         98
        .size:           2
        .value_kind:     hidden_remainder_x
      - .offset:         100
        .size:           2
        .value_kind:     hidden_remainder_y
      - .offset:         102
        .size:           2
        .value_kind:     hidden_remainder_z
      - .offset:         120
        .size:           8
        .value_kind:     hidden_global_offset_x
      - .offset:         128
        .size:           8
        .value_kind:     hidden_global_offset_y
      - .offset:         136
        .size:           8
        .value_kind:     hidden_global_offset_z
      - .offset:         144
        .size:           2
        .value_kind:     hidden_grid_dims
    .group_segment_fixed_size: 0
    .kernarg_segment_align: 8
    .kernarg_segment_size: 336
    .language:       OpenCL C
    .language_version:
      - 2
      - 0
    .max_flat_workgroup_size: 128
    .name:           _ZL33flash_attn_stream_k_fixup_generalILi128ELi2ELi4EEvPfPK15HIP_vector_typeIfLj2EEiiiiS1_IjLj3EES5_S5_S5_
    .private_segment_fixed_size: 0
    .sgpr_count:     42
    .sgpr_spill_count: 0
    .symbol:         _ZL33flash_attn_stream_k_fixup_generalILi128ELi2ELi4EEvPfPK15HIP_vector_typeIfLj2EEiiiiS1_IjLj3EES5_S5_S5_.kd
    .uniform_work_group_size: 1
    .uses_dynamic_stack: false
    .vgpr_count:     18
    .vgpr_spill_count: 0
    .wavefront_size: 64
  - .agpr_count:     0
    .args:
      - .address_space:  global
        .offset:         0
        .size:           8
        .value_kind:     global_buffer
      - .address_space:  global
        .offset:         8
        .size:           8
        .value_kind:     global_buffer
      - .address_space:  global
        .offset:         16
        .size:           8
        .value_kind:     global_buffer
      - .address_space:  global
        .offset:         24
        .size:           8
        .value_kind:     global_buffer
      - .address_space:  global
        .offset:         32
        .size:           8
        .value_kind:     global_buffer
      - .address_space:  global
        .offset:         40
        .size:           8
        .value_kind:     global_buffer
      - .address_space:  global
        .offset:         48
        .size:           8
        .value_kind:     global_buffer
      - .address_space:  global
        .offset:         56
        .size:           8
        .value_kind:     global_buffer
      - .offset:         64
        .size:           4
        .value_kind:     by_value
      - .offset:         68
        .size:           4
        .value_kind:     by_value
      - .offset:         72
        .size:           4
        .value_kind:     by_value
      - .offset:         76
        .size:           4
        .value_kind:     by_value
      - .offset:         80
        .size:           4
        .value_kind:     by_value
      - .offset:         84
        .size:           4
        .value_kind:     by_value
      - .offset:         88
        .size:           4
        .value_kind:     by_value
      - .offset:         92
        .size:           12
        .value_kind:     by_value
      - .offset:         104
        .size:           4
        .value_kind:     by_value
      - .offset:         108
        .size:           4
        .value_kind:     by_value
      - .offset:         112
        .size:           4
        .value_kind:     by_value
      - .offset:         116
        .size:           4
        .value_kind:     by_value
      - .offset:         120
        .size:           4
        .value_kind:     by_value
      - .offset:         124
        .size:           4
        .value_kind:     by_value
      - .offset:         128
        .size:           4
        .value_kind:     by_value
      - .offset:         132
        .size:           4
        .value_kind:     by_value
      - .offset:         136
        .size:           4
        .value_kind:     by_value
      - .offset:         140
        .size:           4
        .value_kind:     by_value
      - .offset:         144
        .size:           4
        .value_kind:     by_value
      - .offset:         152
        .size:           8
        .value_kind:     by_value
      - .offset:         160
        .size:           4
        .value_kind:     by_value
      - .offset:         164
        .size:           4
        .value_kind:     by_value
      - .offset:         168
        .size:           8
        .value_kind:     by_value
      - .offset:         176
        .size:           4
        .value_kind:     by_value
      - .offset:         180
        .size:           4
        .value_kind:     by_value
      - .offset:         184
        .size:           4
        .value_kind:     by_value
      - .offset:         188
        .size:           4
        .value_kind:     by_value
      - .offset:         192
        .size:           4
        .value_kind:     by_value
      - .offset:         200
        .size:           8
        .value_kind:     by_value
      - .offset:         208
        .size:           4
        .value_kind:     hidden_block_count_x
      - .offset:         212
        .size:           4
        .value_kind:     hidden_block_count_y
      - .offset:         216
        .size:           4
        .value_kind:     hidden_block_count_z
      - .offset:         220
        .size:           2
        .value_kind:     hidden_group_size_x
      - .offset:         222
        .size:           2
        .value_kind:     hidden_group_size_y
      - .offset:         224
        .size:           2
        .value_kind:     hidden_group_size_z
      - .offset:         226
        .size:           2
        .value_kind:     hidden_remainder_x
      - .offset:         228
        .size:           2
        .value_kind:     hidden_remainder_y
      - .offset:         230
        .size:           2
        .value_kind:     hidden_remainder_z
      - .offset:         248
        .size:           8
        .value_kind:     hidden_global_offset_x
      - .offset:         256
        .size:           8
        .value_kind:     hidden_global_offset_y
      - .offset:         264
        .size:           8
        .value_kind:     hidden_global_offset_z
      - .offset:         272
        .size:           2
        .value_kind:     hidden_grid_dims
    .group_segment_fixed_size: 18944
    .kernarg_segment_align: 8
    .kernarg_segment_size: 464
    .language:       OpenCL C
    .language_version:
      - 2
      - 0
    .max_flat_workgroup_size: 128
    .name:           _ZL15flash_attn_tileILi128ELi128ELi1ELi4ELb0EEvPKcS1_S1_S1_S1_PKiPfP15HIP_vector_typeIfLj2EEffffjfiS5_IjLj3EEiiiiiiiiiiiliiliiiiil
    .private_segment_fixed_size: 0
    .sgpr_count:     45
    .sgpr_spill_count: 0
    .symbol:         _ZL15flash_attn_tileILi128ELi128ELi1ELi4ELb0EEvPKcS1_S1_S1_S1_PKiPfP15HIP_vector_typeIfLj2EEffffjfiS5_IjLj3EEiiiiiiiiiiiliiliiiiil.kd
    .uniform_work_group_size: 1
    .uses_dynamic_stack: false
    .vgpr_count:     136
    .vgpr_spill_count: 0
    .wavefront_size: 64
  - .agpr_count:     0
    .args:
      - .address_space:  global
        .offset:         0
        .size:           8
        .value_kind:     global_buffer
      - .address_space:  global
        .offset:         8
        .size:           8
        .value_kind:     global_buffer
      - .offset:         16
        .size:           4
        .value_kind:     by_value
      - .offset:         20
        .size:           4
        .value_kind:     by_value
      - .offset:         24
        .size:           4
        .value_kind:     by_value
      - .offset:         28
        .size:           4
        .value_kind:     by_value
      - .offset:         32
        .size:           4
        .value_kind:     by_value
      - .offset:         36
        .size:           4
        .value_kind:     by_value
      - .offset:         40
        .size:           12
        .value_kind:     by_value
      - .offset:         52
        .size:           12
        .value_kind:     by_value
      - .offset:         64
        .size:           12
        .value_kind:     by_value
    .group_segment_fixed_size: 0
    .kernarg_segment_align: 8
    .kernarg_segment_size: 76
    .language:       OpenCL C
    .language_version:
      - 2
      - 0
    .max_flat_workgroup_size: 128
    .name:           _ZL33flash_attn_stream_k_fixup_uniformILi128ELi1ELi4EEvPfPK15HIP_vector_typeIfLj2EEiiiiiiS1_IjLj3EES5_S5_
    .private_segment_fixed_size: 0
    .sgpr_count:     26
    .sgpr_spill_count: 0
    .symbol:         _ZL33flash_attn_stream_k_fixup_uniformILi128ELi1ELi4EEvPfPK15HIP_vector_typeIfLj2EEiiiiiiS1_IjLj3EES5_S5_.kd
    .uniform_work_group_size: 1
    .uses_dynamic_stack: false
    .vgpr_count:     17
    .vgpr_spill_count: 0
    .wavefront_size: 64
  - .agpr_count:     0
    .args:
      - .address_space:  global
        .offset:         0
        .size:           8
        .value_kind:     global_buffer
      - .address_space:  global
        .offset:         8
        .size:           8
        .value_kind:     global_buffer
      - .offset:         16
        .size:           4
        .value_kind:     by_value
      - .offset:         20
        .size:           4
        .value_kind:     by_value
      - .offset:         24
        .size:           4
        .value_kind:     by_value
      - .offset:         28
        .size:           4
        .value_kind:     by_value
      - .offset:         32
        .size:           12
        .value_kind:     by_value
      - .offset:         44
        .size:           12
        .value_kind:     by_value
      - .offset:         56
        .size:           12
        .value_kind:     by_value
      - .offset:         68
        .size:           12
        .value_kind:     by_value
      - .offset:         80
        .size:           4
        .value_kind:     hidden_block_count_x
      - .offset:         84
        .size:           4
        .value_kind:     hidden_block_count_y
      - .offset:         88
        .size:           4
        .value_kind:     hidden_block_count_z
      - .offset:         92
        .size:           2
        .value_kind:     hidden_group_size_x
      - .offset:         94
        .size:           2
        .value_kind:     hidden_group_size_y
      - .offset:         96
        .size:           2
        .value_kind:     hidden_group_size_z
      - .offset:         98
        .size:           2
        .value_kind:     hidden_remainder_x
      - .offset:         100
        .size:           2
        .value_kind:     hidden_remainder_y
      - .offset:         102
        .size:           2
        .value_kind:     hidden_remainder_z
      - .offset:         120
        .size:           8
        .value_kind:     hidden_global_offset_x
      - .offset:         128
        .size:           8
        .value_kind:     hidden_global_offset_y
      - .offset:         136
        .size:           8
        .value_kind:     hidden_global_offset_z
      - .offset:         144
        .size:           2
        .value_kind:     hidden_grid_dims
    .group_segment_fixed_size: 0
    .kernarg_segment_align: 8
    .kernarg_segment_size: 336
    .language:       OpenCL C
    .language_version:
      - 2
      - 0
    .max_flat_workgroup_size: 128
    .name:           _ZL33flash_attn_stream_k_fixup_generalILi128ELi1ELi4EEvPfPK15HIP_vector_typeIfLj2EEiiiiS1_IjLj3EES5_S5_S5_
    .private_segment_fixed_size: 0
    .sgpr_count:     43
    .sgpr_spill_count: 0
    .symbol:         _ZL33flash_attn_stream_k_fixup_generalILi128ELi1ELi4EEvPfPK15HIP_vector_typeIfLj2EEiiiiS1_IjLj3EES5_S5_S5_.kd
    .uniform_work_group_size: 1
    .uses_dynamic_stack: false
    .vgpr_count:     18
    .vgpr_spill_count: 0
    .wavefront_size: 64
  - .agpr_count:     0
    .args:
      - .address_space:  global
        .offset:         0
        .size:           8
        .value_kind:     global_buffer
      - .address_space:  global
        .offset:         8
        .size:           8
        .value_kind:     global_buffer
      - .address_space:  global
        .offset:         16
        .size:           8
        .value_kind:     global_buffer
      - .address_space:  global
        .offset:         24
        .size:           8
        .value_kind:     global_buffer
      - .address_space:  global
        .offset:         32
        .size:           8
        .value_kind:     global_buffer
      - .address_space:  global
        .offset:         40
        .size:           8
        .value_kind:     global_buffer
      - .address_space:  global
        .offset:         48
        .size:           8
        .value_kind:     global_buffer
      - .address_space:  global
        .offset:         56
        .size:           8
        .value_kind:     global_buffer
      - .offset:         64
        .size:           4
        .value_kind:     by_value
      - .offset:         68
        .size:           4
        .value_kind:     by_value
      - .offset:         72
        .size:           4
        .value_kind:     by_value
      - .offset:         76
        .size:           4
        .value_kind:     by_value
      - .offset:         80
        .size:           4
        .value_kind:     by_value
      - .offset:         84
        .size:           4
        .value_kind:     by_value
      - .offset:         88
        .size:           4
        .value_kind:     by_value
      - .offset:         92
        .size:           12
        .value_kind:     by_value
      - .offset:         104
        .size:           4
        .value_kind:     by_value
      - .offset:         108
        .size:           4
        .value_kind:     by_value
      - .offset:         112
        .size:           4
        .value_kind:     by_value
      - .offset:         116
        .size:           4
        .value_kind:     by_value
      - .offset:         120
        .size:           4
        .value_kind:     by_value
      - .offset:         124
        .size:           4
        .value_kind:     by_value
      - .offset:         128
        .size:           4
        .value_kind:     by_value
      - .offset:         132
        .size:           4
        .value_kind:     by_value
      - .offset:         136
        .size:           4
        .value_kind:     by_value
      - .offset:         140
        .size:           4
        .value_kind:     by_value
      - .offset:         144
        .size:           4
        .value_kind:     by_value
      - .offset:         152
        .size:           8
        .value_kind:     by_value
      - .offset:         160
        .size:           4
        .value_kind:     by_value
      - .offset:         164
        .size:           4
        .value_kind:     by_value
      - .offset:         168
        .size:           8
        .value_kind:     by_value
      - .offset:         176
        .size:           4
        .value_kind:     by_value
      - .offset:         180
        .size:           4
        .value_kind:     by_value
      - .offset:         184
        .size:           4
        .value_kind:     by_value
      - .offset:         188
        .size:           4
        .value_kind:     by_value
      - .offset:         192
        .size:           4
        .value_kind:     by_value
      - .offset:         200
        .size:           8
        .value_kind:     by_value
      - .offset:         208
        .size:           4
        .value_kind:     hidden_block_count_x
      - .offset:         212
        .size:           4
        .value_kind:     hidden_block_count_y
      - .offset:         216
        .size:           4
        .value_kind:     hidden_block_count_z
      - .offset:         220
        .size:           2
        .value_kind:     hidden_group_size_x
      - .offset:         222
        .size:           2
        .value_kind:     hidden_group_size_y
      - .offset:         224
        .size:           2
        .value_kind:     hidden_group_size_z
      - .offset:         226
        .size:           2
        .value_kind:     hidden_remainder_x
      - .offset:         228
        .size:           2
        .value_kind:     hidden_remainder_y
      - .offset:         230
        .size:           2
        .value_kind:     hidden_remainder_z
      - .offset:         248
        .size:           8
        .value_kind:     hidden_global_offset_x
      - .offset:         256
        .size:           8
        .value_kind:     hidden_global_offset_y
      - .offset:         264
        .size:           8
        .value_kind:     hidden_global_offset_z
      - .offset:         272
        .size:           2
        .value_kind:     hidden_grid_dims
    .group_segment_fixed_size: 29696
    .kernarg_segment_align: 8
    .kernarg_segment_size: 464
    .language:       OpenCL C
    .language_version:
      - 2
      - 0
    .max_flat_workgroup_size: 256
    .name:           _ZL15flash_attn_tileILi128ELi128ELi32ELi2ELb0EEvPKcS1_S1_S1_S1_PKiPfP15HIP_vector_typeIfLj2EEffffjfiS5_IjLj3EEiiiiiiiiiiiliiliiiiil
    .private_segment_fixed_size: 0
    .sgpr_count:     95
    .sgpr_spill_count: 0
    .symbol:         _ZL15flash_attn_tileILi128ELi128ELi32ELi2ELb0EEvPKcS1_S1_S1_S1_PKiPfP15HIP_vector_typeIfLj2EEffffjfiS5_IjLj3EEiiiiiiiiiiiliiliiiiil.kd
    .uniform_work_group_size: 1
    .uses_dynamic_stack: false
    .vgpr_count:     164
    .vgpr_spill_count: 0
    .wavefront_size: 64
  - .agpr_count:     0
    .args:
      - .actual_access:  read_only
        .address_space:  global
        .offset:         0
        .size:           8
        .value_kind:     global_buffer
      - .actual_access:  write_only
        .address_space:  global
        .offset:         8
        .size:           8
        .value_kind:     global_buffer
      - .offset:         16
        .size:           4
        .value_kind:     by_value
      - .offset:         20
        .size:           4
        .value_kind:     by_value
      - .offset:         24
        .size:           4
        .value_kind:     by_value
      - .offset:         32
        .size:           4
        .value_kind:     hidden_block_count_x
      - .offset:         36
        .size:           4
        .value_kind:     hidden_block_count_y
      - .offset:         40
        .size:           4
        .value_kind:     hidden_block_count_z
      - .offset:         44
        .size:           2
        .value_kind:     hidden_group_size_x
      - .offset:         46
        .size:           2
        .value_kind:     hidden_group_size_y
      - .offset:         48
        .size:           2
        .value_kind:     hidden_group_size_z
      - .offset:         50
        .size:           2
        .value_kind:     hidden_remainder_x
      - .offset:         52
        .size:           2
        .value_kind:     hidden_remainder_y
      - .offset:         54
        .size:           2
        .value_kind:     hidden_remainder_z
      - .offset:         72
        .size:           8
        .value_kind:     hidden_global_offset_x
      - .offset:         80
        .size:           8
        .value_kind:     hidden_global_offset_y
      - .offset:         88
        .size:           8
        .value_kind:     hidden_global_offset_z
      - .offset:         96
        .size:           2
        .value_kind:     hidden_grid_dims
    .group_segment_fixed_size: 128
    .kernarg_segment_align: 8
    .kernarg_segment_size: 288
    .language:       OpenCL C
    .language_version:
      - 2
      - 0
    .max_flat_workgroup_size: 128
    .name:           _ZL25flash_attn_mask_to_KV_maxILi32EEvPK7__half2Piiii
    .private_segment_fixed_size: 0
    .sgpr_count:     106
    .sgpr_spill_count: 42
    .symbol:         _ZL25flash_attn_mask_to_KV_maxILi32EEvPK7__half2Piiii.kd
    .uniform_work_group_size: 1
    .uses_dynamic_stack: false
    .vgpr_count:     13
    .vgpr_spill_count: 0
    .wavefront_size: 64
  - .agpr_count:     0
    .args:
      - .address_space:  global
        .offset:         0
        .size:           8
        .value_kind:     global_buffer
      - .address_space:  global
        .offset:         8
        .size:           8
        .value_kind:     global_buffer
      - .offset:         16
        .size:           4
        .value_kind:     by_value
      - .offset:         20
        .size:           4
        .value_kind:     by_value
      - .offset:         24
        .size:           4
        .value_kind:     by_value
      - .offset:         28
        .size:           4
        .value_kind:     by_value
      - .offset:         32
        .size:           4
        .value_kind:     by_value
      - .offset:         36
        .size:           4
        .value_kind:     by_value
      - .offset:         40
        .size:           12
        .value_kind:     by_value
      - .offset:         52
        .size:           12
        .value_kind:     by_value
      - .offset:         64
        .size:           12
        .value_kind:     by_value
    .group_segment_fixed_size: 0
    .kernarg_segment_align: 8
    .kernarg_segment_size: 76
    .language:       OpenCL C
    .language_version:
      - 2
      - 0
    .max_flat_workgroup_size: 128
    .name:           _ZL33flash_attn_stream_k_fixup_uniformILi128ELi32ELi2EEvPfPK15HIP_vector_typeIfLj2EEiiiiiiS1_IjLj3EES5_S5_
    .private_segment_fixed_size: 0
    .sgpr_count:     30
    .sgpr_spill_count: 0
    .symbol:         _ZL33flash_attn_stream_k_fixup_uniformILi128ELi32ELi2EEvPfPK15HIP_vector_typeIfLj2EEiiiiiiS1_IjLj3EES5_S5_.kd
    .uniform_work_group_size: 1
    .uses_dynamic_stack: false
    .vgpr_count:     17
    .vgpr_spill_count: 0
    .wavefront_size: 64
  - .agpr_count:     0
    .args:
      - .address_space:  global
        .offset:         0
        .size:           8
        .value_kind:     global_buffer
      - .address_space:  global
        .offset:         8
        .size:           8
        .value_kind:     global_buffer
      - .offset:         16
        .size:           4
        .value_kind:     by_value
      - .offset:         20
        .size:           4
        .value_kind:     by_value
      - .offset:         24
        .size:           4
        .value_kind:     by_value
      - .offset:         28
        .size:           4
        .value_kind:     by_value
      - .offset:         32
        .size:           12
        .value_kind:     by_value
      - .offset:         44
        .size:           12
        .value_kind:     by_value
      - .offset:         56
        .size:           12
        .value_kind:     by_value
      - .offset:         68
        .size:           12
        .value_kind:     by_value
      - .offset:         80
        .size:           4
        .value_kind:     hidden_block_count_x
      - .offset:         84
        .size:           4
        .value_kind:     hidden_block_count_y
      - .offset:         88
        .size:           4
        .value_kind:     hidden_block_count_z
      - .offset:         92
        .size:           2
        .value_kind:     hidden_group_size_x
      - .offset:         94
        .size:           2
        .value_kind:     hidden_group_size_y
      - .offset:         96
        .size:           2
        .value_kind:     hidden_group_size_z
      - .offset:         98
        .size:           2
        .value_kind:     hidden_remainder_x
      - .offset:         100
        .size:           2
        .value_kind:     hidden_remainder_y
      - .offset:         102
        .size:           2
        .value_kind:     hidden_remainder_z
      - .offset:         120
        .size:           8
        .value_kind:     hidden_global_offset_x
      - .offset:         128
        .size:           8
        .value_kind:     hidden_global_offset_y
      - .offset:         136
        .size:           8
        .value_kind:     hidden_global_offset_z
      - .offset:         144
        .size:           2
        .value_kind:     hidden_grid_dims
    .group_segment_fixed_size: 0
    .kernarg_segment_align: 8
    .kernarg_segment_size: 336
    .language:       OpenCL C
    .language_version:
      - 2
      - 0
    .max_flat_workgroup_size: 128
    .name:           _ZL33flash_attn_stream_k_fixup_generalILi128ELi32ELi2EEvPfPK15HIP_vector_typeIfLj2EEiiiiS1_IjLj3EES5_S5_S5_
    .private_segment_fixed_size: 0
    .sgpr_count:     42
    .sgpr_spill_count: 0
    .symbol:         _ZL33flash_attn_stream_k_fixup_generalILi128ELi32ELi2EEvPfPK15HIP_vector_typeIfLj2EEiiiiS1_IjLj3EES5_S5_S5_.kd
    .uniform_work_group_size: 1
    .uses_dynamic_stack: false
    .vgpr_count:     18
    .vgpr_spill_count: 0
    .wavefront_size: 64
  - .agpr_count:     0
    .args:
      - .address_space:  global
        .offset:         0
        .size:           8
        .value_kind:     global_buffer
      - .address_space:  global
        .offset:         8
        .size:           8
        .value_kind:     global_buffer
      - .address_space:  global
        .offset:         16
        .size:           8
        .value_kind:     global_buffer
      - .address_space:  global
        .offset:         24
        .size:           8
        .value_kind:     global_buffer
      - .address_space:  global
        .offset:         32
        .size:           8
        .value_kind:     global_buffer
      - .address_space:  global
        .offset:         40
        .size:           8
        .value_kind:     global_buffer
      - .address_space:  global
        .offset:         48
        .size:           8
        .value_kind:     global_buffer
      - .address_space:  global
        .offset:         56
        .size:           8
        .value_kind:     global_buffer
      - .offset:         64
        .size:           4
        .value_kind:     by_value
      - .offset:         68
        .size:           4
        .value_kind:     by_value
      - .offset:         72
        .size:           4
        .value_kind:     by_value
      - .offset:         76
        .size:           4
        .value_kind:     by_value
      - .offset:         80
        .size:           4
        .value_kind:     by_value
      - .offset:         84
        .size:           4
        .value_kind:     by_value
      - .offset:         88
        .size:           4
        .value_kind:     by_value
      - .offset:         92
        .size:           12
        .value_kind:     by_value
      - .offset:         104
        .size:           4
        .value_kind:     by_value
      - .offset:         108
        .size:           4
        .value_kind:     by_value
      - .offset:         112
        .size:           4
        .value_kind:     by_value
      - .offset:         116
        .size:           4
        .value_kind:     by_value
      - .offset:         120
        .size:           4
        .value_kind:     by_value
      - .offset:         124
        .size:           4
        .value_kind:     by_value
      - .offset:         128
        .size:           4
        .value_kind:     by_value
      - .offset:         132
        .size:           4
        .value_kind:     by_value
      - .offset:         136
        .size:           4
        .value_kind:     by_value
      - .offset:         140
        .size:           4
        .value_kind:     by_value
      - .offset:         144
        .size:           4
        .value_kind:     by_value
      - .offset:         152
        .size:           8
        .value_kind:     by_value
      - .offset:         160
        .size:           4
        .value_kind:     by_value
      - .offset:         164
        .size:           4
        .value_kind:     by_value
      - .offset:         168
        .size:           8
        .value_kind:     by_value
      - .offset:         176
        .size:           4
        .value_kind:     by_value
      - .offset:         180
        .size:           4
        .value_kind:     by_value
      - .offset:         184
        .size:           4
        .value_kind:     by_value
      - .offset:         188
        .size:           4
        .value_kind:     by_value
      - .offset:         192
        .size:           4
        .value_kind:     by_value
      - .offset:         200
        .size:           8
        .value_kind:     by_value
      - .offset:         208
        .size:           4
        .value_kind:     hidden_block_count_x
      - .offset:         212
        .size:           4
        .value_kind:     hidden_block_count_y
      - .offset:         216
        .size:           4
        .value_kind:     hidden_block_count_z
      - .offset:         220
        .size:           2
        .value_kind:     hidden_group_size_x
      - .offset:         222
        .size:           2
        .value_kind:     hidden_group_size_y
      - .offset:         224
        .size:           2
        .value_kind:     hidden_group_size_z
      - .offset:         226
        .size:           2
        .value_kind:     hidden_remainder_x
      - .offset:         228
        .size:           2
        .value_kind:     hidden_remainder_y
      - .offset:         230
        .size:           2
        .value_kind:     hidden_remainder_z
      - .offset:         248
        .size:           8
        .value_kind:     hidden_global_offset_x
      - .offset:         256
        .size:           8
        .value_kind:     hidden_global_offset_y
      - .offset:         264
        .size:           8
        .value_kind:     hidden_global_offset_z
      - .offset:         272
        .size:           2
        .value_kind:     hidden_grid_dims
    .group_segment_fixed_size: 21504
    .kernarg_segment_align: 8
    .kernarg_segment_size: 464
    .language:       OpenCL C
    .language_version:
      - 2
      - 0
    .max_flat_workgroup_size: 256
    .name:           _ZL15flash_attn_tileILi128ELi128ELi16ELi2ELb0EEvPKcS1_S1_S1_S1_PKiPfP15HIP_vector_typeIfLj2EEffffjfiS5_IjLj3EEiiiiiiiiiiiliiliiiiil
    .private_segment_fixed_size: 0
    .sgpr_count:     51
    .sgpr_spill_count: 0
    .symbol:         _ZL15flash_attn_tileILi128ELi128ELi16ELi2ELb0EEvPKcS1_S1_S1_S1_PKiPfP15HIP_vector_typeIfLj2EEffffjfiS5_IjLj3EEiiiiiiiiiiiliiliiiiil.kd
    .uniform_work_group_size: 1
    .uses_dynamic_stack: false
    .vgpr_count:     115
    .vgpr_spill_count: 0
    .wavefront_size: 64
  - .agpr_count:     0
    .args:
      - .address_space:  global
        .offset:         0
        .size:           8
        .value_kind:     global_buffer
      - .address_space:  global
        .offset:         8
        .size:           8
        .value_kind:     global_buffer
      - .offset:         16
        .size:           4
        .value_kind:     by_value
      - .offset:         20
        .size:           4
        .value_kind:     by_value
      - .offset:         24
        .size:           4
        .value_kind:     by_value
      - .offset:         28
        .size:           4
        .value_kind:     by_value
      - .offset:         32
        .size:           4
        .value_kind:     by_value
      - .offset:         36
        .size:           4
        .value_kind:     by_value
      - .offset:         40
        .size:           12
        .value_kind:     by_value
      - .offset:         52
        .size:           12
        .value_kind:     by_value
      - .offset:         64
        .size:           12
        .value_kind:     by_value
    .group_segment_fixed_size: 0
    .kernarg_segment_align: 8
    .kernarg_segment_size: 76
    .language:       OpenCL C
    .language_version:
      - 2
      - 0
    .max_flat_workgroup_size: 128
    .name:           _ZL33flash_attn_stream_k_fixup_uniformILi128ELi16ELi2EEvPfPK15HIP_vector_typeIfLj2EEiiiiiiS1_IjLj3EES5_S5_
    .private_segment_fixed_size: 0
    .sgpr_count:     30
    .sgpr_spill_count: 0
    .symbol:         _ZL33flash_attn_stream_k_fixup_uniformILi128ELi16ELi2EEvPfPK15HIP_vector_typeIfLj2EEiiiiiiS1_IjLj3EES5_S5_.kd
    .uniform_work_group_size: 1
    .uses_dynamic_stack: false
    .vgpr_count:     17
    .vgpr_spill_count: 0
    .wavefront_size: 64
  - .agpr_count:     0
    .args:
      - .address_space:  global
        .offset:         0
        .size:           8
        .value_kind:     global_buffer
      - .address_space:  global
        .offset:         8
        .size:           8
        .value_kind:     global_buffer
      - .offset:         16
        .size:           4
        .value_kind:     by_value
      - .offset:         20
        .size:           4
        .value_kind:     by_value
      - .offset:         24
        .size:           4
        .value_kind:     by_value
      - .offset:         28
        .size:           4
        .value_kind:     by_value
      - .offset:         32
        .size:           12
        .value_kind:     by_value
      - .offset:         44
        .size:           12
        .value_kind:     by_value
      - .offset:         56
        .size:           12
        .value_kind:     by_value
      - .offset:         68
        .size:           12
        .value_kind:     by_value
      - .offset:         80
        .size:           4
        .value_kind:     hidden_block_count_x
      - .offset:         84
        .size:           4
        .value_kind:     hidden_block_count_y
      - .offset:         88
        .size:           4
        .value_kind:     hidden_block_count_z
      - .offset:         92
        .size:           2
        .value_kind:     hidden_group_size_x
      - .offset:         94
        .size:           2
        .value_kind:     hidden_group_size_y
      - .offset:         96
        .size:           2
        .value_kind:     hidden_group_size_z
      - .offset:         98
        .size:           2
        .value_kind:     hidden_remainder_x
      - .offset:         100
        .size:           2
        .value_kind:     hidden_remainder_y
      - .offset:         102
        .size:           2
        .value_kind:     hidden_remainder_z
      - .offset:         120
        .size:           8
        .value_kind:     hidden_global_offset_x
      - .offset:         128
        .size:           8
        .value_kind:     hidden_global_offset_y
      - .offset:         136
        .size:           8
        .value_kind:     hidden_global_offset_z
      - .offset:         144
        .size:           2
        .value_kind:     hidden_grid_dims
    .group_segment_fixed_size: 0
    .kernarg_segment_align: 8
    .kernarg_segment_size: 336
    .language:       OpenCL C
    .language_version:
      - 2
      - 0
    .max_flat_workgroup_size: 128
    .name:           _ZL33flash_attn_stream_k_fixup_generalILi128ELi16ELi2EEvPfPK15HIP_vector_typeIfLj2EEiiiiS1_IjLj3EES5_S5_S5_
    .private_segment_fixed_size: 0
    .sgpr_count:     42
    .sgpr_spill_count: 0
    .symbol:         _ZL33flash_attn_stream_k_fixup_generalILi128ELi16ELi2EEvPfPK15HIP_vector_typeIfLj2EEiiiiS1_IjLj3EES5_S5_S5_.kd
    .uniform_work_group_size: 1
    .uses_dynamic_stack: false
    .vgpr_count:     18
    .vgpr_spill_count: 0
    .wavefront_size: 64
  - .agpr_count:     0
    .args:
      - .address_space:  global
        .offset:         0
        .size:           8
        .value_kind:     global_buffer
      - .address_space:  global
        .offset:         8
        .size:           8
        .value_kind:     global_buffer
      - .address_space:  global
        .offset:         16
        .size:           8
        .value_kind:     global_buffer
      - .address_space:  global
        .offset:         24
        .size:           8
        .value_kind:     global_buffer
      - .address_space:  global
        .offset:         32
        .size:           8
        .value_kind:     global_buffer
      - .address_space:  global
        .offset:         40
        .size:           8
        .value_kind:     global_buffer
      - .address_space:  global
        .offset:         48
        .size:           8
        .value_kind:     global_buffer
      - .address_space:  global
        .offset:         56
        .size:           8
        .value_kind:     global_buffer
      - .offset:         64
        .size:           4
        .value_kind:     by_value
      - .offset:         68
        .size:           4
        .value_kind:     by_value
      - .offset:         72
        .size:           4
        .value_kind:     by_value
      - .offset:         76
        .size:           4
        .value_kind:     by_value
      - .offset:         80
        .size:           4
        .value_kind:     by_value
      - .offset:         84
        .size:           4
        .value_kind:     by_value
      - .offset:         88
        .size:           4
        .value_kind:     by_value
      - .offset:         92
        .size:           12
        .value_kind:     by_value
      - .offset:         104
        .size:           4
        .value_kind:     by_value
      - .offset:         108
        .size:           4
        .value_kind:     by_value
      - .offset:         112
        .size:           4
        .value_kind:     by_value
      - .offset:         116
        .size:           4
        .value_kind:     by_value
      - .offset:         120
        .size:           4
        .value_kind:     by_value
      - .offset:         124
        .size:           4
        .value_kind:     by_value
      - .offset:         128
        .size:           4
        .value_kind:     by_value
      - .offset:         132
        .size:           4
        .value_kind:     by_value
      - .offset:         136
        .size:           4
        .value_kind:     by_value
      - .offset:         140
        .size:           4
        .value_kind:     by_value
      - .offset:         144
        .size:           4
        .value_kind:     by_value
      - .offset:         152
        .size:           8
        .value_kind:     by_value
      - .offset:         160
        .size:           4
        .value_kind:     by_value
      - .offset:         164
        .size:           4
        .value_kind:     by_value
      - .offset:         168
        .size:           8
        .value_kind:     by_value
      - .offset:         176
        .size:           4
        .value_kind:     by_value
      - .offset:         180
        .size:           4
        .value_kind:     by_value
      - .offset:         184
        .size:           4
        .value_kind:     by_value
      - .offset:         188
        .size:           4
        .value_kind:     by_value
      - .offset:         192
        .size:           4
        .value_kind:     by_value
      - .offset:         200
        .size:           8
        .value_kind:     by_value
      - .offset:         208
        .size:           4
        .value_kind:     hidden_block_count_x
      - .offset:         212
        .size:           4
        .value_kind:     hidden_block_count_y
      - .offset:         216
        .size:           4
        .value_kind:     hidden_block_count_z
      - .offset:         220
        .size:           2
        .value_kind:     hidden_group_size_x
      - .offset:         222
        .size:           2
        .value_kind:     hidden_group_size_y
      - .offset:         224
        .size:           2
        .value_kind:     hidden_group_size_z
      - .offset:         226
        .size:           2
        .value_kind:     hidden_remainder_x
      - .offset:         228
        .size:           2
        .value_kind:     hidden_remainder_y
      - .offset:         230
        .size:           2
        .value_kind:     hidden_remainder_z
      - .offset:         248
        .size:           8
        .value_kind:     hidden_global_offset_x
      - .offset:         256
        .size:           8
        .value_kind:     hidden_global_offset_y
      - .offset:         264
        .size:           8
        .value_kind:     hidden_global_offset_z
      - .offset:         272
        .size:           2
        .value_kind:     hidden_grid_dims
    .group_segment_fixed_size: 23552
    .kernarg_segment_align: 8
    .kernarg_segment_size: 464
    .language:       OpenCL C
    .language_version:
      - 2
      - 0
    .max_flat_workgroup_size: 256
    .name:           _ZL15flash_attn_tileILi128ELi128ELi8ELi2ELb0EEvPKcS1_S1_S1_S1_PKiPfP15HIP_vector_typeIfLj2EEffffjfiS5_IjLj3EEiiiiiiiiiiiliiliiiiil
    .private_segment_fixed_size: 0
    .sgpr_count:     46
    .sgpr_spill_count: 0
    .symbol:         _ZL15flash_attn_tileILi128ELi128ELi8ELi2ELb0EEvPKcS1_S1_S1_S1_PKiPfP15HIP_vector_typeIfLj2EEffffjfiS5_IjLj3EEiiiiiiiiiiiliiliiiiil.kd
    .uniform_work_group_size: 1
    .uses_dynamic_stack: false
    .vgpr_count:     86
    .vgpr_spill_count: 0
    .wavefront_size: 64
  - .agpr_count:     0
    .args:
      - .address_space:  global
        .offset:         0
        .size:           8
        .value_kind:     global_buffer
      - .address_space:  global
        .offset:         8
        .size:           8
        .value_kind:     global_buffer
      - .offset:         16
        .size:           4
        .value_kind:     by_value
      - .offset:         20
        .size:           4
        .value_kind:     by_value
      - .offset:         24
        .size:           4
        .value_kind:     by_value
      - .offset:         28
        .size:           4
        .value_kind:     by_value
      - .offset:         32
        .size:           4
        .value_kind:     by_value
      - .offset:         36
        .size:           4
        .value_kind:     by_value
      - .offset:         40
        .size:           12
        .value_kind:     by_value
      - .offset:         52
        .size:           12
        .value_kind:     by_value
      - .offset:         64
        .size:           12
        .value_kind:     by_value
    .group_segment_fixed_size: 0
    .kernarg_segment_align: 8
    .kernarg_segment_size: 76
    .language:       OpenCL C
    .language_version:
      - 2
      - 0
    .max_flat_workgroup_size: 128
    .name:           _ZL33flash_attn_stream_k_fixup_uniformILi128ELi8ELi2EEvPfPK15HIP_vector_typeIfLj2EEiiiiiiS1_IjLj3EES5_S5_
    .private_segment_fixed_size: 0
    .sgpr_count:     30
    .sgpr_spill_count: 0
    .symbol:         _ZL33flash_attn_stream_k_fixup_uniformILi128ELi8ELi2EEvPfPK15HIP_vector_typeIfLj2EEiiiiiiS1_IjLj3EES5_S5_.kd
    .uniform_work_group_size: 1
    .uses_dynamic_stack: false
    .vgpr_count:     17
    .vgpr_spill_count: 0
    .wavefront_size: 64
  - .agpr_count:     0
    .args:
      - .address_space:  global
        .offset:         0
        .size:           8
        .value_kind:     global_buffer
      - .address_space:  global
        .offset:         8
        .size:           8
        .value_kind:     global_buffer
      - .offset:         16
        .size:           4
        .value_kind:     by_value
      - .offset:         20
        .size:           4
        .value_kind:     by_value
      - .offset:         24
        .size:           4
        .value_kind:     by_value
      - .offset:         28
        .size:           4
        .value_kind:     by_value
      - .offset:         32
        .size:           12
        .value_kind:     by_value
      - .offset:         44
        .size:           12
        .value_kind:     by_value
      - .offset:         56
        .size:           12
        .value_kind:     by_value
      - .offset:         68
        .size:           12
        .value_kind:     by_value
      - .offset:         80
        .size:           4
        .value_kind:     hidden_block_count_x
      - .offset:         84
        .size:           4
        .value_kind:     hidden_block_count_y
      - .offset:         88
        .size:           4
        .value_kind:     hidden_block_count_z
      - .offset:         92
        .size:           2
        .value_kind:     hidden_group_size_x
      - .offset:         94
        .size:           2
        .value_kind:     hidden_group_size_y
      - .offset:         96
        .size:           2
        .value_kind:     hidden_group_size_z
      - .offset:         98
        .size:           2
        .value_kind:     hidden_remainder_x
      - .offset:         100
        .size:           2
        .value_kind:     hidden_remainder_y
      - .offset:         102
        .size:           2
        .value_kind:     hidden_remainder_z
      - .offset:         120
        .size:           8
        .value_kind:     hidden_global_offset_x
      - .offset:         128
        .size:           8
        .value_kind:     hidden_global_offset_y
      - .offset:         136
        .size:           8
        .value_kind:     hidden_global_offset_z
      - .offset:         144
        .size:           2
        .value_kind:     hidden_grid_dims
    .group_segment_fixed_size: 0
    .kernarg_segment_align: 8
    .kernarg_segment_size: 336
    .language:       OpenCL C
    .language_version:
      - 2
      - 0
    .max_flat_workgroup_size: 128
    .name:           _ZL33flash_attn_stream_k_fixup_generalILi128ELi8ELi2EEvPfPK15HIP_vector_typeIfLj2EEiiiiS1_IjLj3EES5_S5_S5_
    .private_segment_fixed_size: 0
    .sgpr_count:     42
    .sgpr_spill_count: 0
    .symbol:         _ZL33flash_attn_stream_k_fixup_generalILi128ELi8ELi2EEvPfPK15HIP_vector_typeIfLj2EEiiiiS1_IjLj3EES5_S5_S5_.kd
    .uniform_work_group_size: 1
    .uses_dynamic_stack: false
    .vgpr_count:     18
    .vgpr_spill_count: 0
    .wavefront_size: 64
  - .agpr_count:     0
    .args:
      - .address_space:  global
        .offset:         0
        .size:           8
        .value_kind:     global_buffer
      - .address_space:  global
        .offset:         8
        .size:           8
        .value_kind:     global_buffer
      - .address_space:  global
        .offset:         16
        .size:           8
        .value_kind:     global_buffer
      - .address_space:  global
        .offset:         24
        .size:           8
        .value_kind:     global_buffer
      - .address_space:  global
        .offset:         32
        .size:           8
        .value_kind:     global_buffer
      - .address_space:  global
        .offset:         40
        .size:           8
        .value_kind:     global_buffer
      - .address_space:  global
        .offset:         48
        .size:           8
        .value_kind:     global_buffer
      - .address_space:  global
        .offset:         56
        .size:           8
        .value_kind:     global_buffer
      - .offset:         64
        .size:           4
        .value_kind:     by_value
      - .offset:         68
        .size:           4
        .value_kind:     by_value
      - .offset:         72
        .size:           4
        .value_kind:     by_value
      - .offset:         76
        .size:           4
        .value_kind:     by_value
      - .offset:         80
        .size:           4
        .value_kind:     by_value
      - .offset:         84
        .size:           4
        .value_kind:     by_value
      - .offset:         88
        .size:           4
        .value_kind:     by_value
      - .offset:         92
        .size:           12
        .value_kind:     by_value
      - .offset:         104
        .size:           4
        .value_kind:     by_value
      - .offset:         108
        .size:           4
        .value_kind:     by_value
      - .offset:         112
        .size:           4
        .value_kind:     by_value
      - .offset:         116
        .size:           4
        .value_kind:     by_value
      - .offset:         120
        .size:           4
        .value_kind:     by_value
      - .offset:         124
        .size:           4
        .value_kind:     by_value
      - .offset:         128
        .size:           4
        .value_kind:     by_value
      - .offset:         132
        .size:           4
        .value_kind:     by_value
      - .offset:         136
        .size:           4
        .value_kind:     by_value
      - .offset:         140
        .size:           4
        .value_kind:     by_value
      - .offset:         144
        .size:           4
        .value_kind:     by_value
      - .offset:         152
        .size:           8
        .value_kind:     by_value
      - .offset:         160
        .size:           4
        .value_kind:     by_value
      - .offset:         164
        .size:           4
        .value_kind:     by_value
      - .offset:         168
        .size:           8
        .value_kind:     by_value
      - .offset:         176
        .size:           4
        .value_kind:     by_value
      - .offset:         180
        .size:           4
        .value_kind:     by_value
      - .offset:         184
        .size:           4
        .value_kind:     by_value
      - .offset:         188
        .size:           4
        .value_kind:     by_value
      - .offset:         192
        .size:           4
        .value_kind:     by_value
      - .offset:         200
        .size:           8
        .value_kind:     by_value
      - .offset:         208
        .size:           4
        .value_kind:     hidden_block_count_x
      - .offset:         212
        .size:           4
        .value_kind:     hidden_block_count_y
      - .offset:         216
        .size:           4
        .value_kind:     hidden_block_count_z
      - .offset:         220
        .size:           2
        .value_kind:     hidden_group_size_x
      - .offset:         222
        .size:           2
        .value_kind:     hidden_group_size_y
      - .offset:         224
        .size:           2
        .value_kind:     hidden_group_size_z
      - .offset:         226
        .size:           2
        .value_kind:     hidden_remainder_x
      - .offset:         228
        .size:           2
        .value_kind:     hidden_remainder_y
      - .offset:         230
        .size:           2
        .value_kind:     hidden_remainder_z
      - .offset:         248
        .size:           8
        .value_kind:     hidden_global_offset_x
      - .offset:         256
        .size:           8
        .value_kind:     hidden_global_offset_y
      - .offset:         264
        .size:           8
        .value_kind:     hidden_global_offset_z
      - .offset:         272
        .size:           2
        .value_kind:     hidden_grid_dims
    .group_segment_fixed_size: 20480
    .kernarg_segment_align: 8
    .kernarg_segment_size: 464
    .language:       OpenCL C
    .language_version:
      - 2
      - 0
    .max_flat_workgroup_size: 256
    .name:           _ZL15flash_attn_tileILi128ELi128ELi4ELi2ELb0EEvPKcS1_S1_S1_S1_PKiPfP15HIP_vector_typeIfLj2EEffffjfiS5_IjLj3EEiiiiiiiiiiiliiliiiiil
    .private_segment_fixed_size: 0
    .sgpr_count:     46
    .sgpr_spill_count: 0
    .symbol:         _ZL15flash_attn_tileILi128ELi128ELi4ELi2ELb0EEvPKcS1_S1_S1_S1_PKiPfP15HIP_vector_typeIfLj2EEffffjfiS5_IjLj3EEiiiiiiiiiiiliiliiiiil.kd
    .uniform_work_group_size: 1
    .uses_dynamic_stack: false
    .vgpr_count:     76
    .vgpr_spill_count: 0
    .wavefront_size: 64
  - .agpr_count:     0
    .args:
      - .address_space:  global
        .offset:         0
        .size:           8
        .value_kind:     global_buffer
      - .address_space:  global
        .offset:         8
        .size:           8
        .value_kind:     global_buffer
      - .offset:         16
        .size:           4
        .value_kind:     by_value
      - .offset:         20
        .size:           4
        .value_kind:     by_value
      - .offset:         24
        .size:           4
        .value_kind:     by_value
      - .offset:         28
        .size:           4
        .value_kind:     by_value
      - .offset:         32
        .size:           4
        .value_kind:     by_value
      - .offset:         36
        .size:           4
        .value_kind:     by_value
      - .offset:         40
        .size:           12
        .value_kind:     by_value
      - .offset:         52
        .size:           12
        .value_kind:     by_value
      - .offset:         64
        .size:           12
        .value_kind:     by_value
    .group_segment_fixed_size: 0
    .kernarg_segment_align: 8
    .kernarg_segment_size: 76
    .language:       OpenCL C
    .language_version:
      - 2
      - 0
    .max_flat_workgroup_size: 128
    .name:           _ZL33flash_attn_stream_k_fixup_uniformILi128ELi4ELi2EEvPfPK15HIP_vector_typeIfLj2EEiiiiiiS1_IjLj3EES5_S5_
    .private_segment_fixed_size: 0
    .sgpr_count:     30
    .sgpr_spill_count: 0
    .symbol:         _ZL33flash_attn_stream_k_fixup_uniformILi128ELi4ELi2EEvPfPK15HIP_vector_typeIfLj2EEiiiiiiS1_IjLj3EES5_S5_.kd
    .uniform_work_group_size: 1
    .uses_dynamic_stack: false
    .vgpr_count:     17
    .vgpr_spill_count: 0
    .wavefront_size: 64
  - .agpr_count:     0
    .args:
      - .address_space:  global
        .offset:         0
        .size:           8
        .value_kind:     global_buffer
      - .address_space:  global
        .offset:         8
        .size:           8
        .value_kind:     global_buffer
      - .offset:         16
        .size:           4
        .value_kind:     by_value
      - .offset:         20
        .size:           4
        .value_kind:     by_value
      - .offset:         24
        .size:           4
        .value_kind:     by_value
      - .offset:         28
        .size:           4
        .value_kind:     by_value
      - .offset:         32
        .size:           12
        .value_kind:     by_value
      - .offset:         44
        .size:           12
        .value_kind:     by_value
      - .offset:         56
        .size:           12
        .value_kind:     by_value
      - .offset:         68
        .size:           12
        .value_kind:     by_value
      - .offset:         80
        .size:           4
        .value_kind:     hidden_block_count_x
      - .offset:         84
        .size:           4
        .value_kind:     hidden_block_count_y
      - .offset:         88
        .size:           4
        .value_kind:     hidden_block_count_z
      - .offset:         92
        .size:           2
        .value_kind:     hidden_group_size_x
      - .offset:         94
        .size:           2
        .value_kind:     hidden_group_size_y
      - .offset:         96
        .size:           2
        .value_kind:     hidden_group_size_z
      - .offset:         98
        .size:           2
        .value_kind:     hidden_remainder_x
      - .offset:         100
        .size:           2
        .value_kind:     hidden_remainder_y
      - .offset:         102
        .size:           2
        .value_kind:     hidden_remainder_z
      - .offset:         120
        .size:           8
        .value_kind:     hidden_global_offset_x
      - .offset:         128
        .size:           8
        .value_kind:     hidden_global_offset_y
      - .offset:         136
        .size:           8
        .value_kind:     hidden_global_offset_z
      - .offset:         144
        .size:           2
        .value_kind:     hidden_grid_dims
    .group_segment_fixed_size: 0
    .kernarg_segment_align: 8
    .kernarg_segment_size: 336
    .language:       OpenCL C
    .language_version:
      - 2
      - 0
    .max_flat_workgroup_size: 128
    .name:           _ZL33flash_attn_stream_k_fixup_generalILi128ELi4ELi2EEvPfPK15HIP_vector_typeIfLj2EEiiiiS1_IjLj3EES5_S5_S5_
    .private_segment_fixed_size: 0
    .sgpr_count:     42
    .sgpr_spill_count: 0
    .symbol:         _ZL33flash_attn_stream_k_fixup_generalILi128ELi4ELi2EEvPfPK15HIP_vector_typeIfLj2EEiiiiS1_IjLj3EES5_S5_S5_.kd
    .uniform_work_group_size: 1
    .uses_dynamic_stack: false
    .vgpr_count:     18
    .vgpr_spill_count: 0
    .wavefront_size: 64
  - .agpr_count:     0
    .args:
      - .address_space:  global
        .offset:         0
        .size:           8
        .value_kind:     global_buffer
      - .address_space:  global
        .offset:         8
        .size:           8
        .value_kind:     global_buffer
      - .address_space:  global
        .offset:         16
        .size:           8
        .value_kind:     global_buffer
      - .address_space:  global
        .offset:         24
        .size:           8
        .value_kind:     global_buffer
      - .address_space:  global
        .offset:         32
        .size:           8
        .value_kind:     global_buffer
      - .address_space:  global
        .offset:         40
        .size:           8
        .value_kind:     global_buffer
      - .address_space:  global
        .offset:         48
        .size:           8
        .value_kind:     global_buffer
      - .address_space:  global
        .offset:         56
        .size:           8
        .value_kind:     global_buffer
      - .offset:         64
        .size:           4
        .value_kind:     by_value
      - .offset:         68
        .size:           4
        .value_kind:     by_value
      - .offset:         72
        .size:           4
        .value_kind:     by_value
      - .offset:         76
        .size:           4
        .value_kind:     by_value
      - .offset:         80
        .size:           4
        .value_kind:     by_value
      - .offset:         84
        .size:           4
        .value_kind:     by_value
      - .offset:         88
        .size:           4
        .value_kind:     by_value
      - .offset:         92
        .size:           12
        .value_kind:     by_value
      - .offset:         104
        .size:           4
        .value_kind:     by_value
      - .offset:         108
        .size:           4
        .value_kind:     by_value
      - .offset:         112
        .size:           4
        .value_kind:     by_value
      - .offset:         116
        .size:           4
        .value_kind:     by_value
      - .offset:         120
        .size:           4
        .value_kind:     by_value
      - .offset:         124
        .size:           4
        .value_kind:     by_value
      - .offset:         128
        .size:           4
        .value_kind:     by_value
      - .offset:         132
        .size:           4
        .value_kind:     by_value
      - .offset:         136
        .size:           4
        .value_kind:     by_value
      - .offset:         140
        .size:           4
        .value_kind:     by_value
      - .offset:         144
        .size:           4
        .value_kind:     by_value
      - .offset:         152
        .size:           8
        .value_kind:     by_value
      - .offset:         160
        .size:           4
        .value_kind:     by_value
      - .offset:         164
        .size:           4
        .value_kind:     by_value
      - .offset:         168
        .size:           8
        .value_kind:     by_value
      - .offset:         176
        .size:           4
        .value_kind:     by_value
      - .offset:         180
        .size:           4
        .value_kind:     by_value
      - .offset:         184
        .size:           4
        .value_kind:     by_value
      - .offset:         188
        .size:           4
        .value_kind:     by_value
      - .offset:         192
        .size:           4
        .value_kind:     by_value
      - .offset:         200
        .size:           8
        .value_kind:     by_value
      - .offset:         208
        .size:           4
        .value_kind:     hidden_block_count_x
      - .offset:         212
        .size:           4
        .value_kind:     hidden_block_count_y
      - .offset:         216
        .size:           4
        .value_kind:     hidden_block_count_z
      - .offset:         220
        .size:           2
        .value_kind:     hidden_group_size_x
      - .offset:         222
        .size:           2
        .value_kind:     hidden_group_size_y
      - .offset:         224
        .size:           2
        .value_kind:     hidden_group_size_z
      - .offset:         226
        .size:           2
        .value_kind:     hidden_remainder_x
      - .offset:         228
        .size:           2
        .value_kind:     hidden_remainder_y
      - .offset:         230
        .size:           2
        .value_kind:     hidden_remainder_z
      - .offset:         248
        .size:           8
        .value_kind:     hidden_global_offset_x
      - .offset:         256
        .size:           8
        .value_kind:     hidden_global_offset_y
      - .offset:         264
        .size:           8
        .value_kind:     hidden_global_offset_z
      - .offset:         272
        .size:           2
        .value_kind:     hidden_grid_dims
    .group_segment_fixed_size: 18944
    .kernarg_segment_align: 8
    .kernarg_segment_size: 464
    .language:       OpenCL C
    .language_version:
      - 2
      - 0
    .max_flat_workgroup_size: 128
    .name:           _ZL15flash_attn_tileILi128ELi128ELi2ELi2ELb0EEvPKcS1_S1_S1_S1_PKiPfP15HIP_vector_typeIfLj2EEffffjfiS5_IjLj3EEiiiiiiiiiiiliiliiiiil
    .private_segment_fixed_size: 0
    .sgpr_count:     46
    .sgpr_spill_count: 0
    .symbol:         _ZL15flash_attn_tileILi128ELi128ELi2ELi2ELb0EEvPKcS1_S1_S1_S1_PKiPfP15HIP_vector_typeIfLj2EEffffjfiS5_IjLj3EEiiiiiiiiiiiliiliiiiil.kd
    .uniform_work_group_size: 1
    .uses_dynamic_stack: false
    .vgpr_count:     136
    .vgpr_spill_count: 0
    .wavefront_size: 64
  - .agpr_count:     0
    .args:
      - .address_space:  global
        .offset:         0
        .size:           8
        .value_kind:     global_buffer
      - .address_space:  global
        .offset:         8
        .size:           8
        .value_kind:     global_buffer
      - .offset:         16
        .size:           4
        .value_kind:     by_value
      - .offset:         20
        .size:           4
        .value_kind:     by_value
      - .offset:         24
        .size:           4
        .value_kind:     by_value
      - .offset:         28
        .size:           4
        .value_kind:     by_value
      - .offset:         32
        .size:           4
        .value_kind:     by_value
      - .offset:         36
        .size:           4
        .value_kind:     by_value
      - .offset:         40
        .size:           12
        .value_kind:     by_value
      - .offset:         52
        .size:           12
        .value_kind:     by_value
      - .offset:         64
        .size:           12
        .value_kind:     by_value
    .group_segment_fixed_size: 0
    .kernarg_segment_align: 8
    .kernarg_segment_size: 76
    .language:       OpenCL C
    .language_version:
      - 2
      - 0
    .max_flat_workgroup_size: 128
    .name:           _ZL33flash_attn_stream_k_fixup_uniformILi128ELi2ELi2EEvPfPK15HIP_vector_typeIfLj2EEiiiiiiS1_IjLj3EES5_S5_
    .private_segment_fixed_size: 0
    .sgpr_count:     30
    .sgpr_spill_count: 0
    .symbol:         _ZL33flash_attn_stream_k_fixup_uniformILi128ELi2ELi2EEvPfPK15HIP_vector_typeIfLj2EEiiiiiiS1_IjLj3EES5_S5_.kd
    .uniform_work_group_size: 1
    .uses_dynamic_stack: false
    .vgpr_count:     17
    .vgpr_spill_count: 0
    .wavefront_size: 64
  - .agpr_count:     0
    .args:
      - .address_space:  global
        .offset:         0
        .size:           8
        .value_kind:     global_buffer
      - .address_space:  global
        .offset:         8
        .size:           8
        .value_kind:     global_buffer
      - .offset:         16
        .size:           4
        .value_kind:     by_value
      - .offset:         20
        .size:           4
        .value_kind:     by_value
      - .offset:         24
        .size:           4
        .value_kind:     by_value
      - .offset:         28
        .size:           4
        .value_kind:     by_value
      - .offset:         32
        .size:           12
        .value_kind:     by_value
      - .offset:         44
        .size:           12
        .value_kind:     by_value
      - .offset:         56
        .size:           12
        .value_kind:     by_value
      - .offset:         68
        .size:           12
        .value_kind:     by_value
      - .offset:         80
        .size:           4
        .value_kind:     hidden_block_count_x
      - .offset:         84
        .size:           4
        .value_kind:     hidden_block_count_y
      - .offset:         88
        .size:           4
        .value_kind:     hidden_block_count_z
      - .offset:         92
        .size:           2
        .value_kind:     hidden_group_size_x
      - .offset:         94
        .size:           2
        .value_kind:     hidden_group_size_y
      - .offset:         96
        .size:           2
        .value_kind:     hidden_group_size_z
      - .offset:         98
        .size:           2
        .value_kind:     hidden_remainder_x
      - .offset:         100
        .size:           2
        .value_kind:     hidden_remainder_y
      - .offset:         102
        .size:           2
        .value_kind:     hidden_remainder_z
      - .offset:         120
        .size:           8
        .value_kind:     hidden_global_offset_x
      - .offset:         128
        .size:           8
        .value_kind:     hidden_global_offset_y
      - .offset:         136
        .size:           8
        .value_kind:     hidden_global_offset_z
      - .offset:         144
        .size:           2
        .value_kind:     hidden_grid_dims
    .group_segment_fixed_size: 0
    .kernarg_segment_align: 8
    .kernarg_segment_size: 336
    .language:       OpenCL C
    .language_version:
      - 2
      - 0
    .max_flat_workgroup_size: 128
    .name:           _ZL33flash_attn_stream_k_fixup_generalILi128ELi2ELi2EEvPfPK15HIP_vector_typeIfLj2EEiiiiS1_IjLj3EES5_S5_S5_
    .private_segment_fixed_size: 0
    .sgpr_count:     42
    .sgpr_spill_count: 0
    .symbol:         _ZL33flash_attn_stream_k_fixup_generalILi128ELi2ELi2EEvPfPK15HIP_vector_typeIfLj2EEiiiiS1_IjLj3EES5_S5_S5_.kd
    .uniform_work_group_size: 1
    .uses_dynamic_stack: false
    .vgpr_count:     18
    .vgpr_spill_count: 0
    .wavefront_size: 64
  - .agpr_count:     0
    .args:
      - .address_space:  global
        .offset:         0
        .size:           8
        .value_kind:     global_buffer
      - .address_space:  global
        .offset:         8
        .size:           8
        .value_kind:     global_buffer
      - .address_space:  global
        .offset:         16
        .size:           8
        .value_kind:     global_buffer
      - .address_space:  global
        .offset:         24
        .size:           8
        .value_kind:     global_buffer
      - .address_space:  global
        .offset:         32
        .size:           8
        .value_kind:     global_buffer
      - .address_space:  global
        .offset:         40
        .size:           8
        .value_kind:     global_buffer
      - .address_space:  global
        .offset:         48
        .size:           8
        .value_kind:     global_buffer
      - .address_space:  global
        .offset:         56
        .size:           8
        .value_kind:     global_buffer
      - .offset:         64
        .size:           4
        .value_kind:     by_value
      - .offset:         68
        .size:           4
        .value_kind:     by_value
      - .offset:         72
        .size:           4
        .value_kind:     by_value
      - .offset:         76
        .size:           4
        .value_kind:     by_value
      - .offset:         80
        .size:           4
        .value_kind:     by_value
      - .offset:         84
        .size:           4
        .value_kind:     by_value
      - .offset:         88
        .size:           4
        .value_kind:     by_value
      - .offset:         92
        .size:           12
        .value_kind:     by_value
      - .offset:         104
        .size:           4
        .value_kind:     by_value
      - .offset:         108
        .size:           4
        .value_kind:     by_value
      - .offset:         112
        .size:           4
        .value_kind:     by_value
      - .offset:         116
        .size:           4
        .value_kind:     by_value
      - .offset:         120
        .size:           4
        .value_kind:     by_value
      - .offset:         124
        .size:           4
        .value_kind:     by_value
      - .offset:         128
        .size:           4
        .value_kind:     by_value
      - .offset:         132
        .size:           4
        .value_kind:     by_value
      - .offset:         136
        .size:           4
        .value_kind:     by_value
      - .offset:         140
        .size:           4
        .value_kind:     by_value
      - .offset:         144
        .size:           4
        .value_kind:     by_value
      - .offset:         152
        .size:           8
        .value_kind:     by_value
      - .offset:         160
        .size:           4
        .value_kind:     by_value
      - .offset:         164
        .size:           4
        .value_kind:     by_value
      - .offset:         168
        .size:           8
        .value_kind:     by_value
      - .offset:         176
        .size:           4
        .value_kind:     by_value
      - .offset:         180
        .size:           4
        .value_kind:     by_value
      - .offset:         184
        .size:           4
        .value_kind:     by_value
      - .offset:         188
        .size:           4
        .value_kind:     by_value
      - .offset:         192
        .size:           4
        .value_kind:     by_value
      - .offset:         200
        .size:           8
        .value_kind:     by_value
      - .offset:         208
        .size:           4
        .value_kind:     hidden_block_count_x
      - .offset:         212
        .size:           4
        .value_kind:     hidden_block_count_y
      - .offset:         216
        .size:           4
        .value_kind:     hidden_block_count_z
      - .offset:         220
        .size:           2
        .value_kind:     hidden_group_size_x
      - .offset:         222
        .size:           2
        .value_kind:     hidden_group_size_y
      - .offset:         224
        .size:           2
        .value_kind:     hidden_group_size_z
      - .offset:         226
        .size:           2
        .value_kind:     hidden_remainder_x
      - .offset:         228
        .size:           2
        .value_kind:     hidden_remainder_y
      - .offset:         230
        .size:           2
        .value_kind:     hidden_remainder_z
      - .offset:         248
        .size:           8
        .value_kind:     hidden_global_offset_x
      - .offset:         256
        .size:           8
        .value_kind:     hidden_global_offset_y
      - .offset:         264
        .size:           8
        .value_kind:     hidden_global_offset_z
      - .offset:         272
        .size:           2
        .value_kind:     hidden_grid_dims
    .group_segment_fixed_size: 19488
    .kernarg_segment_align: 8
    .kernarg_segment_size: 464
    .language:       OpenCL C
    .language_version:
      - 2
      - 0
    .max_flat_workgroup_size: 256
    .name:           _ZL15flash_attn_tileILi128ELi128ELi1ELi2ELb0EEvPKcS1_S1_S1_S1_PKiPfP15HIP_vector_typeIfLj2EEffffjfiS5_IjLj3EEiiiiiiiiiiiliiliiiiil
    .private_segment_fixed_size: 0
    .sgpr_count:     50
    .sgpr_spill_count: 0
    .symbol:         _ZL15flash_attn_tileILi128ELi128ELi1ELi2ELb0EEvPKcS1_S1_S1_S1_PKiPfP15HIP_vector_typeIfLj2EEffffjfiS5_IjLj3EEiiiiiiiiiiiliiliiiiil.kd
    .uniform_work_group_size: 1
    .uses_dynamic_stack: false
    .vgpr_count:     126
    .vgpr_spill_count: 0
    .wavefront_size: 64
  - .agpr_count:     0
    .args:
      - .address_space:  global
        .offset:         0
        .size:           8
        .value_kind:     global_buffer
      - .address_space:  global
        .offset:         8
        .size:           8
        .value_kind:     global_buffer
      - .offset:         16
        .size:           4
        .value_kind:     by_value
      - .offset:         20
        .size:           4
        .value_kind:     by_value
      - .offset:         24
        .size:           4
        .value_kind:     by_value
      - .offset:         28
        .size:           4
        .value_kind:     by_value
      - .offset:         32
        .size:           4
        .value_kind:     by_value
      - .offset:         36
        .size:           4
        .value_kind:     by_value
      - .offset:         40
        .size:           12
        .value_kind:     by_value
      - .offset:         52
        .size:           12
        .value_kind:     by_value
      - .offset:         64
        .size:           12
        .value_kind:     by_value
    .group_segment_fixed_size: 0
    .kernarg_segment_align: 8
    .kernarg_segment_size: 76
    .language:       OpenCL C
    .language_version:
      - 2
      - 0
    .max_flat_workgroup_size: 128
    .name:           _ZL33flash_attn_stream_k_fixup_uniformILi128ELi1ELi2EEvPfPK15HIP_vector_typeIfLj2EEiiiiiiS1_IjLj3EES5_S5_
    .private_segment_fixed_size: 0
    .sgpr_count:     26
    .sgpr_spill_count: 0
    .symbol:         _ZL33flash_attn_stream_k_fixup_uniformILi128ELi1ELi2EEvPfPK15HIP_vector_typeIfLj2EEiiiiiiS1_IjLj3EES5_S5_.kd
    .uniform_work_group_size: 1
    .uses_dynamic_stack: false
    .vgpr_count:     17
    .vgpr_spill_count: 0
    .wavefront_size: 64
  - .agpr_count:     0
    .args:
      - .address_space:  global
        .offset:         0
        .size:           8
        .value_kind:     global_buffer
      - .address_space:  global
        .offset:         8
        .size:           8
        .value_kind:     global_buffer
      - .offset:         16
        .size:           4
        .value_kind:     by_value
      - .offset:         20
        .size:           4
        .value_kind:     by_value
      - .offset:         24
        .size:           4
        .value_kind:     by_value
      - .offset:         28
        .size:           4
        .value_kind:     by_value
      - .offset:         32
        .size:           12
        .value_kind:     by_value
      - .offset:         44
        .size:           12
        .value_kind:     by_value
      - .offset:         56
        .size:           12
        .value_kind:     by_value
      - .offset:         68
        .size:           12
        .value_kind:     by_value
      - .offset:         80
        .size:           4
        .value_kind:     hidden_block_count_x
      - .offset:         84
        .size:           4
        .value_kind:     hidden_block_count_y
      - .offset:         88
        .size:           4
        .value_kind:     hidden_block_count_z
      - .offset:         92
        .size:           2
        .value_kind:     hidden_group_size_x
      - .offset:         94
        .size:           2
        .value_kind:     hidden_group_size_y
      - .offset:         96
        .size:           2
        .value_kind:     hidden_group_size_z
      - .offset:         98
        .size:           2
        .value_kind:     hidden_remainder_x
      - .offset:         100
        .size:           2
        .value_kind:     hidden_remainder_y
      - .offset:         102
        .size:           2
        .value_kind:     hidden_remainder_z
      - .offset:         120
        .size:           8
        .value_kind:     hidden_global_offset_x
      - .offset:         128
        .size:           8
        .value_kind:     hidden_global_offset_y
      - .offset:         136
        .size:           8
        .value_kind:     hidden_global_offset_z
      - .offset:         144
        .size:           2
        .value_kind:     hidden_grid_dims
    .group_segment_fixed_size: 0
    .kernarg_segment_align: 8
    .kernarg_segment_size: 336
    .language:       OpenCL C
    .language_version:
      - 2
      - 0
    .max_flat_workgroup_size: 128
    .name:           _ZL33flash_attn_stream_k_fixup_generalILi128ELi1ELi2EEvPfPK15HIP_vector_typeIfLj2EEiiiiS1_IjLj3EES5_S5_S5_
    .private_segment_fixed_size: 0
    .sgpr_count:     43
    .sgpr_spill_count: 0
    .symbol:         _ZL33flash_attn_stream_k_fixup_generalILi128ELi1ELi2EEvPfPK15HIP_vector_typeIfLj2EEiiiiS1_IjLj3EES5_S5_S5_.kd
    .uniform_work_group_size: 1
    .uses_dynamic_stack: false
    .vgpr_count:     18
    .vgpr_spill_count: 0
    .wavefront_size: 64
  - .agpr_count:     0
    .args:
      - .address_space:  global
        .offset:         0
        .size:           8
        .value_kind:     global_buffer
      - .address_space:  global
        .offset:         8
        .size:           8
        .value_kind:     global_buffer
      - .address_space:  global
        .offset:         16
        .size:           8
        .value_kind:     global_buffer
      - .address_space:  global
        .offset:         24
        .size:           8
        .value_kind:     global_buffer
      - .address_space:  global
        .offset:         32
        .size:           8
        .value_kind:     global_buffer
      - .address_space:  global
        .offset:         40
        .size:           8
        .value_kind:     global_buffer
      - .address_space:  global
        .offset:         48
        .size:           8
        .value_kind:     global_buffer
      - .address_space:  global
        .offset:         56
        .size:           8
        .value_kind:     global_buffer
      - .offset:         64
        .size:           4
        .value_kind:     by_value
      - .offset:         68
        .size:           4
        .value_kind:     by_value
      - .offset:         72
        .size:           4
        .value_kind:     by_value
      - .offset:         76
        .size:           4
        .value_kind:     by_value
      - .offset:         80
        .size:           4
        .value_kind:     by_value
      - .offset:         84
        .size:           4
        .value_kind:     by_value
      - .offset:         88
        .size:           4
        .value_kind:     by_value
      - .offset:         92
        .size:           12
        .value_kind:     by_value
      - .offset:         104
        .size:           4
        .value_kind:     by_value
      - .offset:         108
        .size:           4
        .value_kind:     by_value
      - .offset:         112
        .size:           4
        .value_kind:     by_value
      - .offset:         116
        .size:           4
        .value_kind:     by_value
      - .offset:         120
        .size:           4
        .value_kind:     by_value
      - .offset:         124
        .size:           4
        .value_kind:     by_value
      - .offset:         128
        .size:           4
        .value_kind:     by_value
      - .offset:         132
        .size:           4
        .value_kind:     by_value
      - .offset:         136
        .size:           4
        .value_kind:     by_value
      - .offset:         140
        .size:           4
        .value_kind:     by_value
      - .offset:         144
        .size:           4
        .value_kind:     by_value
      - .offset:         152
        .size:           8
        .value_kind:     by_value
      - .offset:         160
        .size:           4
        .value_kind:     by_value
      - .offset:         164
        .size:           4
        .value_kind:     by_value
      - .offset:         168
        .size:           8
        .value_kind:     by_value
      - .offset:         176
        .size:           4
        .value_kind:     by_value
      - .offset:         180
        .size:           4
        .value_kind:     by_value
      - .offset:         184
        .size:           4
        .value_kind:     by_value
      - .offset:         188
        .size:           4
        .value_kind:     by_value
      - .offset:         192
        .size:           4
        .value_kind:     by_value
      - .offset:         200
        .size:           8
        .value_kind:     by_value
      - .offset:         208
        .size:           4
        .value_kind:     hidden_block_count_x
      - .offset:         212
        .size:           4
        .value_kind:     hidden_block_count_y
      - .offset:         216
        .size:           4
        .value_kind:     hidden_block_count_z
      - .offset:         220
        .size:           2
        .value_kind:     hidden_group_size_x
      - .offset:         222
        .size:           2
        .value_kind:     hidden_group_size_y
      - .offset:         224
        .size:           2
        .value_kind:     hidden_group_size_z
      - .offset:         226
        .size:           2
        .value_kind:     hidden_remainder_x
      - .offset:         228
        .size:           2
        .value_kind:     hidden_remainder_y
      - .offset:         230
        .size:           2
        .value_kind:     hidden_remainder_z
      - .offset:         248
        .size:           8
        .value_kind:     hidden_global_offset_x
      - .offset:         256
        .size:           8
        .value_kind:     hidden_global_offset_y
      - .offset:         264
        .size:           8
        .value_kind:     hidden_global_offset_z
      - .offset:         272
        .size:           2
        .value_kind:     hidden_grid_dims
    .group_segment_fixed_size: 29696
    .kernarg_segment_align: 8
    .kernarg_segment_size: 464
    .language:       OpenCL C
    .language_version:
      - 2
      - 0
    .max_flat_workgroup_size: 256
    .name:           _ZL15flash_attn_tileILi128ELi128ELi64ELi1ELb0EEvPKcS1_S1_S1_S1_PKiPfP15HIP_vector_typeIfLj2EEffffjfiS5_IjLj3EEiiiiiiiiiiiliiliiiiil
    .private_segment_fixed_size: 32
    .sgpr_count:     54
    .sgpr_spill_count: 0
    .symbol:         _ZL15flash_attn_tileILi128ELi128ELi64ELi1ELb0EEvPKcS1_S1_S1_S1_PKiPfP15HIP_vector_typeIfLj2EEffffjfiS5_IjLj3EEiiiiiiiiiiiliiliiiiil.kd
    .uniform_work_group_size: 1
    .uses_dynamic_stack: false
    .vgpr_count:     146
    .vgpr_spill_count: 0
    .wavefront_size: 64
  - .agpr_count:     0
    .args:
      - .actual_access:  read_only
        .address_space:  global
        .offset:         0
        .size:           8
        .value_kind:     global_buffer
      - .actual_access:  write_only
        .address_space:  global
        .offset:         8
        .size:           8
        .value_kind:     global_buffer
      - .offset:         16
        .size:           4
        .value_kind:     by_value
      - .offset:         20
        .size:           4
        .value_kind:     by_value
      - .offset:         24
        .size:           4
        .value_kind:     by_value
      - .offset:         32
        .size:           4
        .value_kind:     hidden_block_count_x
      - .offset:         36
        .size:           4
        .value_kind:     hidden_block_count_y
      - .offset:         40
        .size:           4
        .value_kind:     hidden_block_count_z
      - .offset:         44
        .size:           2
        .value_kind:     hidden_group_size_x
      - .offset:         46
        .size:           2
        .value_kind:     hidden_group_size_y
      - .offset:         48
        .size:           2
        .value_kind:     hidden_group_size_z
      - .offset:         50
        .size:           2
        .value_kind:     hidden_remainder_x
      - .offset:         52
        .size:           2
        .value_kind:     hidden_remainder_y
      - .offset:         54
        .size:           2
        .value_kind:     hidden_remainder_z
      - .offset:         72
        .size:           8
        .value_kind:     hidden_global_offset_x
      - .offset:         80
        .size:           8
        .value_kind:     hidden_global_offset_y
      - .offset:         88
        .size:           8
        .value_kind:     hidden_global_offset_z
      - .offset:         96
        .size:           2
        .value_kind:     hidden_grid_dims
    .group_segment_fixed_size: 128
    .kernarg_segment_align: 8
    .kernarg_segment_size: 288
    .language:       OpenCL C
    .language_version:
      - 2
      - 0
    .max_flat_workgroup_size: 128
    .name:           _ZL25flash_attn_mask_to_KV_maxILi64EEvPK7__half2Piiii
    .private_segment_fixed_size: 0
    .sgpr_count:     106
    .sgpr_spill_count: 170
    .symbol:         _ZL25flash_attn_mask_to_KV_maxILi64EEvPK7__half2Piiii.kd
    .uniform_work_group_size: 1
    .uses_dynamic_stack: false
    .vgpr_count:     15
    .vgpr_spill_count: 0
    .wavefront_size: 64
  - .agpr_count:     0
    .args:
      - .address_space:  global
        .offset:         0
        .size:           8
        .value_kind:     global_buffer
      - .address_space:  global
        .offset:         8
        .size:           8
        .value_kind:     global_buffer
      - .offset:         16
        .size:           4
        .value_kind:     by_value
      - .offset:         20
        .size:           4
        .value_kind:     by_value
      - .offset:         24
        .size:           4
        .value_kind:     by_value
      - .offset:         28
        .size:           4
        .value_kind:     by_value
      - .offset:         32
        .size:           4
        .value_kind:     by_value
      - .offset:         36
        .size:           4
        .value_kind:     by_value
      - .offset:         40
        .size:           12
        .value_kind:     by_value
      - .offset:         52
        .size:           12
        .value_kind:     by_value
      - .offset:         64
        .size:           12
        .value_kind:     by_value
    .group_segment_fixed_size: 0
    .kernarg_segment_align: 8
    .kernarg_segment_size: 76
    .language:       OpenCL C
    .language_version:
      - 2
      - 0
    .max_flat_workgroup_size: 128
    .name:           _ZL33flash_attn_stream_k_fixup_uniformILi128ELi64ELi1EEvPfPK15HIP_vector_typeIfLj2EEiiiiiiS1_IjLj3EES5_S5_
    .private_segment_fixed_size: 0
    .sgpr_count:     30
    .sgpr_spill_count: 0
    .symbol:         _ZL33flash_attn_stream_k_fixup_uniformILi128ELi64ELi1EEvPfPK15HIP_vector_typeIfLj2EEiiiiiiS1_IjLj3EES5_S5_.kd
    .uniform_work_group_size: 1
    .uses_dynamic_stack: false
    .vgpr_count:     17
    .vgpr_spill_count: 0
    .wavefront_size: 64
  - .agpr_count:     0
    .args:
      - .address_space:  global
        .offset:         0
        .size:           8
        .value_kind:     global_buffer
      - .address_space:  global
        .offset:         8
        .size:           8
        .value_kind:     global_buffer
      - .offset:         16
        .size:           4
        .value_kind:     by_value
      - .offset:         20
        .size:           4
        .value_kind:     by_value
      - .offset:         24
        .size:           4
        .value_kind:     by_value
      - .offset:         28
        .size:           4
        .value_kind:     by_value
      - .offset:         32
        .size:           12
        .value_kind:     by_value
      - .offset:         44
        .size:           12
        .value_kind:     by_value
      - .offset:         56
        .size:           12
        .value_kind:     by_value
      - .offset:         68
        .size:           12
        .value_kind:     by_value
      - .offset:         80
        .size:           4
        .value_kind:     hidden_block_count_x
      - .offset:         84
        .size:           4
        .value_kind:     hidden_block_count_y
      - .offset:         88
        .size:           4
        .value_kind:     hidden_block_count_z
      - .offset:         92
        .size:           2
        .value_kind:     hidden_group_size_x
      - .offset:         94
        .size:           2
        .value_kind:     hidden_group_size_y
      - .offset:         96
        .size:           2
        .value_kind:     hidden_group_size_z
      - .offset:         98
        .size:           2
        .value_kind:     hidden_remainder_x
      - .offset:         100
        .size:           2
        .value_kind:     hidden_remainder_y
      - .offset:         102
        .size:           2
        .value_kind:     hidden_remainder_z
      - .offset:         120
        .size:           8
        .value_kind:     hidden_global_offset_x
      - .offset:         128
        .size:           8
        .value_kind:     hidden_global_offset_y
      - .offset:         136
        .size:           8
        .value_kind:     hidden_global_offset_z
      - .offset:         144
        .size:           2
        .value_kind:     hidden_grid_dims
    .group_segment_fixed_size: 0
    .kernarg_segment_align: 8
    .kernarg_segment_size: 336
    .language:       OpenCL C
    .language_version:
      - 2
      - 0
    .max_flat_workgroup_size: 128
    .name:           _ZL33flash_attn_stream_k_fixup_generalILi128ELi64ELi1EEvPfPK15HIP_vector_typeIfLj2EEiiiiS1_IjLj3EES5_S5_S5_
    .private_segment_fixed_size: 0
    .sgpr_count:     42
    .sgpr_spill_count: 0
    .symbol:         _ZL33flash_attn_stream_k_fixup_generalILi128ELi64ELi1EEvPfPK15HIP_vector_typeIfLj2EEiiiiS1_IjLj3EES5_S5_S5_.kd
    .uniform_work_group_size: 1
    .uses_dynamic_stack: false
    .vgpr_count:     18
    .vgpr_spill_count: 0
    .wavefront_size: 64
  - .agpr_count:     0
    .args:
      - .address_space:  global
        .offset:         0
        .size:           8
        .value_kind:     global_buffer
      - .address_space:  global
        .offset:         8
        .size:           8
        .value_kind:     global_buffer
      - .address_space:  global
        .offset:         16
        .size:           8
        .value_kind:     global_buffer
      - .address_space:  global
        .offset:         24
        .size:           8
        .value_kind:     global_buffer
      - .address_space:  global
        .offset:         32
        .size:           8
        .value_kind:     global_buffer
      - .address_space:  global
        .offset:         40
        .size:           8
        .value_kind:     global_buffer
      - .address_space:  global
        .offset:         48
        .size:           8
        .value_kind:     global_buffer
      - .address_space:  global
        .offset:         56
        .size:           8
        .value_kind:     global_buffer
      - .offset:         64
        .size:           4
        .value_kind:     by_value
      - .offset:         68
        .size:           4
        .value_kind:     by_value
      - .offset:         72
        .size:           4
        .value_kind:     by_value
      - .offset:         76
        .size:           4
        .value_kind:     by_value
      - .offset:         80
        .size:           4
        .value_kind:     by_value
      - .offset:         84
        .size:           4
        .value_kind:     by_value
      - .offset:         88
        .size:           4
        .value_kind:     by_value
      - .offset:         92
        .size:           12
        .value_kind:     by_value
      - .offset:         104
        .size:           4
        .value_kind:     by_value
      - .offset:         108
        .size:           4
        .value_kind:     by_value
      - .offset:         112
        .size:           4
        .value_kind:     by_value
      - .offset:         116
        .size:           4
        .value_kind:     by_value
      - .offset:         120
        .size:           4
        .value_kind:     by_value
      - .offset:         124
        .size:           4
        .value_kind:     by_value
      - .offset:         128
        .size:           4
        .value_kind:     by_value
      - .offset:         132
        .size:           4
        .value_kind:     by_value
      - .offset:         136
        .size:           4
        .value_kind:     by_value
      - .offset:         140
        .size:           4
        .value_kind:     by_value
      - .offset:         144
        .size:           4
        .value_kind:     by_value
      - .offset:         152
        .size:           8
        .value_kind:     by_value
      - .offset:         160
        .size:           4
        .value_kind:     by_value
      - .offset:         164
        .size:           4
        .value_kind:     by_value
      - .offset:         168
        .size:           8
        .value_kind:     by_value
      - .offset:         176
        .size:           4
        .value_kind:     by_value
      - .offset:         180
        .size:           4
        .value_kind:     by_value
      - .offset:         184
        .size:           4
        .value_kind:     by_value
      - .offset:         188
        .size:           4
        .value_kind:     by_value
      - .offset:         192
        .size:           4
        .value_kind:     by_value
      - .offset:         200
        .size:           8
        .value_kind:     by_value
      - .offset:         208
        .size:           4
        .value_kind:     hidden_block_count_x
      - .offset:         212
        .size:           4
        .value_kind:     hidden_block_count_y
      - .offset:         216
        .size:           4
        .value_kind:     hidden_block_count_z
      - .offset:         220
        .size:           2
        .value_kind:     hidden_group_size_x
      - .offset:         222
        .size:           2
        .value_kind:     hidden_group_size_y
      - .offset:         224
        .size:           2
        .value_kind:     hidden_group_size_z
      - .offset:         226
        .size:           2
        .value_kind:     hidden_remainder_x
      - .offset:         228
        .size:           2
        .value_kind:     hidden_remainder_y
      - .offset:         230
        .size:           2
        .value_kind:     hidden_remainder_z
      - .offset:         248
        .size:           8
        .value_kind:     hidden_global_offset_x
      - .offset:         256
        .size:           8
        .value_kind:     hidden_global_offset_y
      - .offset:         264
        .size:           8
        .value_kind:     hidden_global_offset_z
      - .offset:         272
        .size:           2
        .value_kind:     hidden_grid_dims
    .group_segment_fixed_size: 21504
    .kernarg_segment_align: 8
    .kernarg_segment_size: 464
    .language:       OpenCL C
    .language_version:
      - 2
      - 0
    .max_flat_workgroup_size: 256
    .name:           _ZL15flash_attn_tileILi128ELi128ELi32ELi1ELb0EEvPKcS1_S1_S1_S1_PKiPfP15HIP_vector_typeIfLj2EEffffjfiS5_IjLj3EEiiiiiiiiiiiliiliiiiil
    .private_segment_fixed_size: 32
    .sgpr_count:     54
    .sgpr_spill_count: 0
    .symbol:         _ZL15flash_attn_tileILi128ELi128ELi32ELi1ELb0EEvPKcS1_S1_S1_S1_PKiPfP15HIP_vector_typeIfLj2EEffffjfiS5_IjLj3EEiiiiiiiiiiiliiliiiiil.kd
    .uniform_work_group_size: 1
    .uses_dynamic_stack: false
    .vgpr_count:     114
    .vgpr_spill_count: 0
    .wavefront_size: 64
  - .agpr_count:     0
    .args:
      - .address_space:  global
        .offset:         0
        .size:           8
        .value_kind:     global_buffer
      - .address_space:  global
        .offset:         8
        .size:           8
        .value_kind:     global_buffer
      - .offset:         16
        .size:           4
        .value_kind:     by_value
      - .offset:         20
        .size:           4
        .value_kind:     by_value
      - .offset:         24
        .size:           4
        .value_kind:     by_value
      - .offset:         28
        .size:           4
        .value_kind:     by_value
      - .offset:         32
        .size:           4
        .value_kind:     by_value
      - .offset:         36
        .size:           4
        .value_kind:     by_value
      - .offset:         40
        .size:           12
        .value_kind:     by_value
      - .offset:         52
        .size:           12
        .value_kind:     by_value
      - .offset:         64
        .size:           12
        .value_kind:     by_value
    .group_segment_fixed_size: 0
    .kernarg_segment_align: 8
    .kernarg_segment_size: 76
    .language:       OpenCL C
    .language_version:
      - 2
      - 0
    .max_flat_workgroup_size: 128
    .name:           _ZL33flash_attn_stream_k_fixup_uniformILi128ELi32ELi1EEvPfPK15HIP_vector_typeIfLj2EEiiiiiiS1_IjLj3EES5_S5_
    .private_segment_fixed_size: 0
    .sgpr_count:     30
    .sgpr_spill_count: 0
    .symbol:         _ZL33flash_attn_stream_k_fixup_uniformILi128ELi32ELi1EEvPfPK15HIP_vector_typeIfLj2EEiiiiiiS1_IjLj3EES5_S5_.kd
    .uniform_work_group_size: 1
    .uses_dynamic_stack: false
    .vgpr_count:     17
    .vgpr_spill_count: 0
    .wavefront_size: 64
  - .agpr_count:     0
    .args:
      - .address_space:  global
        .offset:         0
        .size:           8
        .value_kind:     global_buffer
      - .address_space:  global
        .offset:         8
        .size:           8
        .value_kind:     global_buffer
      - .offset:         16
        .size:           4
        .value_kind:     by_value
      - .offset:         20
        .size:           4
        .value_kind:     by_value
      - .offset:         24
        .size:           4
        .value_kind:     by_value
      - .offset:         28
        .size:           4
        .value_kind:     by_value
      - .offset:         32
        .size:           12
        .value_kind:     by_value
      - .offset:         44
        .size:           12
        .value_kind:     by_value
      - .offset:         56
        .size:           12
        .value_kind:     by_value
      - .offset:         68
        .size:           12
        .value_kind:     by_value
      - .offset:         80
        .size:           4
        .value_kind:     hidden_block_count_x
      - .offset:         84
        .size:           4
        .value_kind:     hidden_block_count_y
      - .offset:         88
        .size:           4
        .value_kind:     hidden_block_count_z
      - .offset:         92
        .size:           2
        .value_kind:     hidden_group_size_x
      - .offset:         94
        .size:           2
        .value_kind:     hidden_group_size_y
      - .offset:         96
        .size:           2
        .value_kind:     hidden_group_size_z
      - .offset:         98
        .size:           2
        .value_kind:     hidden_remainder_x
      - .offset:         100
        .size:           2
        .value_kind:     hidden_remainder_y
      - .offset:         102
        .size:           2
        .value_kind:     hidden_remainder_z
      - .offset:         120
        .size:           8
        .value_kind:     hidden_global_offset_x
      - .offset:         128
        .size:           8
        .value_kind:     hidden_global_offset_y
      - .offset:         136
        .size:           8
        .value_kind:     hidden_global_offset_z
      - .offset:         144
        .size:           2
        .value_kind:     hidden_grid_dims
    .group_segment_fixed_size: 0
    .kernarg_segment_align: 8
    .kernarg_segment_size: 336
    .language:       OpenCL C
    .language_version:
      - 2
      - 0
    .max_flat_workgroup_size: 128
    .name:           _ZL33flash_attn_stream_k_fixup_generalILi128ELi32ELi1EEvPfPK15HIP_vector_typeIfLj2EEiiiiS1_IjLj3EES5_S5_S5_
    .private_segment_fixed_size: 0
    .sgpr_count:     42
    .sgpr_spill_count: 0
    .symbol:         _ZL33flash_attn_stream_k_fixup_generalILi128ELi32ELi1EEvPfPK15HIP_vector_typeIfLj2EEiiiiS1_IjLj3EES5_S5_S5_.kd
    .uniform_work_group_size: 1
    .uses_dynamic_stack: false
    .vgpr_count:     18
    .vgpr_spill_count: 0
    .wavefront_size: 64
  - .agpr_count:     0
    .args:
      - .address_space:  global
        .offset:         0
        .size:           8
        .value_kind:     global_buffer
      - .address_space:  global
        .offset:         8
        .size:           8
        .value_kind:     global_buffer
      - .address_space:  global
        .offset:         16
        .size:           8
        .value_kind:     global_buffer
      - .address_space:  global
        .offset:         24
        .size:           8
        .value_kind:     global_buffer
      - .address_space:  global
        .offset:         32
        .size:           8
        .value_kind:     global_buffer
      - .address_space:  global
        .offset:         40
        .size:           8
        .value_kind:     global_buffer
      - .address_space:  global
        .offset:         48
        .size:           8
        .value_kind:     global_buffer
      - .address_space:  global
        .offset:         56
        .size:           8
        .value_kind:     global_buffer
      - .offset:         64
        .size:           4
        .value_kind:     by_value
      - .offset:         68
        .size:           4
        .value_kind:     by_value
      - .offset:         72
        .size:           4
        .value_kind:     by_value
      - .offset:         76
        .size:           4
        .value_kind:     by_value
      - .offset:         80
        .size:           4
        .value_kind:     by_value
      - .offset:         84
        .size:           4
        .value_kind:     by_value
      - .offset:         88
        .size:           4
        .value_kind:     by_value
      - .offset:         92
        .size:           12
        .value_kind:     by_value
      - .offset:         104
        .size:           4
        .value_kind:     by_value
      - .offset:         108
        .size:           4
        .value_kind:     by_value
      - .offset:         112
        .size:           4
        .value_kind:     by_value
      - .offset:         116
        .size:           4
        .value_kind:     by_value
      - .offset:         120
        .size:           4
        .value_kind:     by_value
      - .offset:         124
        .size:           4
        .value_kind:     by_value
      - .offset:         128
        .size:           4
        .value_kind:     by_value
      - .offset:         132
        .size:           4
        .value_kind:     by_value
      - .offset:         136
        .size:           4
        .value_kind:     by_value
      - .offset:         140
        .size:           4
        .value_kind:     by_value
      - .offset:         144
        .size:           4
        .value_kind:     by_value
      - .offset:         152
        .size:           8
        .value_kind:     by_value
      - .offset:         160
        .size:           4
        .value_kind:     by_value
      - .offset:         164
        .size:           4
        .value_kind:     by_value
      - .offset:         168
        .size:           8
        .value_kind:     by_value
      - .offset:         176
        .size:           4
        .value_kind:     by_value
      - .offset:         180
        .size:           4
        .value_kind:     by_value
      - .offset:         184
        .size:           4
        .value_kind:     by_value
      - .offset:         188
        .size:           4
        .value_kind:     by_value
      - .offset:         192
        .size:           4
        .value_kind:     by_value
      - .offset:         200
        .size:           8
        .value_kind:     by_value
      - .offset:         208
        .size:           4
        .value_kind:     hidden_block_count_x
      - .offset:         212
        .size:           4
        .value_kind:     hidden_block_count_y
      - .offset:         216
        .size:           4
        .value_kind:     hidden_block_count_z
      - .offset:         220
        .size:           2
        .value_kind:     hidden_group_size_x
      - .offset:         222
        .size:           2
        .value_kind:     hidden_group_size_y
      - .offset:         224
        .size:           2
        .value_kind:     hidden_group_size_z
      - .offset:         226
        .size:           2
        .value_kind:     hidden_remainder_x
      - .offset:         228
        .size:           2
        .value_kind:     hidden_remainder_y
      - .offset:         230
        .size:           2
        .value_kind:     hidden_remainder_z
      - .offset:         248
        .size:           8
        .value_kind:     hidden_global_offset_x
      - .offset:         256
        .size:           8
        .value_kind:     hidden_global_offset_y
      - .offset:         264
        .size:           8
        .value_kind:     hidden_global_offset_z
      - .offset:         272
        .size:           2
        .value_kind:     hidden_grid_dims
    .group_segment_fixed_size: 23552
    .kernarg_segment_align: 8
    .kernarg_segment_size: 464
    .language:       OpenCL C
    .language_version:
      - 2
      - 0
    .max_flat_workgroup_size: 256
    .name:           _ZL15flash_attn_tileILi128ELi128ELi16ELi1ELb0EEvPKcS1_S1_S1_S1_PKiPfP15HIP_vector_typeIfLj2EEffffjfiS5_IjLj3EEiiiiiiiiiiiliiliiiiil
    .private_segment_fixed_size: 32
    .sgpr_count:     54
    .sgpr_spill_count: 0
    .symbol:         _ZL15flash_attn_tileILi128ELi128ELi16ELi1ELb0EEvPKcS1_S1_S1_S1_PKiPfP15HIP_vector_typeIfLj2EEffffjfiS5_IjLj3EEiiiiiiiiiiiliiliiiiil.kd
    .uniform_work_group_size: 1
    .uses_dynamic_stack: false
    .vgpr_count:     108
    .vgpr_spill_count: 0
    .wavefront_size: 64
  - .agpr_count:     0
    .args:
      - .address_space:  global
        .offset:         0
        .size:           8
        .value_kind:     global_buffer
      - .address_space:  global
        .offset:         8
        .size:           8
        .value_kind:     global_buffer
      - .offset:         16
        .size:           4
        .value_kind:     by_value
      - .offset:         20
        .size:           4
        .value_kind:     by_value
      - .offset:         24
        .size:           4
        .value_kind:     by_value
      - .offset:         28
        .size:           4
        .value_kind:     by_value
      - .offset:         32
        .size:           4
        .value_kind:     by_value
      - .offset:         36
        .size:           4
        .value_kind:     by_value
      - .offset:         40
        .size:           12
        .value_kind:     by_value
      - .offset:         52
        .size:           12
        .value_kind:     by_value
      - .offset:         64
        .size:           12
        .value_kind:     by_value
    .group_segment_fixed_size: 0
    .kernarg_segment_align: 8
    .kernarg_segment_size: 76
    .language:       OpenCL C
    .language_version:
      - 2
      - 0
    .max_flat_workgroup_size: 128
    .name:           _ZL33flash_attn_stream_k_fixup_uniformILi128ELi16ELi1EEvPfPK15HIP_vector_typeIfLj2EEiiiiiiS1_IjLj3EES5_S5_
    .private_segment_fixed_size: 0
    .sgpr_count:     30
    .sgpr_spill_count: 0
    .symbol:         _ZL33flash_attn_stream_k_fixup_uniformILi128ELi16ELi1EEvPfPK15HIP_vector_typeIfLj2EEiiiiiiS1_IjLj3EES5_S5_.kd
    .uniform_work_group_size: 1
    .uses_dynamic_stack: false
    .vgpr_count:     17
    .vgpr_spill_count: 0
    .wavefront_size: 64
  - .agpr_count:     0
    .args:
      - .address_space:  global
        .offset:         0
        .size:           8
        .value_kind:     global_buffer
      - .address_space:  global
        .offset:         8
        .size:           8
        .value_kind:     global_buffer
      - .offset:         16
        .size:           4
        .value_kind:     by_value
      - .offset:         20
        .size:           4
        .value_kind:     by_value
      - .offset:         24
        .size:           4
        .value_kind:     by_value
      - .offset:         28
        .size:           4
        .value_kind:     by_value
      - .offset:         32
        .size:           12
        .value_kind:     by_value
      - .offset:         44
        .size:           12
        .value_kind:     by_value
      - .offset:         56
        .size:           12
        .value_kind:     by_value
      - .offset:         68
        .size:           12
        .value_kind:     by_value
      - .offset:         80
        .size:           4
        .value_kind:     hidden_block_count_x
      - .offset:         84
        .size:           4
        .value_kind:     hidden_block_count_y
      - .offset:         88
        .size:           4
        .value_kind:     hidden_block_count_z
      - .offset:         92
        .size:           2
        .value_kind:     hidden_group_size_x
      - .offset:         94
        .size:           2
        .value_kind:     hidden_group_size_y
      - .offset:         96
        .size:           2
        .value_kind:     hidden_group_size_z
      - .offset:         98
        .size:           2
        .value_kind:     hidden_remainder_x
      - .offset:         100
        .size:           2
        .value_kind:     hidden_remainder_y
      - .offset:         102
        .size:           2
        .value_kind:     hidden_remainder_z
      - .offset:         120
        .size:           8
        .value_kind:     hidden_global_offset_x
      - .offset:         128
        .size:           8
        .value_kind:     hidden_global_offset_y
      - .offset:         136
        .size:           8
        .value_kind:     hidden_global_offset_z
      - .offset:         144
        .size:           2
        .value_kind:     hidden_grid_dims
    .group_segment_fixed_size: 0
    .kernarg_segment_align: 8
    .kernarg_segment_size: 336
    .language:       OpenCL C
    .language_version:
      - 2
      - 0
    .max_flat_workgroup_size: 128
    .name:           _ZL33flash_attn_stream_k_fixup_generalILi128ELi16ELi1EEvPfPK15HIP_vector_typeIfLj2EEiiiiS1_IjLj3EES5_S5_S5_
    .private_segment_fixed_size: 0
    .sgpr_count:     42
    .sgpr_spill_count: 0
    .symbol:         _ZL33flash_attn_stream_k_fixup_generalILi128ELi16ELi1EEvPfPK15HIP_vector_typeIfLj2EEiiiiS1_IjLj3EES5_S5_S5_.kd
    .uniform_work_group_size: 1
    .uses_dynamic_stack: false
    .vgpr_count:     18
    .vgpr_spill_count: 0
    .wavefront_size: 64
  - .agpr_count:     0
    .args:
      - .address_space:  global
        .offset:         0
        .size:           8
        .value_kind:     global_buffer
      - .address_space:  global
        .offset:         8
        .size:           8
        .value_kind:     global_buffer
      - .address_space:  global
        .offset:         16
        .size:           8
        .value_kind:     global_buffer
      - .address_space:  global
        .offset:         24
        .size:           8
        .value_kind:     global_buffer
      - .address_space:  global
        .offset:         32
        .size:           8
        .value_kind:     global_buffer
      - .address_space:  global
        .offset:         40
        .size:           8
        .value_kind:     global_buffer
      - .address_space:  global
        .offset:         48
        .size:           8
        .value_kind:     global_buffer
      - .address_space:  global
        .offset:         56
        .size:           8
        .value_kind:     global_buffer
      - .offset:         64
        .size:           4
        .value_kind:     by_value
      - .offset:         68
        .size:           4
        .value_kind:     by_value
      - .offset:         72
        .size:           4
        .value_kind:     by_value
      - .offset:         76
        .size:           4
        .value_kind:     by_value
      - .offset:         80
        .size:           4
        .value_kind:     by_value
      - .offset:         84
        .size:           4
        .value_kind:     by_value
      - .offset:         88
        .size:           4
        .value_kind:     by_value
      - .offset:         92
        .size:           12
        .value_kind:     by_value
      - .offset:         104
        .size:           4
        .value_kind:     by_value
      - .offset:         108
        .size:           4
        .value_kind:     by_value
      - .offset:         112
        .size:           4
        .value_kind:     by_value
      - .offset:         116
        .size:           4
        .value_kind:     by_value
      - .offset:         120
        .size:           4
        .value_kind:     by_value
      - .offset:         124
        .size:           4
        .value_kind:     by_value
      - .offset:         128
        .size:           4
        .value_kind:     by_value
      - .offset:         132
        .size:           4
        .value_kind:     by_value
      - .offset:         136
        .size:           4
        .value_kind:     by_value
      - .offset:         140
        .size:           4
        .value_kind:     by_value
      - .offset:         144
        .size:           4
        .value_kind:     by_value
      - .offset:         152
        .size:           8
        .value_kind:     by_value
      - .offset:         160
        .size:           4
        .value_kind:     by_value
      - .offset:         164
        .size:           4
        .value_kind:     by_value
      - .offset:         168
        .size:           8
        .value_kind:     by_value
      - .offset:         176
        .size:           4
        .value_kind:     by_value
      - .offset:         180
        .size:           4
        .value_kind:     by_value
      - .offset:         184
        .size:           4
        .value_kind:     by_value
      - .offset:         188
        .size:           4
        .value_kind:     by_value
      - .offset:         192
        .size:           4
        .value_kind:     by_value
      - .offset:         200
        .size:           8
        .value_kind:     by_value
      - .offset:         208
        .size:           4
        .value_kind:     hidden_block_count_x
      - .offset:         212
        .size:           4
        .value_kind:     hidden_block_count_y
      - .offset:         216
        .size:           4
        .value_kind:     hidden_block_count_z
      - .offset:         220
        .size:           2
        .value_kind:     hidden_group_size_x
      - .offset:         222
        .size:           2
        .value_kind:     hidden_group_size_y
      - .offset:         224
        .size:           2
        .value_kind:     hidden_group_size_z
      - .offset:         226
        .size:           2
        .value_kind:     hidden_remainder_x
      - .offset:         228
        .size:           2
        .value_kind:     hidden_remainder_y
      - .offset:         230
        .size:           2
        .value_kind:     hidden_remainder_z
      - .offset:         248
        .size:           8
        .value_kind:     hidden_global_offset_x
      - .offset:         256
        .size:           8
        .value_kind:     hidden_global_offset_y
      - .offset:         264
        .size:           8
        .value_kind:     hidden_global_offset_z
      - .offset:         272
        .size:           2
        .value_kind:     hidden_grid_dims
    .group_segment_fixed_size: 20480
    .kernarg_segment_align: 8
    .kernarg_segment_size: 464
    .language:       OpenCL C
    .language_version:
      - 2
      - 0
    .max_flat_workgroup_size: 256
    .name:           _ZL15flash_attn_tileILi128ELi128ELi8ELi1ELb0EEvPKcS1_S1_S1_S1_PKiPfP15HIP_vector_typeIfLj2EEffffjfiS5_IjLj3EEiiiiiiiiiiiliiliiiiil
    .private_segment_fixed_size: 32
    .sgpr_count:     54
    .sgpr_spill_count: 0
    .symbol:         _ZL15flash_attn_tileILi128ELi128ELi8ELi1ELb0EEvPKcS1_S1_S1_S1_PKiPfP15HIP_vector_typeIfLj2EEffffjfiS5_IjLj3EEiiiiiiiiiiiliiliiiiil.kd
    .uniform_work_group_size: 1
    .uses_dynamic_stack: false
    .vgpr_count:     77
    .vgpr_spill_count: 0
    .wavefront_size: 64
  - .agpr_count:     0
    .args:
      - .address_space:  global
        .offset:         0
        .size:           8
        .value_kind:     global_buffer
      - .address_space:  global
        .offset:         8
        .size:           8
        .value_kind:     global_buffer
      - .offset:         16
        .size:           4
        .value_kind:     by_value
      - .offset:         20
        .size:           4
        .value_kind:     by_value
      - .offset:         24
        .size:           4
        .value_kind:     by_value
      - .offset:         28
        .size:           4
        .value_kind:     by_value
      - .offset:         32
        .size:           4
        .value_kind:     by_value
      - .offset:         36
        .size:           4
        .value_kind:     by_value
      - .offset:         40
        .size:           12
        .value_kind:     by_value
      - .offset:         52
        .size:           12
        .value_kind:     by_value
      - .offset:         64
        .size:           12
        .value_kind:     by_value
    .group_segment_fixed_size: 0
    .kernarg_segment_align: 8
    .kernarg_segment_size: 76
    .language:       OpenCL C
    .language_version:
      - 2
      - 0
    .max_flat_workgroup_size: 128
    .name:           _ZL33flash_attn_stream_k_fixup_uniformILi128ELi8ELi1EEvPfPK15HIP_vector_typeIfLj2EEiiiiiiS1_IjLj3EES5_S5_
    .private_segment_fixed_size: 0
    .sgpr_count:     30
    .sgpr_spill_count: 0
    .symbol:         _ZL33flash_attn_stream_k_fixup_uniformILi128ELi8ELi1EEvPfPK15HIP_vector_typeIfLj2EEiiiiiiS1_IjLj3EES5_S5_.kd
    .uniform_work_group_size: 1
    .uses_dynamic_stack: false
    .vgpr_count:     17
    .vgpr_spill_count: 0
    .wavefront_size: 64
  - .agpr_count:     0
    .args:
      - .address_space:  global
        .offset:         0
        .size:           8
        .value_kind:     global_buffer
      - .address_space:  global
        .offset:         8
        .size:           8
        .value_kind:     global_buffer
      - .offset:         16
        .size:           4
        .value_kind:     by_value
      - .offset:         20
        .size:           4
        .value_kind:     by_value
      - .offset:         24
        .size:           4
        .value_kind:     by_value
      - .offset:         28
        .size:           4
        .value_kind:     by_value
      - .offset:         32
        .size:           12
        .value_kind:     by_value
      - .offset:         44
        .size:           12
        .value_kind:     by_value
      - .offset:         56
        .size:           12
        .value_kind:     by_value
      - .offset:         68
        .size:           12
        .value_kind:     by_value
      - .offset:         80
        .size:           4
        .value_kind:     hidden_block_count_x
      - .offset:         84
        .size:           4
        .value_kind:     hidden_block_count_y
      - .offset:         88
        .size:           4
        .value_kind:     hidden_block_count_z
      - .offset:         92
        .size:           2
        .value_kind:     hidden_group_size_x
      - .offset:         94
        .size:           2
        .value_kind:     hidden_group_size_y
      - .offset:         96
        .size:           2
        .value_kind:     hidden_group_size_z
      - .offset:         98
        .size:           2
        .value_kind:     hidden_remainder_x
      - .offset:         100
        .size:           2
        .value_kind:     hidden_remainder_y
      - .offset:         102
        .size:           2
        .value_kind:     hidden_remainder_z
      - .offset:         120
        .size:           8
        .value_kind:     hidden_global_offset_x
      - .offset:         128
        .size:           8
        .value_kind:     hidden_global_offset_y
      - .offset:         136
        .size:           8
        .value_kind:     hidden_global_offset_z
      - .offset:         144
        .size:           2
        .value_kind:     hidden_grid_dims
    .group_segment_fixed_size: 0
    .kernarg_segment_align: 8
    .kernarg_segment_size: 336
    .language:       OpenCL C
    .language_version:
      - 2
      - 0
    .max_flat_workgroup_size: 128
    .name:           _ZL33flash_attn_stream_k_fixup_generalILi128ELi8ELi1EEvPfPK15HIP_vector_typeIfLj2EEiiiiS1_IjLj3EES5_S5_S5_
    .private_segment_fixed_size: 0
    .sgpr_count:     42
    .sgpr_spill_count: 0
    .symbol:         _ZL33flash_attn_stream_k_fixup_generalILi128ELi8ELi1EEvPfPK15HIP_vector_typeIfLj2EEiiiiS1_IjLj3EES5_S5_S5_.kd
    .uniform_work_group_size: 1
    .uses_dynamic_stack: false
    .vgpr_count:     18
    .vgpr_spill_count: 0
    .wavefront_size: 64
  - .agpr_count:     0
    .args:
      - .address_space:  global
        .offset:         0
        .size:           8
        .value_kind:     global_buffer
      - .address_space:  global
        .offset:         8
        .size:           8
        .value_kind:     global_buffer
      - .address_space:  global
        .offset:         16
        .size:           8
        .value_kind:     global_buffer
      - .address_space:  global
        .offset:         24
        .size:           8
        .value_kind:     global_buffer
      - .address_space:  global
        .offset:         32
        .size:           8
        .value_kind:     global_buffer
      - .address_space:  global
        .offset:         40
        .size:           8
        .value_kind:     global_buffer
      - .address_space:  global
        .offset:         48
        .size:           8
        .value_kind:     global_buffer
      - .address_space:  global
        .offset:         56
        .size:           8
        .value_kind:     global_buffer
      - .offset:         64
        .size:           4
        .value_kind:     by_value
      - .offset:         68
        .size:           4
        .value_kind:     by_value
      - .offset:         72
        .size:           4
        .value_kind:     by_value
      - .offset:         76
        .size:           4
        .value_kind:     by_value
      - .offset:         80
        .size:           4
        .value_kind:     by_value
      - .offset:         84
        .size:           4
        .value_kind:     by_value
      - .offset:         88
        .size:           4
        .value_kind:     by_value
      - .offset:         92
        .size:           12
        .value_kind:     by_value
      - .offset:         104
        .size:           4
        .value_kind:     by_value
      - .offset:         108
        .size:           4
        .value_kind:     by_value
      - .offset:         112
        .size:           4
        .value_kind:     by_value
      - .offset:         116
        .size:           4
        .value_kind:     by_value
      - .offset:         120
        .size:           4
        .value_kind:     by_value
      - .offset:         124
        .size:           4
        .value_kind:     by_value
      - .offset:         128
        .size:           4
        .value_kind:     by_value
      - .offset:         132
        .size:           4
        .value_kind:     by_value
      - .offset:         136
        .size:           4
        .value_kind:     by_value
      - .offset:         140
        .size:           4
        .value_kind:     by_value
      - .offset:         144
        .size:           4
        .value_kind:     by_value
      - .offset:         152
        .size:           8
        .value_kind:     by_value
      - .offset:         160
        .size:           4
        .value_kind:     by_value
      - .offset:         164
        .size:           4
        .value_kind:     by_value
      - .offset:         168
        .size:           8
        .value_kind:     by_value
      - .offset:         176
        .size:           4
        .value_kind:     by_value
      - .offset:         180
        .size:           4
        .value_kind:     by_value
      - .offset:         184
        .size:           4
        .value_kind:     by_value
      - .offset:         188
        .size:           4
        .value_kind:     by_value
      - .offset:         192
        .size:           4
        .value_kind:     by_value
      - .offset:         200
        .size:           8
        .value_kind:     by_value
      - .offset:         208
        .size:           4
        .value_kind:     hidden_block_count_x
      - .offset:         212
        .size:           4
        .value_kind:     hidden_block_count_y
      - .offset:         216
        .size:           4
        .value_kind:     hidden_block_count_z
      - .offset:         220
        .size:           2
        .value_kind:     hidden_group_size_x
      - .offset:         222
        .size:           2
        .value_kind:     hidden_group_size_y
      - .offset:         224
        .size:           2
        .value_kind:     hidden_group_size_z
      - .offset:         226
        .size:           2
        .value_kind:     hidden_remainder_x
      - .offset:         228
        .size:           2
        .value_kind:     hidden_remainder_y
      - .offset:         230
        .size:           2
        .value_kind:     hidden_remainder_z
      - .offset:         248
        .size:           8
        .value_kind:     hidden_global_offset_x
      - .offset:         256
        .size:           8
        .value_kind:     hidden_global_offset_y
      - .offset:         264
        .size:           8
        .value_kind:     hidden_global_offset_z
      - .offset:         272
        .size:           2
        .value_kind:     hidden_grid_dims
    .group_segment_fixed_size: 18944
    .kernarg_segment_align: 8
    .kernarg_segment_size: 464
    .language:       OpenCL C
    .language_version:
      - 2
      - 0
    .max_flat_workgroup_size: 128
    .name:           _ZL15flash_attn_tileILi128ELi128ELi4ELi1ELb0EEvPKcS1_S1_S1_S1_PKiPfP15HIP_vector_typeIfLj2EEffffjfiS5_IjLj3EEiiiiiiiiiiiliiliiiiil
    .private_segment_fixed_size: 32
    .sgpr_count:     49
    .sgpr_spill_count: 0
    .symbol:         _ZL15flash_attn_tileILi128ELi128ELi4ELi1ELb0EEvPKcS1_S1_S1_S1_PKiPfP15HIP_vector_typeIfLj2EEffffjfiS5_IjLj3EEiiiiiiiiiiiliiliiiiil.kd
    .uniform_work_group_size: 1
    .uses_dynamic_stack: false
    .vgpr_count:     137
    .vgpr_spill_count: 0
    .wavefront_size: 64
  - .agpr_count:     0
    .args:
      - .address_space:  global
        .offset:         0
        .size:           8
        .value_kind:     global_buffer
      - .address_space:  global
        .offset:         8
        .size:           8
        .value_kind:     global_buffer
      - .offset:         16
        .size:           4
        .value_kind:     by_value
      - .offset:         20
        .size:           4
        .value_kind:     by_value
      - .offset:         24
        .size:           4
        .value_kind:     by_value
      - .offset:         28
        .size:           4
        .value_kind:     by_value
      - .offset:         32
        .size:           4
        .value_kind:     by_value
      - .offset:         36
        .size:           4
        .value_kind:     by_value
      - .offset:         40
        .size:           12
        .value_kind:     by_value
      - .offset:         52
        .size:           12
        .value_kind:     by_value
      - .offset:         64
        .size:           12
        .value_kind:     by_value
    .group_segment_fixed_size: 0
    .kernarg_segment_align: 8
    .kernarg_segment_size: 76
    .language:       OpenCL C
    .language_version:
      - 2
      - 0
    .max_flat_workgroup_size: 128
    .name:           _ZL33flash_attn_stream_k_fixup_uniformILi128ELi4ELi1EEvPfPK15HIP_vector_typeIfLj2EEiiiiiiS1_IjLj3EES5_S5_
    .private_segment_fixed_size: 0
    .sgpr_count:     30
    .sgpr_spill_count: 0
    .symbol:         _ZL33flash_attn_stream_k_fixup_uniformILi128ELi4ELi1EEvPfPK15HIP_vector_typeIfLj2EEiiiiiiS1_IjLj3EES5_S5_.kd
    .uniform_work_group_size: 1
    .uses_dynamic_stack: false
    .vgpr_count:     17
    .vgpr_spill_count: 0
    .wavefront_size: 64
  - .agpr_count:     0
    .args:
      - .address_space:  global
        .offset:         0
        .size:           8
        .value_kind:     global_buffer
      - .address_space:  global
        .offset:         8
        .size:           8
        .value_kind:     global_buffer
      - .offset:         16
        .size:           4
        .value_kind:     by_value
      - .offset:         20
        .size:           4
        .value_kind:     by_value
      - .offset:         24
        .size:           4
        .value_kind:     by_value
      - .offset:         28
        .size:           4
        .value_kind:     by_value
      - .offset:         32
        .size:           12
        .value_kind:     by_value
      - .offset:         44
        .size:           12
        .value_kind:     by_value
      - .offset:         56
        .size:           12
        .value_kind:     by_value
      - .offset:         68
        .size:           12
        .value_kind:     by_value
      - .offset:         80
        .size:           4
        .value_kind:     hidden_block_count_x
      - .offset:         84
        .size:           4
        .value_kind:     hidden_block_count_y
      - .offset:         88
        .size:           4
        .value_kind:     hidden_block_count_z
      - .offset:         92
        .size:           2
        .value_kind:     hidden_group_size_x
      - .offset:         94
        .size:           2
        .value_kind:     hidden_group_size_y
      - .offset:         96
        .size:           2
        .value_kind:     hidden_group_size_z
      - .offset:         98
        .size:           2
        .value_kind:     hidden_remainder_x
      - .offset:         100
        .size:           2
        .value_kind:     hidden_remainder_y
      - .offset:         102
        .size:           2
        .value_kind:     hidden_remainder_z
      - .offset:         120
        .size:           8
        .value_kind:     hidden_global_offset_x
      - .offset:         128
        .size:           8
        .value_kind:     hidden_global_offset_y
      - .offset:         136
        .size:           8
        .value_kind:     hidden_global_offset_z
      - .offset:         144
        .size:           2
        .value_kind:     hidden_grid_dims
    .group_segment_fixed_size: 0
    .kernarg_segment_align: 8
    .kernarg_segment_size: 336
    .language:       OpenCL C
    .language_version:
      - 2
      - 0
    .max_flat_workgroup_size: 128
    .name:           _ZL33flash_attn_stream_k_fixup_generalILi128ELi4ELi1EEvPfPK15HIP_vector_typeIfLj2EEiiiiS1_IjLj3EES5_S5_S5_
    .private_segment_fixed_size: 0
    .sgpr_count:     42
    .sgpr_spill_count: 0
    .symbol:         _ZL33flash_attn_stream_k_fixup_generalILi128ELi4ELi1EEvPfPK15HIP_vector_typeIfLj2EEiiiiS1_IjLj3EES5_S5_S5_.kd
    .uniform_work_group_size: 1
    .uses_dynamic_stack: false
    .vgpr_count:     18
    .vgpr_spill_count: 0
    .wavefront_size: 64
  - .agpr_count:     0
    .args:
      - .address_space:  global
        .offset:         0
        .size:           8
        .value_kind:     global_buffer
      - .address_space:  global
        .offset:         8
        .size:           8
        .value_kind:     global_buffer
      - .address_space:  global
        .offset:         16
        .size:           8
        .value_kind:     global_buffer
      - .address_space:  global
        .offset:         24
        .size:           8
        .value_kind:     global_buffer
      - .address_space:  global
        .offset:         32
        .size:           8
        .value_kind:     global_buffer
      - .address_space:  global
        .offset:         40
        .size:           8
        .value_kind:     global_buffer
      - .address_space:  global
        .offset:         48
        .size:           8
        .value_kind:     global_buffer
      - .address_space:  global
        .offset:         56
        .size:           8
        .value_kind:     global_buffer
      - .offset:         64
        .size:           4
        .value_kind:     by_value
      - .offset:         68
        .size:           4
        .value_kind:     by_value
      - .offset:         72
        .size:           4
        .value_kind:     by_value
      - .offset:         76
        .size:           4
        .value_kind:     by_value
      - .offset:         80
        .size:           4
        .value_kind:     by_value
      - .offset:         84
        .size:           4
        .value_kind:     by_value
      - .offset:         88
        .size:           4
        .value_kind:     by_value
      - .offset:         92
        .size:           12
        .value_kind:     by_value
      - .offset:         104
        .size:           4
        .value_kind:     by_value
      - .offset:         108
        .size:           4
        .value_kind:     by_value
      - .offset:         112
        .size:           4
        .value_kind:     by_value
      - .offset:         116
        .size:           4
        .value_kind:     by_value
      - .offset:         120
        .size:           4
        .value_kind:     by_value
      - .offset:         124
        .size:           4
        .value_kind:     by_value
      - .offset:         128
        .size:           4
        .value_kind:     by_value
      - .offset:         132
        .size:           4
        .value_kind:     by_value
      - .offset:         136
        .size:           4
        .value_kind:     by_value
      - .offset:         140
        .size:           4
        .value_kind:     by_value
      - .offset:         144
        .size:           4
        .value_kind:     by_value
      - .offset:         152
        .size:           8
        .value_kind:     by_value
      - .offset:         160
        .size:           4
        .value_kind:     by_value
      - .offset:         164
        .size:           4
        .value_kind:     by_value
      - .offset:         168
        .size:           8
        .value_kind:     by_value
      - .offset:         176
        .size:           4
        .value_kind:     by_value
      - .offset:         180
        .size:           4
        .value_kind:     by_value
      - .offset:         184
        .size:           4
        .value_kind:     by_value
      - .offset:         188
        .size:           4
        .value_kind:     by_value
      - .offset:         192
        .size:           4
        .value_kind:     by_value
      - .offset:         200
        .size:           8
        .value_kind:     by_value
      - .offset:         208
        .size:           4
        .value_kind:     hidden_block_count_x
      - .offset:         212
        .size:           4
        .value_kind:     hidden_block_count_y
      - .offset:         216
        .size:           4
        .value_kind:     hidden_block_count_z
      - .offset:         220
        .size:           2
        .value_kind:     hidden_group_size_x
      - .offset:         222
        .size:           2
        .value_kind:     hidden_group_size_y
      - .offset:         224
        .size:           2
        .value_kind:     hidden_group_size_z
      - .offset:         226
        .size:           2
        .value_kind:     hidden_remainder_x
      - .offset:         228
        .size:           2
        .value_kind:     hidden_remainder_y
      - .offset:         230
        .size:           2
        .value_kind:     hidden_remainder_z
      - .offset:         248
        .size:           8
        .value_kind:     hidden_global_offset_x
      - .offset:         256
        .size:           8
        .value_kind:     hidden_global_offset_y
      - .offset:         264
        .size:           8
        .value_kind:     hidden_global_offset_z
      - .offset:         272
        .size:           2
        .value_kind:     hidden_grid_dims
    .group_segment_fixed_size: 19520
    .kernarg_segment_align: 8
    .kernarg_segment_size: 464
    .language:       OpenCL C
    .language_version:
      - 2
      - 0
    .max_flat_workgroup_size: 256
    .name:           _ZL15flash_attn_tileILi128ELi128ELi2ELi1ELb0EEvPKcS1_S1_S1_S1_PKiPfP15HIP_vector_typeIfLj2EEffffjfiS5_IjLj3EEiiiiiiiiiiiliiliiiiil
    .private_segment_fixed_size: 32
    .sgpr_count:     54
    .sgpr_spill_count: 0
    .symbol:         _ZL15flash_attn_tileILi128ELi128ELi2ELi1ELb0EEvPKcS1_S1_S1_S1_PKiPfP15HIP_vector_typeIfLj2EEffffjfiS5_IjLj3EEiiiiiiiiiiiliiliiiiil.kd
    .uniform_work_group_size: 1
    .uses_dynamic_stack: false
    .vgpr_count:     128
    .vgpr_spill_count: 0
    .wavefront_size: 64
  - .agpr_count:     0
    .args:
      - .address_space:  global
        .offset:         0
        .size:           8
        .value_kind:     global_buffer
      - .address_space:  global
        .offset:         8
        .size:           8
        .value_kind:     global_buffer
      - .offset:         16
        .size:           4
        .value_kind:     by_value
      - .offset:         20
        .size:           4
        .value_kind:     by_value
      - .offset:         24
        .size:           4
        .value_kind:     by_value
      - .offset:         28
        .size:           4
        .value_kind:     by_value
      - .offset:         32
        .size:           4
        .value_kind:     by_value
      - .offset:         36
        .size:           4
        .value_kind:     by_value
      - .offset:         40
        .size:           12
        .value_kind:     by_value
      - .offset:         52
        .size:           12
        .value_kind:     by_value
      - .offset:         64
        .size:           12
        .value_kind:     by_value
    .group_segment_fixed_size: 0
    .kernarg_segment_align: 8
    .kernarg_segment_size: 76
    .language:       OpenCL C
    .language_version:
      - 2
      - 0
    .max_flat_workgroup_size: 128
    .name:           _ZL33flash_attn_stream_k_fixup_uniformILi128ELi2ELi1EEvPfPK15HIP_vector_typeIfLj2EEiiiiiiS1_IjLj3EES5_S5_
    .private_segment_fixed_size: 0
    .sgpr_count:     30
    .sgpr_spill_count: 0
    .symbol:         _ZL33flash_attn_stream_k_fixup_uniformILi128ELi2ELi1EEvPfPK15HIP_vector_typeIfLj2EEiiiiiiS1_IjLj3EES5_S5_.kd
    .uniform_work_group_size: 1
    .uses_dynamic_stack: false
    .vgpr_count:     17
    .vgpr_spill_count: 0
    .wavefront_size: 64
  - .agpr_count:     0
    .args:
      - .address_space:  global
        .offset:         0
        .size:           8
        .value_kind:     global_buffer
      - .address_space:  global
        .offset:         8
        .size:           8
        .value_kind:     global_buffer
      - .offset:         16
        .size:           4
        .value_kind:     by_value
      - .offset:         20
        .size:           4
        .value_kind:     by_value
      - .offset:         24
        .size:           4
        .value_kind:     by_value
      - .offset:         28
        .size:           4
        .value_kind:     by_value
      - .offset:         32
        .size:           12
        .value_kind:     by_value
      - .offset:         44
        .size:           12
        .value_kind:     by_value
      - .offset:         56
        .size:           12
        .value_kind:     by_value
      - .offset:         68
        .size:           12
        .value_kind:     by_value
      - .offset:         80
        .size:           4
        .value_kind:     hidden_block_count_x
      - .offset:         84
        .size:           4
        .value_kind:     hidden_block_count_y
      - .offset:         88
        .size:           4
        .value_kind:     hidden_block_count_z
      - .offset:         92
        .size:           2
        .value_kind:     hidden_group_size_x
      - .offset:         94
        .size:           2
        .value_kind:     hidden_group_size_y
      - .offset:         96
        .size:           2
        .value_kind:     hidden_group_size_z
      - .offset:         98
        .size:           2
        .value_kind:     hidden_remainder_x
      - .offset:         100
        .size:           2
        .value_kind:     hidden_remainder_y
      - .offset:         102
        .size:           2
        .value_kind:     hidden_remainder_z
      - .offset:         120
        .size:           8
        .value_kind:     hidden_global_offset_x
      - .offset:         128
        .size:           8
        .value_kind:     hidden_global_offset_y
      - .offset:         136
        .size:           8
        .value_kind:     hidden_global_offset_z
      - .offset:         144
        .size:           2
        .value_kind:     hidden_grid_dims
    .group_segment_fixed_size: 0
    .kernarg_segment_align: 8
    .kernarg_segment_size: 336
    .language:       OpenCL C
    .language_version:
      - 2
      - 0
    .max_flat_workgroup_size: 128
    .name:           _ZL33flash_attn_stream_k_fixup_generalILi128ELi2ELi1EEvPfPK15HIP_vector_typeIfLj2EEiiiiS1_IjLj3EES5_S5_S5_
    .private_segment_fixed_size: 0
    .sgpr_count:     42
    .sgpr_spill_count: 0
    .symbol:         _ZL33flash_attn_stream_k_fixup_generalILi128ELi2ELi1EEvPfPK15HIP_vector_typeIfLj2EEiiiiS1_IjLj3EES5_S5_S5_.kd
    .uniform_work_group_size: 1
    .uses_dynamic_stack: false
    .vgpr_count:     18
    .vgpr_spill_count: 0
    .wavefront_size: 64
  - .agpr_count:     0
    .args:
      - .address_space:  global
        .offset:         0
        .size:           8
        .value_kind:     global_buffer
      - .address_space:  global
        .offset:         8
        .size:           8
        .value_kind:     global_buffer
      - .address_space:  global
        .offset:         16
        .size:           8
        .value_kind:     global_buffer
      - .address_space:  global
        .offset:         24
        .size:           8
        .value_kind:     global_buffer
      - .address_space:  global
        .offset:         32
        .size:           8
        .value_kind:     global_buffer
      - .address_space:  global
        .offset:         40
        .size:           8
        .value_kind:     global_buffer
      - .address_space:  global
        .offset:         48
        .size:           8
        .value_kind:     global_buffer
      - .address_space:  global
        .offset:         56
        .size:           8
        .value_kind:     global_buffer
      - .offset:         64
        .size:           4
        .value_kind:     by_value
      - .offset:         68
        .size:           4
        .value_kind:     by_value
      - .offset:         72
        .size:           4
        .value_kind:     by_value
      - .offset:         76
        .size:           4
        .value_kind:     by_value
      - .offset:         80
        .size:           4
        .value_kind:     by_value
      - .offset:         84
        .size:           4
        .value_kind:     by_value
      - .offset:         88
        .size:           4
        .value_kind:     by_value
      - .offset:         92
        .size:           12
        .value_kind:     by_value
      - .offset:         104
        .size:           4
        .value_kind:     by_value
      - .offset:         108
        .size:           4
        .value_kind:     by_value
      - .offset:         112
        .size:           4
        .value_kind:     by_value
      - .offset:         116
        .size:           4
        .value_kind:     by_value
      - .offset:         120
        .size:           4
        .value_kind:     by_value
      - .offset:         124
        .size:           4
        .value_kind:     by_value
      - .offset:         128
        .size:           4
        .value_kind:     by_value
      - .offset:         132
        .size:           4
        .value_kind:     by_value
      - .offset:         136
        .size:           4
        .value_kind:     by_value
      - .offset:         140
        .size:           4
        .value_kind:     by_value
      - .offset:         144
        .size:           4
        .value_kind:     by_value
      - .offset:         152
        .size:           8
        .value_kind:     by_value
      - .offset:         160
        .size:           4
        .value_kind:     by_value
      - .offset:         164
        .size:           4
        .value_kind:     by_value
      - .offset:         168
        .size:           8
        .value_kind:     by_value
      - .offset:         176
        .size:           4
        .value_kind:     by_value
      - .offset:         180
        .size:           4
        .value_kind:     by_value
      - .offset:         184
        .size:           4
        .value_kind:     by_value
      - .offset:         188
        .size:           4
        .value_kind:     by_value
      - .offset:         192
        .size:           4
        .value_kind:     by_value
      - .offset:         200
        .size:           8
        .value_kind:     by_value
      - .offset:         208
        .size:           4
        .value_kind:     hidden_block_count_x
      - .offset:         212
        .size:           4
        .value_kind:     hidden_block_count_y
      - .offset:         216
        .size:           4
        .value_kind:     hidden_block_count_z
      - .offset:         220
        .size:           2
        .value_kind:     hidden_group_size_x
      - .offset:         222
        .size:           2
        .value_kind:     hidden_group_size_y
      - .offset:         224
        .size:           2
        .value_kind:     hidden_group_size_z
      - .offset:         226
        .size:           2
        .value_kind:     hidden_remainder_x
      - .offset:         228
        .size:           2
        .value_kind:     hidden_remainder_y
      - .offset:         230
        .size:           2
        .value_kind:     hidden_remainder_z
      - .offset:         248
        .size:           8
        .value_kind:     hidden_global_offset_x
      - .offset:         256
        .size:           8
        .value_kind:     hidden_global_offset_y
      - .offset:         264
        .size:           8
        .value_kind:     hidden_global_offset_z
      - .offset:         272
        .size:           2
        .value_kind:     hidden_grid_dims
    .group_segment_fixed_size: 29696
    .kernarg_segment_align: 8
    .kernarg_segment_size: 464
    .language:       OpenCL C
    .language_version:
      - 2
      - 0
    .max_flat_workgroup_size: 256
    .name:           _ZL15flash_attn_tileILi128ELi128ELi8ELi8ELb1EEvPKcS1_S1_S1_S1_PKiPfP15HIP_vector_typeIfLj2EEffffjfiS5_IjLj3EEiiiiiiiiiiiliiliiiiil
    .private_segment_fixed_size: 0
    .sgpr_count:     46
    .sgpr_spill_count: 0
    .symbol:         _ZL15flash_attn_tileILi128ELi128ELi8ELi8ELb1EEvPKcS1_S1_S1_S1_PKiPfP15HIP_vector_typeIfLj2EEffffjfiS5_IjLj3EEiiiiiiiiiiiliiliiiiil.kd
    .uniform_work_group_size: 1
    .uses_dynamic_stack: false
    .vgpr_count:     108
    .vgpr_spill_count: 0
    .wavefront_size: 64
  - .agpr_count:     0
    .args:
      - .address_space:  global
        .offset:         0
        .size:           8
        .value_kind:     global_buffer
      - .address_space:  global
        .offset:         8
        .size:           8
        .value_kind:     global_buffer
      - .address_space:  global
        .offset:         16
        .size:           8
        .value_kind:     global_buffer
      - .address_space:  global
        .offset:         24
        .size:           8
        .value_kind:     global_buffer
      - .address_space:  global
        .offset:         32
        .size:           8
        .value_kind:     global_buffer
      - .address_space:  global
        .offset:         40
        .size:           8
        .value_kind:     global_buffer
      - .address_space:  global
        .offset:         48
        .size:           8
        .value_kind:     global_buffer
      - .address_space:  global
        .offset:         56
        .size:           8
        .value_kind:     global_buffer
      - .offset:         64
        .size:           4
        .value_kind:     by_value
      - .offset:         68
        .size:           4
        .value_kind:     by_value
      - .offset:         72
        .size:           4
        .value_kind:     by_value
      - .offset:         76
        .size:           4
        .value_kind:     by_value
      - .offset:         80
        .size:           4
        .value_kind:     by_value
      - .offset:         84
        .size:           4
        .value_kind:     by_value
      - .offset:         88
        .size:           4
        .value_kind:     by_value
      - .offset:         92
        .size:           12
        .value_kind:     by_value
      - .offset:         104
        .size:           4
        .value_kind:     by_value
      - .offset:         108
        .size:           4
        .value_kind:     by_value
      - .offset:         112
        .size:           4
        .value_kind:     by_value
      - .offset:         116
        .size:           4
        .value_kind:     by_value
      - .offset:         120
        .size:           4
        .value_kind:     by_value
      - .offset:         124
        .size:           4
        .value_kind:     by_value
      - .offset:         128
        .size:           4
        .value_kind:     by_value
      - .offset:         132
        .size:           4
        .value_kind:     by_value
      - .offset:         136
        .size:           4
        .value_kind:     by_value
      - .offset:         140
        .size:           4
        .value_kind:     by_value
      - .offset:         144
        .size:           4
        .value_kind:     by_value
      - .offset:         152
        .size:           8
        .value_kind:     by_value
      - .offset:         160
        .size:           4
        .value_kind:     by_value
      - .offset:         164
        .size:           4
        .value_kind:     by_value
      - .offset:         168
        .size:           8
        .value_kind:     by_value
      - .offset:         176
        .size:           4
        .value_kind:     by_value
      - .offset:         180
        .size:           4
        .value_kind:     by_value
      - .offset:         184
        .size:           4
        .value_kind:     by_value
      - .offset:         188
        .size:           4
        .value_kind:     by_value
      - .offset:         192
        .size:           4
        .value_kind:     by_value
      - .offset:         200
        .size:           8
        .value_kind:     by_value
      - .offset:         208
        .size:           4
        .value_kind:     hidden_block_count_x
      - .offset:         212
        .size:           4
        .value_kind:     hidden_block_count_y
      - .offset:         216
        .size:           4
        .value_kind:     hidden_block_count_z
      - .offset:         220
        .size:           2
        .value_kind:     hidden_group_size_x
      - .offset:         222
        .size:           2
        .value_kind:     hidden_group_size_y
      - .offset:         224
        .size:           2
        .value_kind:     hidden_group_size_z
      - .offset:         226
        .size:           2
        .value_kind:     hidden_remainder_x
      - .offset:         228
        .size:           2
        .value_kind:     hidden_remainder_y
      - .offset:         230
        .size:           2
        .value_kind:     hidden_remainder_z
      - .offset:         248
        .size:           8
        .value_kind:     hidden_global_offset_x
      - .offset:         256
        .size:           8
        .value_kind:     hidden_global_offset_y
      - .offset:         264
        .size:           8
        .value_kind:     hidden_global_offset_z
      - .offset:         272
        .size:           2
        .value_kind:     hidden_grid_dims
    .group_segment_fixed_size: 21504
    .kernarg_segment_align: 8
    .kernarg_segment_size: 464
    .language:       OpenCL C
    .language_version:
      - 2
      - 0
    .max_flat_workgroup_size: 256
    .name:           _ZL15flash_attn_tileILi128ELi128ELi4ELi8ELb1EEvPKcS1_S1_S1_S1_PKiPfP15HIP_vector_typeIfLj2EEffffjfiS5_IjLj3EEiiiiiiiiiiiliiliiiiil
    .private_segment_fixed_size: 0
    .sgpr_count:     46
    .sgpr_spill_count: 0
    .symbol:         _ZL15flash_attn_tileILi128ELi128ELi4ELi8ELb1EEvPKcS1_S1_S1_S1_PKiPfP15HIP_vector_typeIfLj2EEffffjfiS5_IjLj3EEiiiiiiiiiiiliiliiiiil.kd
    .uniform_work_group_size: 1
    .uses_dynamic_stack: false
    .vgpr_count:     95
    .vgpr_spill_count: 0
    .wavefront_size: 64
  - .agpr_count:     0
    .args:
      - .address_space:  global
        .offset:         0
        .size:           8
        .value_kind:     global_buffer
      - .address_space:  global
        .offset:         8
        .size:           8
        .value_kind:     global_buffer
      - .address_space:  global
        .offset:         16
        .size:           8
        .value_kind:     global_buffer
      - .address_space:  global
        .offset:         24
        .size:           8
        .value_kind:     global_buffer
      - .address_space:  global
        .offset:         32
        .size:           8
        .value_kind:     global_buffer
      - .address_space:  global
        .offset:         40
        .size:           8
        .value_kind:     global_buffer
      - .address_space:  global
        .offset:         48
        .size:           8
        .value_kind:     global_buffer
      - .address_space:  global
        .offset:         56
        .size:           8
        .value_kind:     global_buffer
      - .offset:         64
        .size:           4
        .value_kind:     by_value
      - .offset:         68
        .size:           4
        .value_kind:     by_value
      - .offset:         72
        .size:           4
        .value_kind:     by_value
      - .offset:         76
        .size:           4
        .value_kind:     by_value
      - .offset:         80
        .size:           4
        .value_kind:     by_value
      - .offset:         84
        .size:           4
        .value_kind:     by_value
      - .offset:         88
        .size:           4
        .value_kind:     by_value
      - .offset:         92
        .size:           12
        .value_kind:     by_value
      - .offset:         104
        .size:           4
        .value_kind:     by_value
      - .offset:         108
        .size:           4
        .value_kind:     by_value
      - .offset:         112
        .size:           4
        .value_kind:     by_value
      - .offset:         116
        .size:           4
        .value_kind:     by_value
      - .offset:         120
        .size:           4
        .value_kind:     by_value
      - .offset:         124
        .size:           4
        .value_kind:     by_value
      - .offset:         128
        .size:           4
        .value_kind:     by_value
      - .offset:         132
        .size:           4
        .value_kind:     by_value
      - .offset:         136
        .size:           4
        .value_kind:     by_value
      - .offset:         140
        .size:           4
        .value_kind:     by_value
      - .offset:         144
        .size:           4
        .value_kind:     by_value
      - .offset:         152
        .size:           8
        .value_kind:     by_value
      - .offset:         160
        .size:           4
        .value_kind:     by_value
      - .offset:         164
        .size:           4
        .value_kind:     by_value
      - .offset:         168
        .size:           8
        .value_kind:     by_value
      - .offset:         176
        .size:           4
        .value_kind:     by_value
      - .offset:         180
        .size:           4
        .value_kind:     by_value
      - .offset:         184
        .size:           4
        .value_kind:     by_value
      - .offset:         188
        .size:           4
        .value_kind:     by_value
      - .offset:         192
        .size:           4
        .value_kind:     by_value
      - .offset:         200
        .size:           8
        .value_kind:     by_value
      - .offset:         208
        .size:           4
        .value_kind:     hidden_block_count_x
      - .offset:         212
        .size:           4
        .value_kind:     hidden_block_count_y
      - .offset:         216
        .size:           4
        .value_kind:     hidden_block_count_z
      - .offset:         220
        .size:           2
        .value_kind:     hidden_group_size_x
      - .offset:         222
        .size:           2
        .value_kind:     hidden_group_size_y
      - .offset:         224
        .size:           2
        .value_kind:     hidden_group_size_z
      - .offset:         226
        .size:           2
        .value_kind:     hidden_remainder_x
      - .offset:         228
        .size:           2
        .value_kind:     hidden_remainder_y
      - .offset:         230
        .size:           2
        .value_kind:     hidden_remainder_z
      - .offset:         248
        .size:           8
        .value_kind:     hidden_global_offset_x
      - .offset:         256
        .size:           8
        .value_kind:     hidden_global_offset_y
      - .offset:         264
        .size:           8
        .value_kind:     hidden_global_offset_z
      - .offset:         272
        .size:           2
        .value_kind:     hidden_grid_dims
    .group_segment_fixed_size: 23552
    .kernarg_segment_align: 8
    .kernarg_segment_size: 464
    .language:       OpenCL C
    .language_version:
      - 2
      - 0
    .max_flat_workgroup_size: 256
    .name:           _ZL15flash_attn_tileILi128ELi128ELi2ELi8ELb1EEvPKcS1_S1_S1_S1_PKiPfP15HIP_vector_typeIfLj2EEffffjfiS5_IjLj3EEiiiiiiiiiiiliiliiiiil
    .private_segment_fixed_size: 0
    .sgpr_count:     46
    .sgpr_spill_count: 0
    .symbol:         _ZL15flash_attn_tileILi128ELi128ELi2ELi8ELb1EEvPKcS1_S1_S1_S1_PKiPfP15HIP_vector_typeIfLj2EEffffjfiS5_IjLj3EEiiiiiiiiiiiliiliiiiil.kd
    .uniform_work_group_size: 1
    .uses_dynamic_stack: false
    .vgpr_count:     84
    .vgpr_spill_count: 0
    .wavefront_size: 64
  - .agpr_count:     0
    .args:
      - .address_space:  global
        .offset:         0
        .size:           8
        .value_kind:     global_buffer
      - .address_space:  global
        .offset:         8
        .size:           8
        .value_kind:     global_buffer
      - .address_space:  global
        .offset:         16
        .size:           8
        .value_kind:     global_buffer
      - .address_space:  global
        .offset:         24
        .size:           8
        .value_kind:     global_buffer
      - .address_space:  global
        .offset:         32
        .size:           8
        .value_kind:     global_buffer
      - .address_space:  global
        .offset:         40
        .size:           8
        .value_kind:     global_buffer
      - .address_space:  global
        .offset:         48
        .size:           8
        .value_kind:     global_buffer
      - .address_space:  global
        .offset:         56
        .size:           8
        .value_kind:     global_buffer
      - .offset:         64
        .size:           4
        .value_kind:     by_value
      - .offset:         68
        .size:           4
        .value_kind:     by_value
      - .offset:         72
        .size:           4
        .value_kind:     by_value
      - .offset:         76
        .size:           4
        .value_kind:     by_value
      - .offset:         80
        .size:           4
        .value_kind:     by_value
      - .offset:         84
        .size:           4
        .value_kind:     by_value
      - .offset:         88
        .size:           4
        .value_kind:     by_value
      - .offset:         92
        .size:           12
        .value_kind:     by_value
      - .offset:         104
        .size:           4
        .value_kind:     by_value
      - .offset:         108
        .size:           4
        .value_kind:     by_value
      - .offset:         112
        .size:           4
        .value_kind:     by_value
      - .offset:         116
        .size:           4
        .value_kind:     by_value
      - .offset:         120
        .size:           4
        .value_kind:     by_value
      - .offset:         124
        .size:           4
        .value_kind:     by_value
      - .offset:         128
        .size:           4
        .value_kind:     by_value
      - .offset:         132
        .size:           4
        .value_kind:     by_value
      - .offset:         136
        .size:           4
        .value_kind:     by_value
      - .offset:         140
        .size:           4
        .value_kind:     by_value
      - .offset:         144
        .size:           4
        .value_kind:     by_value
      - .offset:         152
        .size:           8
        .value_kind:     by_value
      - .offset:         160
        .size:           4
        .value_kind:     by_value
      - .offset:         164
        .size:           4
        .value_kind:     by_value
      - .offset:         168
        .size:           8
        .value_kind:     by_value
      - .offset:         176
        .size:           4
        .value_kind:     by_value
      - .offset:         180
        .size:           4
        .value_kind:     by_value
      - .offset:         184
        .size:           4
        .value_kind:     by_value
      - .offset:         188
        .size:           4
        .value_kind:     by_value
      - .offset:         192
        .size:           4
        .value_kind:     by_value
      - .offset:         200
        .size:           8
        .value_kind:     by_value
      - .offset:         208
        .size:           4
        .value_kind:     hidden_block_count_x
      - .offset:         212
        .size:           4
        .value_kind:     hidden_block_count_y
      - .offset:         216
        .size:           4
        .value_kind:     hidden_block_count_z
      - .offset:         220
        .size:           2
        .value_kind:     hidden_group_size_x
      - .offset:         222
        .size:           2
        .value_kind:     hidden_group_size_y
      - .offset:         224
        .size:           2
        .value_kind:     hidden_group_size_z
      - .offset:         226
        .size:           2
        .value_kind:     hidden_remainder_x
      - .offset:         228
        .size:           2
        .value_kind:     hidden_remainder_y
      - .offset:         230
        .size:           2
        .value_kind:     hidden_remainder_z
      - .offset:         248
        .size:           8
        .value_kind:     hidden_global_offset_x
      - .offset:         256
        .size:           8
        .value_kind:     hidden_global_offset_y
      - .offset:         264
        .size:           8
        .value_kind:     hidden_global_offset_z
      - .offset:         272
        .size:           2
        .value_kind:     hidden_grid_dims
    .group_segment_fixed_size: 20480
    .kernarg_segment_align: 8
    .kernarg_segment_size: 464
    .language:       OpenCL C
    .language_version:
      - 2
      - 0
    .max_flat_workgroup_size: 256
    .name:           _ZL15flash_attn_tileILi128ELi128ELi1ELi8ELb1EEvPKcS1_S1_S1_S1_PKiPfP15HIP_vector_typeIfLj2EEffffjfiS5_IjLj3EEiiiiiiiiiiiliiliiiiil
    .private_segment_fixed_size: 0
    .sgpr_count:     46
    .sgpr_spill_count: 0
    .symbol:         _ZL15flash_attn_tileILi128ELi128ELi1ELi8ELb1EEvPKcS1_S1_S1_S1_PKiPfP15HIP_vector_typeIfLj2EEffffjfiS5_IjLj3EEiiiiiiiiiiiliiliiiiil.kd
    .uniform_work_group_size: 1
    .uses_dynamic_stack: false
    .vgpr_count:     78
    .vgpr_spill_count: 0
    .wavefront_size: 64
  - .agpr_count:     0
    .args:
      - .address_space:  global
        .offset:         0
        .size:           8
        .value_kind:     global_buffer
      - .address_space:  global
        .offset:         8
        .size:           8
        .value_kind:     global_buffer
      - .address_space:  global
        .offset:         16
        .size:           8
        .value_kind:     global_buffer
      - .address_space:  global
        .offset:         24
        .size:           8
        .value_kind:     global_buffer
      - .address_space:  global
        .offset:         32
        .size:           8
        .value_kind:     global_buffer
      - .address_space:  global
        .offset:         40
        .size:           8
        .value_kind:     global_buffer
      - .address_space:  global
        .offset:         48
        .size:           8
        .value_kind:     global_buffer
      - .address_space:  global
        .offset:         56
        .size:           8
        .value_kind:     global_buffer
      - .offset:         64
        .size:           4
        .value_kind:     by_value
      - .offset:         68
        .size:           4
        .value_kind:     by_value
      - .offset:         72
        .size:           4
        .value_kind:     by_value
      - .offset:         76
        .size:           4
        .value_kind:     by_value
      - .offset:         80
        .size:           4
        .value_kind:     by_value
      - .offset:         84
        .size:           4
        .value_kind:     by_value
      - .offset:         88
        .size:           4
        .value_kind:     by_value
      - .offset:         92
        .size:           12
        .value_kind:     by_value
      - .offset:         104
        .size:           4
        .value_kind:     by_value
      - .offset:         108
        .size:           4
        .value_kind:     by_value
      - .offset:         112
        .size:           4
        .value_kind:     by_value
      - .offset:         116
        .size:           4
        .value_kind:     by_value
      - .offset:         120
        .size:           4
        .value_kind:     by_value
      - .offset:         124
        .size:           4
        .value_kind:     by_value
      - .offset:         128
        .size:           4
        .value_kind:     by_value
      - .offset:         132
        .size:           4
        .value_kind:     by_value
      - .offset:         136
        .size:           4
        .value_kind:     by_value
      - .offset:         140
        .size:           4
        .value_kind:     by_value
      - .offset:         144
        .size:           4
        .value_kind:     by_value
      - .offset:         152
        .size:           8
        .value_kind:     by_value
      - .offset:         160
        .size:           4
        .value_kind:     by_value
      - .offset:         164
        .size:           4
        .value_kind:     by_value
      - .offset:         168
        .size:           8
        .value_kind:     by_value
      - .offset:         176
        .size:           4
        .value_kind:     by_value
      - .offset:         180
        .size:           4
        .value_kind:     by_value
      - .offset:         184
        .size:           4
        .value_kind:     by_value
      - .offset:         188
        .size:           4
        .value_kind:     by_value
      - .offset:         192
        .size:           4
        .value_kind:     by_value
      - .offset:         200
        .size:           8
        .value_kind:     by_value
      - .offset:         208
        .size:           4
        .value_kind:     hidden_block_count_x
      - .offset:         212
        .size:           4
        .value_kind:     hidden_block_count_y
      - .offset:         216
        .size:           4
        .value_kind:     hidden_block_count_z
      - .offset:         220
        .size:           2
        .value_kind:     hidden_group_size_x
      - .offset:         222
        .size:           2
        .value_kind:     hidden_group_size_y
      - .offset:         224
        .size:           2
        .value_kind:     hidden_group_size_z
      - .offset:         226
        .size:           2
        .value_kind:     hidden_remainder_x
      - .offset:         228
        .size:           2
        .value_kind:     hidden_remainder_y
      - .offset:         230
        .size:           2
        .value_kind:     hidden_remainder_z
      - .offset:         248
        .size:           8
        .value_kind:     hidden_global_offset_x
      - .offset:         256
        .size:           8
        .value_kind:     hidden_global_offset_y
      - .offset:         264
        .size:           8
        .value_kind:     hidden_global_offset_z
      - .offset:         272
        .size:           2
        .value_kind:     hidden_grid_dims
    .group_segment_fixed_size: 29696
    .kernarg_segment_align: 8
    .kernarg_segment_size: 464
    .language:       OpenCL C
    .language_version:
      - 2
      - 0
    .max_flat_workgroup_size: 256
    .name:           _ZL15flash_attn_tileILi128ELi128ELi16ELi4ELb1EEvPKcS1_S1_S1_S1_PKiPfP15HIP_vector_typeIfLj2EEffffjfiS5_IjLj3EEiiiiiiiiiiiliiliiiiil
    .private_segment_fixed_size: 0
    .sgpr_count:     52
    .sgpr_spill_count: 0
    .symbol:         _ZL15flash_attn_tileILi128ELi128ELi16ELi4ELb1EEvPKcS1_S1_S1_S1_PKiPfP15HIP_vector_typeIfLj2EEffffjfiS5_IjLj3EEiiiiiiiiiiiliiliiiiil.kd
    .uniform_work_group_size: 1
    .uses_dynamic_stack: false
    .vgpr_count:     118
    .vgpr_spill_count: 0
    .wavefront_size: 64
  - .agpr_count:     0
    .args:
      - .address_space:  global
        .offset:         0
        .size:           8
        .value_kind:     global_buffer
      - .address_space:  global
        .offset:         8
        .size:           8
        .value_kind:     global_buffer
      - .address_space:  global
        .offset:         16
        .size:           8
        .value_kind:     global_buffer
      - .address_space:  global
        .offset:         24
        .size:           8
        .value_kind:     global_buffer
      - .address_space:  global
        .offset:         32
        .size:           8
        .value_kind:     global_buffer
      - .address_space:  global
        .offset:         40
        .size:           8
        .value_kind:     global_buffer
      - .address_space:  global
        .offset:         48
        .size:           8
        .value_kind:     global_buffer
      - .address_space:  global
        .offset:         56
        .size:           8
        .value_kind:     global_buffer
      - .offset:         64
        .size:           4
        .value_kind:     by_value
      - .offset:         68
        .size:           4
        .value_kind:     by_value
      - .offset:         72
        .size:           4
        .value_kind:     by_value
      - .offset:         76
        .size:           4
        .value_kind:     by_value
      - .offset:         80
        .size:           4
        .value_kind:     by_value
      - .offset:         84
        .size:           4
        .value_kind:     by_value
      - .offset:         88
        .size:           4
        .value_kind:     by_value
      - .offset:         92
        .size:           12
        .value_kind:     by_value
      - .offset:         104
        .size:           4
        .value_kind:     by_value
      - .offset:         108
        .size:           4
        .value_kind:     by_value
      - .offset:         112
        .size:           4
        .value_kind:     by_value
      - .offset:         116
        .size:           4
        .value_kind:     by_value
      - .offset:         120
        .size:           4
        .value_kind:     by_value
      - .offset:         124
        .size:           4
        .value_kind:     by_value
      - .offset:         128
        .size:           4
        .value_kind:     by_value
      - .offset:         132
        .size:           4
        .value_kind:     by_value
      - .offset:         136
        .size:           4
        .value_kind:     by_value
      - .offset:         140
        .size:           4
        .value_kind:     by_value
      - .offset:         144
        .size:           4
        .value_kind:     by_value
      - .offset:         152
        .size:           8
        .value_kind:     by_value
      - .offset:         160
        .size:           4
        .value_kind:     by_value
      - .offset:         164
        .size:           4
        .value_kind:     by_value
      - .offset:         168
        .size:           8
        .value_kind:     by_value
      - .offset:         176
        .size:           4
        .value_kind:     by_value
      - .offset:         180
        .size:           4
        .value_kind:     by_value
      - .offset:         184
        .size:           4
        .value_kind:     by_value
      - .offset:         188
        .size:           4
        .value_kind:     by_value
      - .offset:         192
        .size:           4
        .value_kind:     by_value
      - .offset:         200
        .size:           8
        .value_kind:     by_value
      - .offset:         208
        .size:           4
        .value_kind:     hidden_block_count_x
      - .offset:         212
        .size:           4
        .value_kind:     hidden_block_count_y
      - .offset:         216
        .size:           4
        .value_kind:     hidden_block_count_z
      - .offset:         220
        .size:           2
        .value_kind:     hidden_group_size_x
      - .offset:         222
        .size:           2
        .value_kind:     hidden_group_size_y
      - .offset:         224
        .size:           2
        .value_kind:     hidden_group_size_z
      - .offset:         226
        .size:           2
        .value_kind:     hidden_remainder_x
      - .offset:         228
        .size:           2
        .value_kind:     hidden_remainder_y
      - .offset:         230
        .size:           2
        .value_kind:     hidden_remainder_z
      - .offset:         248
        .size:           8
        .value_kind:     hidden_global_offset_x
      - .offset:         256
        .size:           8
        .value_kind:     hidden_global_offset_y
      - .offset:         264
        .size:           8
        .value_kind:     hidden_global_offset_z
      - .offset:         272
        .size:           2
        .value_kind:     hidden_grid_dims
    .group_segment_fixed_size: 21504
    .kernarg_segment_align: 8
    .kernarg_segment_size: 464
    .language:       OpenCL C
    .language_version:
      - 2
      - 0
    .max_flat_workgroup_size: 256
    .name:           _ZL15flash_attn_tileILi128ELi128ELi8ELi4ELb1EEvPKcS1_S1_S1_S1_PKiPfP15HIP_vector_typeIfLj2EEffffjfiS5_IjLj3EEiiiiiiiiiiiliiliiiiil
    .private_segment_fixed_size: 0
    .sgpr_count:     46
    .sgpr_spill_count: 0
    .symbol:         _ZL15flash_attn_tileILi128ELi128ELi8ELi4ELb1EEvPKcS1_S1_S1_S1_PKiPfP15HIP_vector_typeIfLj2EEffffjfiS5_IjLj3EEiiiiiiiiiiiliiliiiiil.kd
    .uniform_work_group_size: 1
    .uses_dynamic_stack: false
    .vgpr_count:     94
    .vgpr_spill_count: 0
    .wavefront_size: 64
  - .agpr_count:     0
    .args:
      - .address_space:  global
        .offset:         0
        .size:           8
        .value_kind:     global_buffer
      - .address_space:  global
        .offset:         8
        .size:           8
        .value_kind:     global_buffer
      - .address_space:  global
        .offset:         16
        .size:           8
        .value_kind:     global_buffer
      - .address_space:  global
        .offset:         24
        .size:           8
        .value_kind:     global_buffer
      - .address_space:  global
        .offset:         32
        .size:           8
        .value_kind:     global_buffer
      - .address_space:  global
        .offset:         40
        .size:           8
        .value_kind:     global_buffer
      - .address_space:  global
        .offset:         48
        .size:           8
        .value_kind:     global_buffer
      - .address_space:  global
        .offset:         56
        .size:           8
        .value_kind:     global_buffer
      - .offset:         64
        .size:           4
        .value_kind:     by_value
      - .offset:         68
        .size:           4
        .value_kind:     by_value
      - .offset:         72
        .size:           4
        .value_kind:     by_value
      - .offset:         76
        .size:           4
        .value_kind:     by_value
      - .offset:         80
        .size:           4
        .value_kind:     by_value
      - .offset:         84
        .size:           4
        .value_kind:     by_value
      - .offset:         88
        .size:           4
        .value_kind:     by_value
      - .offset:         92
        .size:           12
        .value_kind:     by_value
      - .offset:         104
        .size:           4
        .value_kind:     by_value
      - .offset:         108
        .size:           4
        .value_kind:     by_value
      - .offset:         112
        .size:           4
        .value_kind:     by_value
      - .offset:         116
        .size:           4
        .value_kind:     by_value
      - .offset:         120
        .size:           4
        .value_kind:     by_value
      - .offset:         124
        .size:           4
        .value_kind:     by_value
      - .offset:         128
        .size:           4
        .value_kind:     by_value
      - .offset:         132
        .size:           4
        .value_kind:     by_value
      - .offset:         136
        .size:           4
        .value_kind:     by_value
      - .offset:         140
        .size:           4
        .value_kind:     by_value
      - .offset:         144
        .size:           4
        .value_kind:     by_value
      - .offset:         152
        .size:           8
        .value_kind:     by_value
      - .offset:         160
        .size:           4
        .value_kind:     by_value
      - .offset:         164
        .size:           4
        .value_kind:     by_value
      - .offset:         168
        .size:           8
        .value_kind:     by_value
      - .offset:         176
        .size:           4
        .value_kind:     by_value
      - .offset:         180
        .size:           4
        .value_kind:     by_value
      - .offset:         184
        .size:           4
        .value_kind:     by_value
      - .offset:         188
        .size:           4
        .value_kind:     by_value
      - .offset:         192
        .size:           4
        .value_kind:     by_value
      - .offset:         200
        .size:           8
        .value_kind:     by_value
      - .offset:         208
        .size:           4
        .value_kind:     hidden_block_count_x
      - .offset:         212
        .size:           4
        .value_kind:     hidden_block_count_y
      - .offset:         216
        .size:           4
        .value_kind:     hidden_block_count_z
      - .offset:         220
        .size:           2
        .value_kind:     hidden_group_size_x
      - .offset:         222
        .size:           2
        .value_kind:     hidden_group_size_y
      - .offset:         224
        .size:           2
        .value_kind:     hidden_group_size_z
      - .offset:         226
        .size:           2
        .value_kind:     hidden_remainder_x
      - .offset:         228
        .size:           2
        .value_kind:     hidden_remainder_y
      - .offset:         230
        .size:           2
        .value_kind:     hidden_remainder_z
      - .offset:         248
        .size:           8
        .value_kind:     hidden_global_offset_x
      - .offset:         256
        .size:           8
        .value_kind:     hidden_global_offset_y
      - .offset:         264
        .size:           8
        .value_kind:     hidden_global_offset_z
      - .offset:         272
        .size:           2
        .value_kind:     hidden_grid_dims
    .group_segment_fixed_size: 23552
    .kernarg_segment_align: 8
    .kernarg_segment_size: 464
    .language:       OpenCL C
    .language_version:
      - 2
      - 0
    .max_flat_workgroup_size: 256
    .name:           _ZL15flash_attn_tileILi128ELi128ELi4ELi4ELb1EEvPKcS1_S1_S1_S1_PKiPfP15HIP_vector_typeIfLj2EEffffjfiS5_IjLj3EEiiiiiiiiiiiliiliiiiil
    .private_segment_fixed_size: 0
    .sgpr_count:     46
    .sgpr_spill_count: 0
    .symbol:         _ZL15flash_attn_tileILi128ELi128ELi4ELi4ELb1EEvPKcS1_S1_S1_S1_PKiPfP15HIP_vector_typeIfLj2EEffffjfiS5_IjLj3EEiiiiiiiiiiiliiliiiiil.kd
    .uniform_work_group_size: 1
    .uses_dynamic_stack: false
    .vgpr_count:     84
    .vgpr_spill_count: 0
    .wavefront_size: 64
  - .agpr_count:     0
    .args:
      - .address_space:  global
        .offset:         0
        .size:           8
        .value_kind:     global_buffer
      - .address_space:  global
        .offset:         8
        .size:           8
        .value_kind:     global_buffer
      - .address_space:  global
        .offset:         16
        .size:           8
        .value_kind:     global_buffer
      - .address_space:  global
        .offset:         24
        .size:           8
        .value_kind:     global_buffer
      - .address_space:  global
        .offset:         32
        .size:           8
        .value_kind:     global_buffer
      - .address_space:  global
        .offset:         40
        .size:           8
        .value_kind:     global_buffer
      - .address_space:  global
        .offset:         48
        .size:           8
        .value_kind:     global_buffer
      - .address_space:  global
        .offset:         56
        .size:           8
        .value_kind:     global_buffer
      - .offset:         64
        .size:           4
        .value_kind:     by_value
      - .offset:         68
        .size:           4
        .value_kind:     by_value
      - .offset:         72
        .size:           4
        .value_kind:     by_value
      - .offset:         76
        .size:           4
        .value_kind:     by_value
      - .offset:         80
        .size:           4
        .value_kind:     by_value
      - .offset:         84
        .size:           4
        .value_kind:     by_value
      - .offset:         88
        .size:           4
        .value_kind:     by_value
      - .offset:         92
        .size:           12
        .value_kind:     by_value
      - .offset:         104
        .size:           4
        .value_kind:     by_value
      - .offset:         108
        .size:           4
        .value_kind:     by_value
      - .offset:         112
        .size:           4
        .value_kind:     by_value
      - .offset:         116
        .size:           4
        .value_kind:     by_value
      - .offset:         120
        .size:           4
        .value_kind:     by_value
      - .offset:         124
        .size:           4
        .value_kind:     by_value
      - .offset:         128
        .size:           4
        .value_kind:     by_value
      - .offset:         132
        .size:           4
        .value_kind:     by_value
      - .offset:         136
        .size:           4
        .value_kind:     by_value
      - .offset:         140
        .size:           4
        .value_kind:     by_value
      - .offset:         144
        .size:           4
        .value_kind:     by_value
      - .offset:         152
        .size:           8
        .value_kind:     by_value
      - .offset:         160
        .size:           4
        .value_kind:     by_value
      - .offset:         164
        .size:           4
        .value_kind:     by_value
      - .offset:         168
        .size:           8
        .value_kind:     by_value
      - .offset:         176
        .size:           4
        .value_kind:     by_value
      - .offset:         180
        .size:           4
        .value_kind:     by_value
      - .offset:         184
        .size:           4
        .value_kind:     by_value
      - .offset:         188
        .size:           4
        .value_kind:     by_value
      - .offset:         192
        .size:           4
        .value_kind:     by_value
      - .offset:         200
        .size:           8
        .value_kind:     by_value
      - .offset:         208
        .size:           4
        .value_kind:     hidden_block_count_x
      - .offset:         212
        .size:           4
        .value_kind:     hidden_block_count_y
      - .offset:         216
        .size:           4
        .value_kind:     hidden_block_count_z
      - .offset:         220
        .size:           2
        .value_kind:     hidden_group_size_x
      - .offset:         222
        .size:           2
        .value_kind:     hidden_group_size_y
      - .offset:         224
        .size:           2
        .value_kind:     hidden_group_size_z
      - .offset:         226
        .size:           2
        .value_kind:     hidden_remainder_x
      - .offset:         228
        .size:           2
        .value_kind:     hidden_remainder_y
      - .offset:         230
        .size:           2
        .value_kind:     hidden_remainder_z
      - .offset:         248
        .size:           8
        .value_kind:     hidden_global_offset_x
      - .offset:         256
        .size:           8
        .value_kind:     hidden_global_offset_y
      - .offset:         264
        .size:           8
        .value_kind:     hidden_global_offset_z
      - .offset:         272
        .size:           2
        .value_kind:     hidden_grid_dims
    .group_segment_fixed_size: 20480
    .kernarg_segment_align: 8
    .kernarg_segment_size: 464
    .language:       OpenCL C
    .language_version:
      - 2
      - 0
    .max_flat_workgroup_size: 256
    .name:           _ZL15flash_attn_tileILi128ELi128ELi2ELi4ELb1EEvPKcS1_S1_S1_S1_PKiPfP15HIP_vector_typeIfLj2EEffffjfiS5_IjLj3EEiiiiiiiiiiiliiliiiiil
    .private_segment_fixed_size: 0
    .sgpr_count:     46
    .sgpr_spill_count: 0
    .symbol:         _ZL15flash_attn_tileILi128ELi128ELi2ELi4ELb1EEvPKcS1_S1_S1_S1_PKiPfP15HIP_vector_typeIfLj2EEffffjfiS5_IjLj3EEiiiiiiiiiiiliiliiiiil.kd
    .uniform_work_group_size: 1
    .uses_dynamic_stack: false
    .vgpr_count:     78
    .vgpr_spill_count: 0
    .wavefront_size: 64
  - .agpr_count:     0
    .args:
      - .address_space:  global
        .offset:         0
        .size:           8
        .value_kind:     global_buffer
      - .address_space:  global
        .offset:         8
        .size:           8
        .value_kind:     global_buffer
      - .address_space:  global
        .offset:         16
        .size:           8
        .value_kind:     global_buffer
      - .address_space:  global
        .offset:         24
        .size:           8
        .value_kind:     global_buffer
      - .address_space:  global
        .offset:         32
        .size:           8
        .value_kind:     global_buffer
      - .address_space:  global
        .offset:         40
        .size:           8
        .value_kind:     global_buffer
      - .address_space:  global
        .offset:         48
        .size:           8
        .value_kind:     global_buffer
      - .address_space:  global
        .offset:         56
        .size:           8
        .value_kind:     global_buffer
      - .offset:         64
        .size:           4
        .value_kind:     by_value
      - .offset:         68
        .size:           4
        .value_kind:     by_value
      - .offset:         72
        .size:           4
        .value_kind:     by_value
      - .offset:         76
        .size:           4
        .value_kind:     by_value
      - .offset:         80
        .size:           4
        .value_kind:     by_value
      - .offset:         84
        .size:           4
        .value_kind:     by_value
      - .offset:         88
        .size:           4
        .value_kind:     by_value
      - .offset:         92
        .size:           12
        .value_kind:     by_value
      - .offset:         104
        .size:           4
        .value_kind:     by_value
      - .offset:         108
        .size:           4
        .value_kind:     by_value
      - .offset:         112
        .size:           4
        .value_kind:     by_value
      - .offset:         116
        .size:           4
        .value_kind:     by_value
      - .offset:         120
        .size:           4
        .value_kind:     by_value
      - .offset:         124
        .size:           4
        .value_kind:     by_value
      - .offset:         128
        .size:           4
        .value_kind:     by_value
      - .offset:         132
        .size:           4
        .value_kind:     by_value
      - .offset:         136
        .size:           4
        .value_kind:     by_value
      - .offset:         140
        .size:           4
        .value_kind:     by_value
      - .offset:         144
        .size:           4
        .value_kind:     by_value
      - .offset:         152
        .size:           8
        .value_kind:     by_value
      - .offset:         160
        .size:           4
        .value_kind:     by_value
      - .offset:         164
        .size:           4
        .value_kind:     by_value
      - .offset:         168
        .size:           8
        .value_kind:     by_value
      - .offset:         176
        .size:           4
        .value_kind:     by_value
      - .offset:         180
        .size:           4
        .value_kind:     by_value
      - .offset:         184
        .size:           4
        .value_kind:     by_value
      - .offset:         188
        .size:           4
        .value_kind:     by_value
      - .offset:         192
        .size:           4
        .value_kind:     by_value
      - .offset:         200
        .size:           8
        .value_kind:     by_value
      - .offset:         208
        .size:           4
        .value_kind:     hidden_block_count_x
      - .offset:         212
        .size:           4
        .value_kind:     hidden_block_count_y
      - .offset:         216
        .size:           4
        .value_kind:     hidden_block_count_z
      - .offset:         220
        .size:           2
        .value_kind:     hidden_group_size_x
      - .offset:         222
        .size:           2
        .value_kind:     hidden_group_size_y
      - .offset:         224
        .size:           2
        .value_kind:     hidden_group_size_z
      - .offset:         226
        .size:           2
        .value_kind:     hidden_remainder_x
      - .offset:         228
        .size:           2
        .value_kind:     hidden_remainder_y
      - .offset:         230
        .size:           2
        .value_kind:     hidden_remainder_z
      - .offset:         248
        .size:           8
        .value_kind:     hidden_global_offset_x
      - .offset:         256
        .size:           8
        .value_kind:     hidden_global_offset_y
      - .offset:         264
        .size:           8
        .value_kind:     hidden_global_offset_z
      - .offset:         272
        .size:           2
        .value_kind:     hidden_grid_dims
    .group_segment_fixed_size: 18944
    .kernarg_segment_align: 8
    .kernarg_segment_size: 464
    .language:       OpenCL C
    .language_version:
      - 2
      - 0
    .max_flat_workgroup_size: 128
    .name:           _ZL15flash_attn_tileILi128ELi128ELi1ELi4ELb1EEvPKcS1_S1_S1_S1_PKiPfP15HIP_vector_typeIfLj2EEffffjfiS5_IjLj3EEiiiiiiiiiiiliiliiiiil
    .private_segment_fixed_size: 0
    .sgpr_count:     46
    .sgpr_spill_count: 0
    .symbol:         _ZL15flash_attn_tileILi128ELi128ELi1ELi4ELb1EEvPKcS1_S1_S1_S1_PKiPfP15HIP_vector_typeIfLj2EEffffjfiS5_IjLj3EEiiiiiiiiiiiliiliiiiil.kd
    .uniform_work_group_size: 1
    .uses_dynamic_stack: false
    .vgpr_count:     119
    .vgpr_spill_count: 0
    .wavefront_size: 64
  - .agpr_count:     0
    .args:
      - .address_space:  global
        .offset:         0
        .size:           8
        .value_kind:     global_buffer
      - .address_space:  global
        .offset:         8
        .size:           8
        .value_kind:     global_buffer
      - .address_space:  global
        .offset:         16
        .size:           8
        .value_kind:     global_buffer
      - .address_space:  global
        .offset:         24
        .size:           8
        .value_kind:     global_buffer
      - .address_space:  global
        .offset:         32
        .size:           8
        .value_kind:     global_buffer
      - .address_space:  global
        .offset:         40
        .size:           8
        .value_kind:     global_buffer
      - .address_space:  global
        .offset:         48
        .size:           8
        .value_kind:     global_buffer
      - .address_space:  global
        .offset:         56
        .size:           8
        .value_kind:     global_buffer
      - .offset:         64
        .size:           4
        .value_kind:     by_value
      - .offset:         68
        .size:           4
        .value_kind:     by_value
      - .offset:         72
        .size:           4
        .value_kind:     by_value
      - .offset:         76
        .size:           4
        .value_kind:     by_value
      - .offset:         80
        .size:           4
        .value_kind:     by_value
      - .offset:         84
        .size:           4
        .value_kind:     by_value
      - .offset:         88
        .size:           4
        .value_kind:     by_value
      - .offset:         92
        .size:           12
        .value_kind:     by_value
      - .offset:         104
        .size:           4
        .value_kind:     by_value
      - .offset:         108
        .size:           4
        .value_kind:     by_value
      - .offset:         112
        .size:           4
        .value_kind:     by_value
      - .offset:         116
        .size:           4
        .value_kind:     by_value
      - .offset:         120
        .size:           4
        .value_kind:     by_value
      - .offset:         124
        .size:           4
        .value_kind:     by_value
      - .offset:         128
        .size:           4
        .value_kind:     by_value
      - .offset:         132
        .size:           4
        .value_kind:     by_value
      - .offset:         136
        .size:           4
        .value_kind:     by_value
      - .offset:         140
        .size:           4
        .value_kind:     by_value
      - .offset:         144
        .size:           4
        .value_kind:     by_value
      - .offset:         152
        .size:           8
        .value_kind:     by_value
      - .offset:         160
        .size:           4
        .value_kind:     by_value
      - .offset:         164
        .size:           4
        .value_kind:     by_value
      - .offset:         168
        .size:           8
        .value_kind:     by_value
      - .offset:         176
        .size:           4
        .value_kind:     by_value
      - .offset:         180
        .size:           4
        .value_kind:     by_value
      - .offset:         184
        .size:           4
        .value_kind:     by_value
      - .offset:         188
        .size:           4
        .value_kind:     by_value
      - .offset:         192
        .size:           4
        .value_kind:     by_value
      - .offset:         200
        .size:           8
        .value_kind:     by_value
      - .offset:         208
        .size:           4
        .value_kind:     hidden_block_count_x
      - .offset:         212
        .size:           4
        .value_kind:     hidden_block_count_y
      - .offset:         216
        .size:           4
        .value_kind:     hidden_block_count_z
      - .offset:         220
        .size:           2
        .value_kind:     hidden_group_size_x
      - .offset:         222
        .size:           2
        .value_kind:     hidden_group_size_y
      - .offset:         224
        .size:           2
        .value_kind:     hidden_group_size_z
      - .offset:         226
        .size:           2
        .value_kind:     hidden_remainder_x
      - .offset:         228
        .size:           2
        .value_kind:     hidden_remainder_y
      - .offset:         230
        .size:           2
        .value_kind:     hidden_remainder_z
      - .offset:         248
        .size:           8
        .value_kind:     hidden_global_offset_x
      - .offset:         256
        .size:           8
        .value_kind:     hidden_global_offset_y
      - .offset:         264
        .size:           8
        .value_kind:     hidden_global_offset_z
      - .offset:         272
        .size:           2
        .value_kind:     hidden_grid_dims
    .group_segment_fixed_size: 29696
    .kernarg_segment_align: 8
    .kernarg_segment_size: 464
    .language:       OpenCL C
    .language_version:
      - 2
      - 0
    .max_flat_workgroup_size: 256
    .name:           _ZL15flash_attn_tileILi128ELi128ELi32ELi2ELb1EEvPKcS1_S1_S1_S1_PKiPfP15HIP_vector_typeIfLj2EEffffjfiS5_IjLj3EEiiiiiiiiiiiliiliiiiil
    .private_segment_fixed_size: 0
    .sgpr_count:     49
    .sgpr_spill_count: 0
    .symbol:         _ZL15flash_attn_tileILi128ELi128ELi32ELi2ELb1EEvPKcS1_S1_S1_S1_PKiPfP15HIP_vector_typeIfLj2EEffffjfiS5_IjLj3EEiiiiiiiiiiiliiliiiiil.kd
    .uniform_work_group_size: 1
    .uses_dynamic_stack: false
    .vgpr_count:     124
    .vgpr_spill_count: 0
    .wavefront_size: 64
  - .agpr_count:     0
    .args:
      - .address_space:  global
        .offset:         0
        .size:           8
        .value_kind:     global_buffer
      - .address_space:  global
        .offset:         8
        .size:           8
        .value_kind:     global_buffer
      - .address_space:  global
        .offset:         16
        .size:           8
        .value_kind:     global_buffer
      - .address_space:  global
        .offset:         24
        .size:           8
        .value_kind:     global_buffer
      - .address_space:  global
        .offset:         32
        .size:           8
        .value_kind:     global_buffer
      - .address_space:  global
        .offset:         40
        .size:           8
        .value_kind:     global_buffer
      - .address_space:  global
        .offset:         48
        .size:           8
        .value_kind:     global_buffer
      - .address_space:  global
        .offset:         56
        .size:           8
        .value_kind:     global_buffer
      - .offset:         64
        .size:           4
        .value_kind:     by_value
      - .offset:         68
        .size:           4
        .value_kind:     by_value
      - .offset:         72
        .size:           4
        .value_kind:     by_value
      - .offset:         76
        .size:           4
        .value_kind:     by_value
      - .offset:         80
        .size:           4
        .value_kind:     by_value
      - .offset:         84
        .size:           4
        .value_kind:     by_value
      - .offset:         88
        .size:           4
        .value_kind:     by_value
      - .offset:         92
        .size:           12
        .value_kind:     by_value
      - .offset:         104
        .size:           4
        .value_kind:     by_value
      - .offset:         108
        .size:           4
        .value_kind:     by_value
      - .offset:         112
        .size:           4
        .value_kind:     by_value
      - .offset:         116
        .size:           4
        .value_kind:     by_value
      - .offset:         120
        .size:           4
        .value_kind:     by_value
      - .offset:         124
        .size:           4
        .value_kind:     by_value
      - .offset:         128
        .size:           4
        .value_kind:     by_value
      - .offset:         132
        .size:           4
        .value_kind:     by_value
      - .offset:         136
        .size:           4
        .value_kind:     by_value
      - .offset:         140
        .size:           4
        .value_kind:     by_value
      - .offset:         144
        .size:           4
        .value_kind:     by_value
      - .offset:         152
        .size:           8
        .value_kind:     by_value
      - .offset:         160
        .size:           4
        .value_kind:     by_value
      - .offset:         164
        .size:           4
        .value_kind:     by_value
      - .offset:         168
        .size:           8
        .value_kind:     by_value
      - .offset:         176
        .size:           4
        .value_kind:     by_value
      - .offset:         180
        .size:           4
        .value_kind:     by_value
      - .offset:         184
        .size:           4
        .value_kind:     by_value
      - .offset:         188
        .size:           4
        .value_kind:     by_value
      - .offset:         192
        .size:           4
        .value_kind:     by_value
      - .offset:         200
        .size:           8
        .value_kind:     by_value
      - .offset:         208
        .size:           4
        .value_kind:     hidden_block_count_x
      - .offset:         212
        .size:           4
        .value_kind:     hidden_block_count_y
      - .offset:         216
        .size:           4
        .value_kind:     hidden_block_count_z
      - .offset:         220
        .size:           2
        .value_kind:     hidden_group_size_x
      - .offset:         222
        .size:           2
        .value_kind:     hidden_group_size_y
      - .offset:         224
        .size:           2
        .value_kind:     hidden_group_size_z
      - .offset:         226
        .size:           2
        .value_kind:     hidden_remainder_x
      - .offset:         228
        .size:           2
        .value_kind:     hidden_remainder_y
      - .offset:         230
        .size:           2
        .value_kind:     hidden_remainder_z
      - .offset:         248
        .size:           8
        .value_kind:     hidden_global_offset_x
      - .offset:         256
        .size:           8
        .value_kind:     hidden_global_offset_y
      - .offset:         264
        .size:           8
        .value_kind:     hidden_global_offset_z
      - .offset:         272
        .size:           2
        .value_kind:     hidden_grid_dims
    .group_segment_fixed_size: 21504
    .kernarg_segment_align: 8
    .kernarg_segment_size: 464
    .language:       OpenCL C
    .language_version:
      - 2
      - 0
    .max_flat_workgroup_size: 256
    .name:           _ZL15flash_attn_tileILi128ELi128ELi16ELi2ELb1EEvPKcS1_S1_S1_S1_PKiPfP15HIP_vector_typeIfLj2EEffffjfiS5_IjLj3EEiiiiiiiiiiiliiliiiiil
    .private_segment_fixed_size: 0
    .sgpr_count:     50
    .sgpr_spill_count: 0
    .symbol:         _ZL15flash_attn_tileILi128ELi128ELi16ELi2ELb1EEvPKcS1_S1_S1_S1_PKiPfP15HIP_vector_typeIfLj2EEffffjfiS5_IjLj3EEiiiiiiiiiiiliiliiiiil.kd
    .uniform_work_group_size: 1
    .uses_dynamic_stack: false
    .vgpr_count:     100
    .vgpr_spill_count: 0
    .wavefront_size: 64
  - .agpr_count:     0
    .args:
      - .address_space:  global
        .offset:         0
        .size:           8
        .value_kind:     global_buffer
      - .address_space:  global
        .offset:         8
        .size:           8
        .value_kind:     global_buffer
      - .address_space:  global
        .offset:         16
        .size:           8
        .value_kind:     global_buffer
      - .address_space:  global
        .offset:         24
        .size:           8
        .value_kind:     global_buffer
      - .address_space:  global
        .offset:         32
        .size:           8
        .value_kind:     global_buffer
      - .address_space:  global
        .offset:         40
        .size:           8
        .value_kind:     global_buffer
      - .address_space:  global
        .offset:         48
        .size:           8
        .value_kind:     global_buffer
      - .address_space:  global
        .offset:         56
        .size:           8
        .value_kind:     global_buffer
      - .offset:         64
        .size:           4
        .value_kind:     by_value
      - .offset:         68
        .size:           4
        .value_kind:     by_value
      - .offset:         72
        .size:           4
        .value_kind:     by_value
      - .offset:         76
        .size:           4
        .value_kind:     by_value
      - .offset:         80
        .size:           4
        .value_kind:     by_value
      - .offset:         84
        .size:           4
        .value_kind:     by_value
      - .offset:         88
        .size:           4
        .value_kind:     by_value
      - .offset:         92
        .size:           12
        .value_kind:     by_value
      - .offset:         104
        .size:           4
        .value_kind:     by_value
      - .offset:         108
        .size:           4
        .value_kind:     by_value
      - .offset:         112
        .size:           4
        .value_kind:     by_value
      - .offset:         116
        .size:           4
        .value_kind:     by_value
      - .offset:         120
        .size:           4
        .value_kind:     by_value
      - .offset:         124
        .size:           4
        .value_kind:     by_value
      - .offset:         128
        .size:           4
        .value_kind:     by_value
      - .offset:         132
        .size:           4
        .value_kind:     by_value
      - .offset:         136
        .size:           4
        .value_kind:     by_value
      - .offset:         140
        .size:           4
        .value_kind:     by_value
      - .offset:         144
        .size:           4
        .value_kind:     by_value
      - .offset:         152
        .size:           8
        .value_kind:     by_value
      - .offset:         160
        .size:           4
        .value_kind:     by_value
      - .offset:         164
        .size:           4
        .value_kind:     by_value
      - .offset:         168
        .size:           8
        .value_kind:     by_value
      - .offset:         176
        .size:           4
        .value_kind:     by_value
      - .offset:         180
        .size:           4
        .value_kind:     by_value
      - .offset:         184
        .size:           4
        .value_kind:     by_value
      - .offset:         188
        .size:           4
        .value_kind:     by_value
      - .offset:         192
        .size:           4
        .value_kind:     by_value
      - .offset:         200
        .size:           8
        .value_kind:     by_value
      - .offset:         208
        .size:           4
        .value_kind:     hidden_block_count_x
      - .offset:         212
        .size:           4
        .value_kind:     hidden_block_count_y
      - .offset:         216
        .size:           4
        .value_kind:     hidden_block_count_z
      - .offset:         220
        .size:           2
        .value_kind:     hidden_group_size_x
      - .offset:         222
        .size:           2
        .value_kind:     hidden_group_size_y
      - .offset:         224
        .size:           2
        .value_kind:     hidden_group_size_z
      - .offset:         226
        .size:           2
        .value_kind:     hidden_remainder_x
      - .offset:         228
        .size:           2
        .value_kind:     hidden_remainder_y
      - .offset:         230
        .size:           2
        .value_kind:     hidden_remainder_z
      - .offset:         248
        .size:           8
        .value_kind:     hidden_global_offset_x
      - .offset:         256
        .size:           8
        .value_kind:     hidden_global_offset_y
      - .offset:         264
        .size:           8
        .value_kind:     hidden_global_offset_z
      - .offset:         272
        .size:           2
        .value_kind:     hidden_grid_dims
    .group_segment_fixed_size: 23552
    .kernarg_segment_align: 8
    .kernarg_segment_size: 464
    .language:       OpenCL C
    .language_version:
      - 2
      - 0
    .max_flat_workgroup_size: 256
    .name:           _ZL15flash_attn_tileILi128ELi128ELi8ELi2ELb1EEvPKcS1_S1_S1_S1_PKiPfP15HIP_vector_typeIfLj2EEffffjfiS5_IjLj3EEiiiiiiiiiiiliiliiiiil
    .private_segment_fixed_size: 0
    .sgpr_count:     46
    .sgpr_spill_count: 0
    .symbol:         _ZL15flash_attn_tileILi128ELi128ELi8ELi2ELb1EEvPKcS1_S1_S1_S1_PKiPfP15HIP_vector_typeIfLj2EEffffjfiS5_IjLj3EEiiiiiiiiiiiliiliiiiil.kd
    .uniform_work_group_size: 1
    .uses_dynamic_stack: false
    .vgpr_count:     84
    .vgpr_spill_count: 0
    .wavefront_size: 64
  - .agpr_count:     0
    .args:
      - .address_space:  global
        .offset:         0
        .size:           8
        .value_kind:     global_buffer
      - .address_space:  global
        .offset:         8
        .size:           8
        .value_kind:     global_buffer
      - .address_space:  global
        .offset:         16
        .size:           8
        .value_kind:     global_buffer
      - .address_space:  global
        .offset:         24
        .size:           8
        .value_kind:     global_buffer
      - .address_space:  global
        .offset:         32
        .size:           8
        .value_kind:     global_buffer
      - .address_space:  global
        .offset:         40
        .size:           8
        .value_kind:     global_buffer
      - .address_space:  global
        .offset:         48
        .size:           8
        .value_kind:     global_buffer
      - .address_space:  global
        .offset:         56
        .size:           8
        .value_kind:     global_buffer
      - .offset:         64
        .size:           4
        .value_kind:     by_value
      - .offset:         68
        .size:           4
        .value_kind:     by_value
      - .offset:         72
        .size:           4
        .value_kind:     by_value
      - .offset:         76
        .size:           4
        .value_kind:     by_value
      - .offset:         80
        .size:           4
        .value_kind:     by_value
      - .offset:         84
        .size:           4
        .value_kind:     by_value
      - .offset:         88
        .size:           4
        .value_kind:     by_value
      - .offset:         92
        .size:           12
        .value_kind:     by_value
      - .offset:         104
        .size:           4
        .value_kind:     by_value
      - .offset:         108
        .size:           4
        .value_kind:     by_value
      - .offset:         112
        .size:           4
        .value_kind:     by_value
      - .offset:         116
        .size:           4
        .value_kind:     by_value
      - .offset:         120
        .size:           4
        .value_kind:     by_value
      - .offset:         124
        .size:           4
        .value_kind:     by_value
      - .offset:         128
        .size:           4
        .value_kind:     by_value
      - .offset:         132
        .size:           4
        .value_kind:     by_value
      - .offset:         136
        .size:           4
        .value_kind:     by_value
      - .offset:         140
        .size:           4
        .value_kind:     by_value
      - .offset:         144
        .size:           4
        .value_kind:     by_value
      - .offset:         152
        .size:           8
        .value_kind:     by_value
      - .offset:         160
        .size:           4
        .value_kind:     by_value
      - .offset:         164
        .size:           4
        .value_kind:     by_value
      - .offset:         168
        .size:           8
        .value_kind:     by_value
      - .offset:         176
        .size:           4
        .value_kind:     by_value
      - .offset:         180
        .size:           4
        .value_kind:     by_value
      - .offset:         184
        .size:           4
        .value_kind:     by_value
      - .offset:         188
        .size:           4
        .value_kind:     by_value
      - .offset:         192
        .size:           4
        .value_kind:     by_value
      - .offset:         200
        .size:           8
        .value_kind:     by_value
      - .offset:         208
        .size:           4
        .value_kind:     hidden_block_count_x
      - .offset:         212
        .size:           4
        .value_kind:     hidden_block_count_y
      - .offset:         216
        .size:           4
        .value_kind:     hidden_block_count_z
      - .offset:         220
        .size:           2
        .value_kind:     hidden_group_size_x
      - .offset:         222
        .size:           2
        .value_kind:     hidden_group_size_y
      - .offset:         224
        .size:           2
        .value_kind:     hidden_group_size_z
      - .offset:         226
        .size:           2
        .value_kind:     hidden_remainder_x
      - .offset:         228
        .size:           2
        .value_kind:     hidden_remainder_y
      - .offset:         230
        .size:           2
        .value_kind:     hidden_remainder_z
      - .offset:         248
        .size:           8
        .value_kind:     hidden_global_offset_x
      - .offset:         256
        .size:           8
        .value_kind:     hidden_global_offset_y
      - .offset:         264
        .size:           8
        .value_kind:     hidden_global_offset_z
      - .offset:         272
        .size:           2
        .value_kind:     hidden_grid_dims
    .group_segment_fixed_size: 20480
    .kernarg_segment_align: 8
    .kernarg_segment_size: 464
    .language:       OpenCL C
    .language_version:
      - 2
      - 0
    .max_flat_workgroup_size: 256
    .name:           _ZL15flash_attn_tileILi128ELi128ELi4ELi2ELb1EEvPKcS1_S1_S1_S1_PKiPfP15HIP_vector_typeIfLj2EEffffjfiS5_IjLj3EEiiiiiiiiiiiliiliiiiil
    .private_segment_fixed_size: 0
    .sgpr_count:     46
    .sgpr_spill_count: 0
    .symbol:         _ZL15flash_attn_tileILi128ELi128ELi4ELi2ELb1EEvPKcS1_S1_S1_S1_PKiPfP15HIP_vector_typeIfLj2EEffffjfiS5_IjLj3EEiiiiiiiiiiiliiliiiiil.kd
    .uniform_work_group_size: 1
    .uses_dynamic_stack: false
    .vgpr_count:     78
    .vgpr_spill_count: 0
    .wavefront_size: 64
  - .agpr_count:     0
    .args:
      - .address_space:  global
        .offset:         0
        .size:           8
        .value_kind:     global_buffer
      - .address_space:  global
        .offset:         8
        .size:           8
        .value_kind:     global_buffer
      - .address_space:  global
        .offset:         16
        .size:           8
        .value_kind:     global_buffer
      - .address_space:  global
        .offset:         24
        .size:           8
        .value_kind:     global_buffer
      - .address_space:  global
        .offset:         32
        .size:           8
        .value_kind:     global_buffer
      - .address_space:  global
        .offset:         40
        .size:           8
        .value_kind:     global_buffer
      - .address_space:  global
        .offset:         48
        .size:           8
        .value_kind:     global_buffer
      - .address_space:  global
        .offset:         56
        .size:           8
        .value_kind:     global_buffer
      - .offset:         64
        .size:           4
        .value_kind:     by_value
      - .offset:         68
        .size:           4
        .value_kind:     by_value
      - .offset:         72
        .size:           4
        .value_kind:     by_value
      - .offset:         76
        .size:           4
        .value_kind:     by_value
      - .offset:         80
        .size:           4
        .value_kind:     by_value
      - .offset:         84
        .size:           4
        .value_kind:     by_value
      - .offset:         88
        .size:           4
        .value_kind:     by_value
      - .offset:         92
        .size:           12
        .value_kind:     by_value
      - .offset:         104
        .size:           4
        .value_kind:     by_value
      - .offset:         108
        .size:           4
        .value_kind:     by_value
      - .offset:         112
        .size:           4
        .value_kind:     by_value
      - .offset:         116
        .size:           4
        .value_kind:     by_value
      - .offset:         120
        .size:           4
        .value_kind:     by_value
      - .offset:         124
        .size:           4
        .value_kind:     by_value
      - .offset:         128
        .size:           4
        .value_kind:     by_value
      - .offset:         132
        .size:           4
        .value_kind:     by_value
      - .offset:         136
        .size:           4
        .value_kind:     by_value
      - .offset:         140
        .size:           4
        .value_kind:     by_value
      - .offset:         144
        .size:           4
        .value_kind:     by_value
      - .offset:         152
        .size:           8
        .value_kind:     by_value
      - .offset:         160
        .size:           4
        .value_kind:     by_value
      - .offset:         164
        .size:           4
        .value_kind:     by_value
      - .offset:         168
        .size:           8
        .value_kind:     by_value
      - .offset:         176
        .size:           4
        .value_kind:     by_value
      - .offset:         180
        .size:           4
        .value_kind:     by_value
      - .offset:         184
        .size:           4
        .value_kind:     by_value
      - .offset:         188
        .size:           4
        .value_kind:     by_value
      - .offset:         192
        .size:           4
        .value_kind:     by_value
      - .offset:         200
        .size:           8
        .value_kind:     by_value
      - .offset:         208
        .size:           4
        .value_kind:     hidden_block_count_x
      - .offset:         212
        .size:           4
        .value_kind:     hidden_block_count_y
      - .offset:         216
        .size:           4
        .value_kind:     hidden_block_count_z
      - .offset:         220
        .size:           2
        .value_kind:     hidden_group_size_x
      - .offset:         222
        .size:           2
        .value_kind:     hidden_group_size_y
      - .offset:         224
        .size:           2
        .value_kind:     hidden_group_size_z
      - .offset:         226
        .size:           2
        .value_kind:     hidden_remainder_x
      - .offset:         228
        .size:           2
        .value_kind:     hidden_remainder_y
      - .offset:         230
        .size:           2
        .value_kind:     hidden_remainder_z
      - .offset:         248
        .size:           8
        .value_kind:     hidden_global_offset_x
      - .offset:         256
        .size:           8
        .value_kind:     hidden_global_offset_y
      - .offset:         264
        .size:           8
        .value_kind:     hidden_global_offset_z
      - .offset:         272
        .size:           2
        .value_kind:     hidden_grid_dims
    .group_segment_fixed_size: 18944
    .kernarg_segment_align: 8
    .kernarg_segment_size: 464
    .language:       OpenCL C
    .language_version:
      - 2
      - 0
    .max_flat_workgroup_size: 128
    .name:           _ZL15flash_attn_tileILi128ELi128ELi2ELi2ELb1EEvPKcS1_S1_S1_S1_PKiPfP15HIP_vector_typeIfLj2EEffffjfiS5_IjLj3EEiiiiiiiiiiiliiliiiiil
    .private_segment_fixed_size: 0
    .sgpr_count:     46
    .sgpr_spill_count: 0
    .symbol:         _ZL15flash_attn_tileILi128ELi128ELi2ELi2ELb1EEvPKcS1_S1_S1_S1_PKiPfP15HIP_vector_typeIfLj2EEffffjfiS5_IjLj3EEiiiiiiiiiiiliiliiiiil.kd
    .uniform_work_group_size: 1
    .uses_dynamic_stack: false
    .vgpr_count:     119
    .vgpr_spill_count: 0
    .wavefront_size: 64
  - .agpr_count:     0
    .args:
      - .address_space:  global
        .offset:         0
        .size:           8
        .value_kind:     global_buffer
      - .address_space:  global
        .offset:         8
        .size:           8
        .value_kind:     global_buffer
      - .address_space:  global
        .offset:         16
        .size:           8
        .value_kind:     global_buffer
      - .address_space:  global
        .offset:         24
        .size:           8
        .value_kind:     global_buffer
      - .address_space:  global
        .offset:         32
        .size:           8
        .value_kind:     global_buffer
      - .address_space:  global
        .offset:         40
        .size:           8
        .value_kind:     global_buffer
      - .address_space:  global
        .offset:         48
        .size:           8
        .value_kind:     global_buffer
      - .address_space:  global
        .offset:         56
        .size:           8
        .value_kind:     global_buffer
      - .offset:         64
        .size:           4
        .value_kind:     by_value
      - .offset:         68
        .size:           4
        .value_kind:     by_value
      - .offset:         72
        .size:           4
        .value_kind:     by_value
      - .offset:         76
        .size:           4
        .value_kind:     by_value
      - .offset:         80
        .size:           4
        .value_kind:     by_value
      - .offset:         84
        .size:           4
        .value_kind:     by_value
      - .offset:         88
        .size:           4
        .value_kind:     by_value
      - .offset:         92
        .size:           12
        .value_kind:     by_value
      - .offset:         104
        .size:           4
        .value_kind:     by_value
      - .offset:         108
        .size:           4
        .value_kind:     by_value
      - .offset:         112
        .size:           4
        .value_kind:     by_value
      - .offset:         116
        .size:           4
        .value_kind:     by_value
      - .offset:         120
        .size:           4
        .value_kind:     by_value
      - .offset:         124
        .size:           4
        .value_kind:     by_value
      - .offset:         128
        .size:           4
        .value_kind:     by_value
      - .offset:         132
        .size:           4
        .value_kind:     by_value
      - .offset:         136
        .size:           4
        .value_kind:     by_value
      - .offset:         140
        .size:           4
        .value_kind:     by_value
      - .offset:         144
        .size:           4
        .value_kind:     by_value
      - .offset:         152
        .size:           8
        .value_kind:     by_value
      - .offset:         160
        .size:           4
        .value_kind:     by_value
      - .offset:         164
        .size:           4
        .value_kind:     by_value
      - .offset:         168
        .size:           8
        .value_kind:     by_value
      - .offset:         176
        .size:           4
        .value_kind:     by_value
      - .offset:         180
        .size:           4
        .value_kind:     by_value
      - .offset:         184
        .size:           4
        .value_kind:     by_value
      - .offset:         188
        .size:           4
        .value_kind:     by_value
      - .offset:         192
        .size:           4
        .value_kind:     by_value
      - .offset:         200
        .size:           8
        .value_kind:     by_value
      - .offset:         208
        .size:           4
        .value_kind:     hidden_block_count_x
      - .offset:         212
        .size:           4
        .value_kind:     hidden_block_count_y
      - .offset:         216
        .size:           4
        .value_kind:     hidden_block_count_z
      - .offset:         220
        .size:           2
        .value_kind:     hidden_group_size_x
      - .offset:         222
        .size:           2
        .value_kind:     hidden_group_size_y
      - .offset:         224
        .size:           2
        .value_kind:     hidden_group_size_z
      - .offset:         226
        .size:           2
        .value_kind:     hidden_remainder_x
      - .offset:         228
        .size:           2
        .value_kind:     hidden_remainder_y
      - .offset:         230
        .size:           2
        .value_kind:     hidden_remainder_z
      - .offset:         248
        .size:           8
        .value_kind:     hidden_global_offset_x
      - .offset:         256
        .size:           8
        .value_kind:     hidden_global_offset_y
      - .offset:         264
        .size:           8
        .value_kind:     hidden_global_offset_z
      - .offset:         272
        .size:           2
        .value_kind:     hidden_grid_dims
    .group_segment_fixed_size: 19488
    .kernarg_segment_align: 8
    .kernarg_segment_size: 464
    .language:       OpenCL C
    .language_version:
      - 2
      - 0
    .max_flat_workgroup_size: 256
    .name:           _ZL15flash_attn_tileILi128ELi128ELi1ELi2ELb1EEvPKcS1_S1_S1_S1_PKiPfP15HIP_vector_typeIfLj2EEffffjfiS5_IjLj3EEiiiiiiiiiiiliiliiiiil
    .private_segment_fixed_size: 0
    .sgpr_count:     51
    .sgpr_spill_count: 0
    .symbol:         _ZL15flash_attn_tileILi128ELi128ELi1ELi2ELb1EEvPKcS1_S1_S1_S1_PKiPfP15HIP_vector_typeIfLj2EEffffjfiS5_IjLj3EEiiiiiiiiiiiliiliiiiil.kd
    .uniform_work_group_size: 1
    .uses_dynamic_stack: false
    .vgpr_count:     127
    .vgpr_spill_count: 0
    .wavefront_size: 64
  - .agpr_count:     0
    .args:
      - .address_space:  global
        .offset:         0
        .size:           8
        .value_kind:     global_buffer
      - .address_space:  global
        .offset:         8
        .size:           8
        .value_kind:     global_buffer
      - .address_space:  global
        .offset:         16
        .size:           8
        .value_kind:     global_buffer
      - .address_space:  global
        .offset:         24
        .size:           8
        .value_kind:     global_buffer
      - .address_space:  global
        .offset:         32
        .size:           8
        .value_kind:     global_buffer
      - .address_space:  global
        .offset:         40
        .size:           8
        .value_kind:     global_buffer
      - .address_space:  global
        .offset:         48
        .size:           8
        .value_kind:     global_buffer
      - .address_space:  global
        .offset:         56
        .size:           8
        .value_kind:     global_buffer
      - .offset:         64
        .size:           4
        .value_kind:     by_value
      - .offset:         68
        .size:           4
        .value_kind:     by_value
      - .offset:         72
        .size:           4
        .value_kind:     by_value
      - .offset:         76
        .size:           4
        .value_kind:     by_value
      - .offset:         80
        .size:           4
        .value_kind:     by_value
      - .offset:         84
        .size:           4
        .value_kind:     by_value
      - .offset:         88
        .size:           4
        .value_kind:     by_value
      - .offset:         92
        .size:           12
        .value_kind:     by_value
      - .offset:         104
        .size:           4
        .value_kind:     by_value
      - .offset:         108
        .size:           4
        .value_kind:     by_value
      - .offset:         112
        .size:           4
        .value_kind:     by_value
      - .offset:         116
        .size:           4
        .value_kind:     by_value
      - .offset:         120
        .size:           4
        .value_kind:     by_value
      - .offset:         124
        .size:           4
        .value_kind:     by_value
      - .offset:         128
        .size:           4
        .value_kind:     by_value
      - .offset:         132
        .size:           4
        .value_kind:     by_value
      - .offset:         136
        .size:           4
        .value_kind:     by_value
      - .offset:         140
        .size:           4
        .value_kind:     by_value
      - .offset:         144
        .size:           4
        .value_kind:     by_value
      - .offset:         152
        .size:           8
        .value_kind:     by_value
      - .offset:         160
        .size:           4
        .value_kind:     by_value
      - .offset:         164
        .size:           4
        .value_kind:     by_value
      - .offset:         168
        .size:           8
        .value_kind:     by_value
      - .offset:         176
        .size:           4
        .value_kind:     by_value
      - .offset:         180
        .size:           4
        .value_kind:     by_value
      - .offset:         184
        .size:           4
        .value_kind:     by_value
      - .offset:         188
        .size:           4
        .value_kind:     by_value
      - .offset:         192
        .size:           4
        .value_kind:     by_value
      - .offset:         200
        .size:           8
        .value_kind:     by_value
      - .offset:         208
        .size:           4
        .value_kind:     hidden_block_count_x
      - .offset:         212
        .size:           4
        .value_kind:     hidden_block_count_y
      - .offset:         216
        .size:           4
        .value_kind:     hidden_block_count_z
      - .offset:         220
        .size:           2
        .value_kind:     hidden_group_size_x
      - .offset:         222
        .size:           2
        .value_kind:     hidden_group_size_y
      - .offset:         224
        .size:           2
        .value_kind:     hidden_group_size_z
      - .offset:         226
        .size:           2
        .value_kind:     hidden_remainder_x
      - .offset:         228
        .size:           2
        .value_kind:     hidden_remainder_y
      - .offset:         230
        .size:           2
        .value_kind:     hidden_remainder_z
      - .offset:         248
        .size:           8
        .value_kind:     hidden_global_offset_x
      - .offset:         256
        .size:           8
        .value_kind:     hidden_global_offset_y
      - .offset:         264
        .size:           8
        .value_kind:     hidden_global_offset_z
      - .offset:         272
        .size:           2
        .value_kind:     hidden_grid_dims
    .group_segment_fixed_size: 29696
    .kernarg_segment_align: 8
    .kernarg_segment_size: 464
    .language:       OpenCL C
    .language_version:
      - 2
      - 0
    .max_flat_workgroup_size: 256
    .name:           _ZL15flash_attn_tileILi128ELi128ELi64ELi1ELb1EEvPKcS1_S1_S1_S1_PKiPfP15HIP_vector_typeIfLj2EEffffjfiS5_IjLj3EEiiiiiiiiiiiliiliiiiil
    .private_segment_fixed_size: 32
    .sgpr_count:     54
    .sgpr_spill_count: 0
    .symbol:         _ZL15flash_attn_tileILi128ELi128ELi64ELi1ELb1EEvPKcS1_S1_S1_S1_PKiPfP15HIP_vector_typeIfLj2EEffffjfiS5_IjLj3EEiiiiiiiiiiiliiliiiiil.kd
    .uniform_work_group_size: 1
    .uses_dynamic_stack: false
    .vgpr_count:     148
    .vgpr_spill_count: 0
    .wavefront_size: 64
  - .agpr_count:     0
    .args:
      - .address_space:  global
        .offset:         0
        .size:           8
        .value_kind:     global_buffer
      - .address_space:  global
        .offset:         8
        .size:           8
        .value_kind:     global_buffer
      - .address_space:  global
        .offset:         16
        .size:           8
        .value_kind:     global_buffer
      - .address_space:  global
        .offset:         24
        .size:           8
        .value_kind:     global_buffer
      - .address_space:  global
        .offset:         32
        .size:           8
        .value_kind:     global_buffer
      - .address_space:  global
        .offset:         40
        .size:           8
        .value_kind:     global_buffer
      - .address_space:  global
        .offset:         48
        .size:           8
        .value_kind:     global_buffer
      - .address_space:  global
        .offset:         56
        .size:           8
        .value_kind:     global_buffer
      - .offset:         64
        .size:           4
        .value_kind:     by_value
      - .offset:         68
        .size:           4
        .value_kind:     by_value
      - .offset:         72
        .size:           4
        .value_kind:     by_value
      - .offset:         76
        .size:           4
        .value_kind:     by_value
      - .offset:         80
        .size:           4
        .value_kind:     by_value
      - .offset:         84
        .size:           4
        .value_kind:     by_value
      - .offset:         88
        .size:           4
        .value_kind:     by_value
      - .offset:         92
        .size:           12
        .value_kind:     by_value
      - .offset:         104
        .size:           4
        .value_kind:     by_value
      - .offset:         108
        .size:           4
        .value_kind:     by_value
      - .offset:         112
        .size:           4
        .value_kind:     by_value
      - .offset:         116
        .size:           4
        .value_kind:     by_value
      - .offset:         120
        .size:           4
        .value_kind:     by_value
      - .offset:         124
        .size:           4
        .value_kind:     by_value
      - .offset:         128
        .size:           4
        .value_kind:     by_value
      - .offset:         132
        .size:           4
        .value_kind:     by_value
      - .offset:         136
        .size:           4
        .value_kind:     by_value
      - .offset:         140
        .size:           4
        .value_kind:     by_value
      - .offset:         144
        .size:           4
        .value_kind:     by_value
      - .offset:         152
        .size:           8
        .value_kind:     by_value
      - .offset:         160
        .size:           4
        .value_kind:     by_value
      - .offset:         164
        .size:           4
        .value_kind:     by_value
      - .offset:         168
        .size:           8
        .value_kind:     by_value
      - .offset:         176
        .size:           4
        .value_kind:     by_value
      - .offset:         180
        .size:           4
        .value_kind:     by_value
      - .offset:         184
        .size:           4
        .value_kind:     by_value
      - .offset:         188
        .size:           4
        .value_kind:     by_value
      - .offset:         192
        .size:           4
        .value_kind:     by_value
      - .offset:         200
        .size:           8
        .value_kind:     by_value
      - .offset:         208
        .size:           4
        .value_kind:     hidden_block_count_x
      - .offset:         212
        .size:           4
        .value_kind:     hidden_block_count_y
      - .offset:         216
        .size:           4
        .value_kind:     hidden_block_count_z
      - .offset:         220
        .size:           2
        .value_kind:     hidden_group_size_x
      - .offset:         222
        .size:           2
        .value_kind:     hidden_group_size_y
      - .offset:         224
        .size:           2
        .value_kind:     hidden_group_size_z
      - .offset:         226
        .size:           2
        .value_kind:     hidden_remainder_x
      - .offset:         228
        .size:           2
        .value_kind:     hidden_remainder_y
      - .offset:         230
        .size:           2
        .value_kind:     hidden_remainder_z
      - .offset:         248
        .size:           8
        .value_kind:     hidden_global_offset_x
      - .offset:         256
        .size:           8
        .value_kind:     hidden_global_offset_y
      - .offset:         264
        .size:           8
        .value_kind:     hidden_global_offset_z
      - .offset:         272
        .size:           2
        .value_kind:     hidden_grid_dims
    .group_segment_fixed_size: 21504
    .kernarg_segment_align: 8
    .kernarg_segment_size: 464
    .language:       OpenCL C
    .language_version:
      - 2
      - 0
    .max_flat_workgroup_size: 256
    .name:           _ZL15flash_attn_tileILi128ELi128ELi32ELi1ELb1EEvPKcS1_S1_S1_S1_PKiPfP15HIP_vector_typeIfLj2EEffffjfiS5_IjLj3EEiiiiiiiiiiiliiliiiiil
    .private_segment_fixed_size: 32
    .sgpr_count:     54
    .sgpr_spill_count: 0
    .symbol:         _ZL15flash_attn_tileILi128ELi128ELi32ELi1ELb1EEvPKcS1_S1_S1_S1_PKiPfP15HIP_vector_typeIfLj2EEffffjfiS5_IjLj3EEiiiiiiiiiiiliiliiiiil.kd
    .uniform_work_group_size: 1
    .uses_dynamic_stack: false
    .vgpr_count:     114
    .vgpr_spill_count: 0
    .wavefront_size: 64
  - .agpr_count:     0
    .args:
      - .address_space:  global
        .offset:         0
        .size:           8
        .value_kind:     global_buffer
      - .address_space:  global
        .offset:         8
        .size:           8
        .value_kind:     global_buffer
      - .address_space:  global
        .offset:         16
        .size:           8
        .value_kind:     global_buffer
      - .address_space:  global
        .offset:         24
        .size:           8
        .value_kind:     global_buffer
      - .address_space:  global
        .offset:         32
        .size:           8
        .value_kind:     global_buffer
      - .address_space:  global
        .offset:         40
        .size:           8
        .value_kind:     global_buffer
      - .address_space:  global
        .offset:         48
        .size:           8
        .value_kind:     global_buffer
      - .address_space:  global
        .offset:         56
        .size:           8
        .value_kind:     global_buffer
      - .offset:         64
        .size:           4
        .value_kind:     by_value
      - .offset:         68
        .size:           4
        .value_kind:     by_value
      - .offset:         72
        .size:           4
        .value_kind:     by_value
      - .offset:         76
        .size:           4
        .value_kind:     by_value
      - .offset:         80
        .size:           4
        .value_kind:     by_value
      - .offset:         84
        .size:           4
        .value_kind:     by_value
      - .offset:         88
        .size:           4
        .value_kind:     by_value
      - .offset:         92
        .size:           12
        .value_kind:     by_value
      - .offset:         104
        .size:           4
        .value_kind:     by_value
      - .offset:         108
        .size:           4
        .value_kind:     by_value
      - .offset:         112
        .size:           4
        .value_kind:     by_value
      - .offset:         116
        .size:           4
        .value_kind:     by_value
      - .offset:         120
        .size:           4
        .value_kind:     by_value
      - .offset:         124
        .size:           4
        .value_kind:     by_value
      - .offset:         128
        .size:           4
        .value_kind:     by_value
      - .offset:         132
        .size:           4
        .value_kind:     by_value
      - .offset:         136
        .size:           4
        .value_kind:     by_value
      - .offset:         140
        .size:           4
        .value_kind:     by_value
      - .offset:         144
        .size:           4
        .value_kind:     by_value
      - .offset:         152
        .size:           8
        .value_kind:     by_value
      - .offset:         160
        .size:           4
        .value_kind:     by_value
      - .offset:         164
        .size:           4
        .value_kind:     by_value
      - .offset:         168
        .size:           8
        .value_kind:     by_value
      - .offset:         176
        .size:           4
        .value_kind:     by_value
      - .offset:         180
        .size:           4
        .value_kind:     by_value
      - .offset:         184
        .size:           4
        .value_kind:     by_value
      - .offset:         188
        .size:           4
        .value_kind:     by_value
      - .offset:         192
        .size:           4
        .value_kind:     by_value
      - .offset:         200
        .size:           8
        .value_kind:     by_value
      - .offset:         208
        .size:           4
        .value_kind:     hidden_block_count_x
      - .offset:         212
        .size:           4
        .value_kind:     hidden_block_count_y
      - .offset:         216
        .size:           4
        .value_kind:     hidden_block_count_z
      - .offset:         220
        .size:           2
        .value_kind:     hidden_group_size_x
      - .offset:         222
        .size:           2
        .value_kind:     hidden_group_size_y
      - .offset:         224
        .size:           2
        .value_kind:     hidden_group_size_z
      - .offset:         226
        .size:           2
        .value_kind:     hidden_remainder_x
      - .offset:         228
        .size:           2
        .value_kind:     hidden_remainder_y
      - .offset:         230
        .size:           2
        .value_kind:     hidden_remainder_z
      - .offset:         248
        .size:           8
        .value_kind:     hidden_global_offset_x
      - .offset:         256
        .size:           8
        .value_kind:     hidden_global_offset_y
      - .offset:         264
        .size:           8
        .value_kind:     hidden_global_offset_z
      - .offset:         272
        .size:           2
        .value_kind:     hidden_grid_dims
    .group_segment_fixed_size: 23552
    .kernarg_segment_align: 8
    .kernarg_segment_size: 464
    .language:       OpenCL C
    .language_version:
      - 2
      - 0
    .max_flat_workgroup_size: 256
    .name:           _ZL15flash_attn_tileILi128ELi128ELi16ELi1ELb1EEvPKcS1_S1_S1_S1_PKiPfP15HIP_vector_typeIfLj2EEffffjfiS5_IjLj3EEiiiiiiiiiiiliiliiiiil
    .private_segment_fixed_size: 32
    .sgpr_count:     54
    .sgpr_spill_count: 0
    .symbol:         _ZL15flash_attn_tileILi128ELi128ELi16ELi1ELb1EEvPKcS1_S1_S1_S1_PKiPfP15HIP_vector_typeIfLj2EEffffjfiS5_IjLj3EEiiiiiiiiiiiliiliiiiil.kd
    .uniform_work_group_size: 1
    .uses_dynamic_stack: false
    .vgpr_count:     108
    .vgpr_spill_count: 0
    .wavefront_size: 64
  - .agpr_count:     0
    .args:
      - .address_space:  global
        .offset:         0
        .size:           8
        .value_kind:     global_buffer
      - .address_space:  global
        .offset:         8
        .size:           8
        .value_kind:     global_buffer
      - .address_space:  global
        .offset:         16
        .size:           8
        .value_kind:     global_buffer
      - .address_space:  global
        .offset:         24
        .size:           8
        .value_kind:     global_buffer
      - .address_space:  global
        .offset:         32
        .size:           8
        .value_kind:     global_buffer
      - .address_space:  global
        .offset:         40
        .size:           8
        .value_kind:     global_buffer
      - .address_space:  global
        .offset:         48
        .size:           8
        .value_kind:     global_buffer
      - .address_space:  global
        .offset:         56
        .size:           8
        .value_kind:     global_buffer
      - .offset:         64
        .size:           4
        .value_kind:     by_value
      - .offset:         68
        .size:           4
        .value_kind:     by_value
      - .offset:         72
        .size:           4
        .value_kind:     by_value
      - .offset:         76
        .size:           4
        .value_kind:     by_value
      - .offset:         80
        .size:           4
        .value_kind:     by_value
      - .offset:         84
        .size:           4
        .value_kind:     by_value
      - .offset:         88
        .size:           4
        .value_kind:     by_value
      - .offset:         92
        .size:           12
        .value_kind:     by_value
      - .offset:         104
        .size:           4
        .value_kind:     by_value
      - .offset:         108
        .size:           4
        .value_kind:     by_value
      - .offset:         112
        .size:           4
        .value_kind:     by_value
      - .offset:         116
        .size:           4
        .value_kind:     by_value
      - .offset:         120
        .size:           4
        .value_kind:     by_value
      - .offset:         124
        .size:           4
        .value_kind:     by_value
      - .offset:         128
        .size:           4
        .value_kind:     by_value
      - .offset:         132
        .size:           4
        .value_kind:     by_value
      - .offset:         136
        .size:           4
        .value_kind:     by_value
      - .offset:         140
        .size:           4
        .value_kind:     by_value
      - .offset:         144
        .size:           4
        .value_kind:     by_value
      - .offset:         152
        .size:           8
        .value_kind:     by_value
      - .offset:         160
        .size:           4
        .value_kind:     by_value
      - .offset:         164
        .size:           4
        .value_kind:     by_value
      - .offset:         168
        .size:           8
        .value_kind:     by_value
      - .offset:         176
        .size:           4
        .value_kind:     by_value
      - .offset:         180
        .size:           4
        .value_kind:     by_value
      - .offset:         184
        .size:           4
        .value_kind:     by_value
      - .offset:         188
        .size:           4
        .value_kind:     by_value
      - .offset:         192
        .size:           4
        .value_kind:     by_value
      - .offset:         200
        .size:           8
        .value_kind:     by_value
      - .offset:         208
        .size:           4
        .value_kind:     hidden_block_count_x
      - .offset:         212
        .size:           4
        .value_kind:     hidden_block_count_y
      - .offset:         216
        .size:           4
        .value_kind:     hidden_block_count_z
      - .offset:         220
        .size:           2
        .value_kind:     hidden_group_size_x
      - .offset:         222
        .size:           2
        .value_kind:     hidden_group_size_y
      - .offset:         224
        .size:           2
        .value_kind:     hidden_group_size_z
      - .offset:         226
        .size:           2
        .value_kind:     hidden_remainder_x
      - .offset:         228
        .size:           2
        .value_kind:     hidden_remainder_y
      - .offset:         230
        .size:           2
        .value_kind:     hidden_remainder_z
      - .offset:         248
        .size:           8
        .value_kind:     hidden_global_offset_x
      - .offset:         256
        .size:           8
        .value_kind:     hidden_global_offset_y
      - .offset:         264
        .size:           8
        .value_kind:     hidden_global_offset_z
      - .offset:         272
        .size:           2
        .value_kind:     hidden_grid_dims
    .group_segment_fixed_size: 20480
    .kernarg_segment_align: 8
    .kernarg_segment_size: 464
    .language:       OpenCL C
    .language_version:
      - 2
      - 0
    .max_flat_workgroup_size: 256
    .name:           _ZL15flash_attn_tileILi128ELi128ELi8ELi1ELb1EEvPKcS1_S1_S1_S1_PKiPfP15HIP_vector_typeIfLj2EEffffjfiS5_IjLj3EEiiiiiiiiiiiliiliiiiil
    .private_segment_fixed_size: 32
    .sgpr_count:     54
    .sgpr_spill_count: 0
    .symbol:         _ZL15flash_attn_tileILi128ELi128ELi8ELi1ELb1EEvPKcS1_S1_S1_S1_PKiPfP15HIP_vector_typeIfLj2EEffffjfiS5_IjLj3EEiiiiiiiiiiiliiliiiiil.kd
    .uniform_work_group_size: 1
    .uses_dynamic_stack: false
    .vgpr_count:     82
    .vgpr_spill_count: 0
    .wavefront_size: 64
  - .agpr_count:     0
    .args:
      - .address_space:  global
        .offset:         0
        .size:           8
        .value_kind:     global_buffer
      - .address_space:  global
        .offset:         8
        .size:           8
        .value_kind:     global_buffer
      - .address_space:  global
        .offset:         16
        .size:           8
        .value_kind:     global_buffer
      - .address_space:  global
        .offset:         24
        .size:           8
        .value_kind:     global_buffer
      - .address_space:  global
        .offset:         32
        .size:           8
        .value_kind:     global_buffer
      - .address_space:  global
        .offset:         40
        .size:           8
        .value_kind:     global_buffer
      - .address_space:  global
        .offset:         48
        .size:           8
        .value_kind:     global_buffer
      - .address_space:  global
        .offset:         56
        .size:           8
        .value_kind:     global_buffer
      - .offset:         64
        .size:           4
        .value_kind:     by_value
      - .offset:         68
        .size:           4
        .value_kind:     by_value
      - .offset:         72
        .size:           4
        .value_kind:     by_value
      - .offset:         76
        .size:           4
        .value_kind:     by_value
      - .offset:         80
        .size:           4
        .value_kind:     by_value
      - .offset:         84
        .size:           4
        .value_kind:     by_value
      - .offset:         88
        .size:           4
        .value_kind:     by_value
      - .offset:         92
        .size:           12
        .value_kind:     by_value
      - .offset:         104
        .size:           4
        .value_kind:     by_value
      - .offset:         108
        .size:           4
        .value_kind:     by_value
      - .offset:         112
        .size:           4
        .value_kind:     by_value
      - .offset:         116
        .size:           4
        .value_kind:     by_value
      - .offset:         120
        .size:           4
        .value_kind:     by_value
      - .offset:         124
        .size:           4
        .value_kind:     by_value
      - .offset:         128
        .size:           4
        .value_kind:     by_value
      - .offset:         132
        .size:           4
        .value_kind:     by_value
      - .offset:         136
        .size:           4
        .value_kind:     by_value
      - .offset:         140
        .size:           4
        .value_kind:     by_value
      - .offset:         144
        .size:           4
        .value_kind:     by_value
      - .offset:         152
        .size:           8
        .value_kind:     by_value
      - .offset:         160
        .size:           4
        .value_kind:     by_value
      - .offset:         164
        .size:           4
        .value_kind:     by_value
      - .offset:         168
        .size:           8
        .value_kind:     by_value
      - .offset:         176
        .size:           4
        .value_kind:     by_value
      - .offset:         180
        .size:           4
        .value_kind:     by_value
      - .offset:         184
        .size:           4
        .value_kind:     by_value
      - .offset:         188
        .size:           4
        .value_kind:     by_value
      - .offset:         192
        .size:           4
        .value_kind:     by_value
      - .offset:         200
        .size:           8
        .value_kind:     by_value
      - .offset:         208
        .size:           4
        .value_kind:     hidden_block_count_x
      - .offset:         212
        .size:           4
        .value_kind:     hidden_block_count_y
      - .offset:         216
        .size:           4
        .value_kind:     hidden_block_count_z
      - .offset:         220
        .size:           2
        .value_kind:     hidden_group_size_x
      - .offset:         222
        .size:           2
        .value_kind:     hidden_group_size_y
      - .offset:         224
        .size:           2
        .value_kind:     hidden_group_size_z
      - .offset:         226
        .size:           2
        .value_kind:     hidden_remainder_x
      - .offset:         228
        .size:           2
        .value_kind:     hidden_remainder_y
      - .offset:         230
        .size:           2
        .value_kind:     hidden_remainder_z
      - .offset:         248
        .size:           8
        .value_kind:     hidden_global_offset_x
      - .offset:         256
        .size:           8
        .value_kind:     hidden_global_offset_y
      - .offset:         264
        .size:           8
        .value_kind:     hidden_global_offset_z
      - .offset:         272
        .size:           2
        .value_kind:     hidden_grid_dims
    .group_segment_fixed_size: 18944
    .kernarg_segment_align: 8
    .kernarg_segment_size: 464
    .language:       OpenCL C
    .language_version:
      - 2
      - 0
    .max_flat_workgroup_size: 128
    .name:           _ZL15flash_attn_tileILi128ELi128ELi4ELi1ELb1EEvPKcS1_S1_S1_S1_PKiPfP15HIP_vector_typeIfLj2EEffffjfiS5_IjLj3EEiiiiiiiiiiiliiliiiiil
    .private_segment_fixed_size: 32
    .sgpr_count:     50
    .sgpr_spill_count: 0
    .symbol:         _ZL15flash_attn_tileILi128ELi128ELi4ELi1ELb1EEvPKcS1_S1_S1_S1_PKiPfP15HIP_vector_typeIfLj2EEffffjfiS5_IjLj3EEiiiiiiiiiiiliiliiiiil.kd
    .uniform_work_group_size: 1
    .uses_dynamic_stack: false
    .vgpr_count:     137
    .vgpr_spill_count: 0
    .wavefront_size: 64
  - .agpr_count:     0
    .args:
      - .address_space:  global
        .offset:         0
        .size:           8
        .value_kind:     global_buffer
      - .address_space:  global
        .offset:         8
        .size:           8
        .value_kind:     global_buffer
      - .address_space:  global
        .offset:         16
        .size:           8
        .value_kind:     global_buffer
      - .address_space:  global
        .offset:         24
        .size:           8
        .value_kind:     global_buffer
      - .address_space:  global
        .offset:         32
        .size:           8
        .value_kind:     global_buffer
      - .address_space:  global
        .offset:         40
        .size:           8
        .value_kind:     global_buffer
      - .address_space:  global
        .offset:         48
        .size:           8
        .value_kind:     global_buffer
      - .address_space:  global
        .offset:         56
        .size:           8
        .value_kind:     global_buffer
      - .offset:         64
        .size:           4
        .value_kind:     by_value
      - .offset:         68
        .size:           4
        .value_kind:     by_value
      - .offset:         72
        .size:           4
        .value_kind:     by_value
      - .offset:         76
        .size:           4
        .value_kind:     by_value
      - .offset:         80
        .size:           4
        .value_kind:     by_value
      - .offset:         84
        .size:           4
        .value_kind:     by_value
      - .offset:         88
        .size:           4
        .value_kind:     by_value
      - .offset:         92
        .size:           12
        .value_kind:     by_value
      - .offset:         104
        .size:           4
        .value_kind:     by_value
      - .offset:         108
        .size:           4
        .value_kind:     by_value
      - .offset:         112
        .size:           4
        .value_kind:     by_value
      - .offset:         116
        .size:           4
        .value_kind:     by_value
      - .offset:         120
        .size:           4
        .value_kind:     by_value
      - .offset:         124
        .size:           4
        .value_kind:     by_value
      - .offset:         128
        .size:           4
        .value_kind:     by_value
      - .offset:         132
        .size:           4
        .value_kind:     by_value
      - .offset:         136
        .size:           4
        .value_kind:     by_value
      - .offset:         140
        .size:           4
        .value_kind:     by_value
      - .offset:         144
        .size:           4
        .value_kind:     by_value
      - .offset:         152
        .size:           8
        .value_kind:     by_value
      - .offset:         160
        .size:           4
        .value_kind:     by_value
      - .offset:         164
        .size:           4
        .value_kind:     by_value
      - .offset:         168
        .size:           8
        .value_kind:     by_value
      - .offset:         176
        .size:           4
        .value_kind:     by_value
      - .offset:         180
        .size:           4
        .value_kind:     by_value
      - .offset:         184
        .size:           4
        .value_kind:     by_value
      - .offset:         188
        .size:           4
        .value_kind:     by_value
      - .offset:         192
        .size:           4
        .value_kind:     by_value
      - .offset:         200
        .size:           8
        .value_kind:     by_value
      - .offset:         208
        .size:           4
        .value_kind:     hidden_block_count_x
      - .offset:         212
        .size:           4
        .value_kind:     hidden_block_count_y
      - .offset:         216
        .size:           4
        .value_kind:     hidden_block_count_z
      - .offset:         220
        .size:           2
        .value_kind:     hidden_group_size_x
      - .offset:         222
        .size:           2
        .value_kind:     hidden_group_size_y
      - .offset:         224
        .size:           2
        .value_kind:     hidden_group_size_z
      - .offset:         226
        .size:           2
        .value_kind:     hidden_remainder_x
      - .offset:         228
        .size:           2
        .value_kind:     hidden_remainder_y
      - .offset:         230
        .size:           2
        .value_kind:     hidden_remainder_z
      - .offset:         248
        .size:           8
        .value_kind:     hidden_global_offset_x
      - .offset:         256
        .size:           8
        .value_kind:     hidden_global_offset_y
      - .offset:         264
        .size:           8
        .value_kind:     hidden_global_offset_z
      - .offset:         272
        .size:           2
        .value_kind:     hidden_grid_dims
    .group_segment_fixed_size: 19520
    .kernarg_segment_align: 8
    .kernarg_segment_size: 464
    .language:       OpenCL C
    .language_version:
      - 2
      - 0
    .max_flat_workgroup_size: 256
    .name:           _ZL15flash_attn_tileILi128ELi128ELi2ELi1ELb1EEvPKcS1_S1_S1_S1_PKiPfP15HIP_vector_typeIfLj2EEffffjfiS5_IjLj3EEiiiiiiiiiiiliiliiiiil
    .private_segment_fixed_size: 32
    .sgpr_count:     54
    .sgpr_spill_count: 0
    .symbol:         _ZL15flash_attn_tileILi128ELi128ELi2ELi1ELb1EEvPKcS1_S1_S1_S1_PKiPfP15HIP_vector_typeIfLj2EEffffjfiS5_IjLj3EEiiiiiiiiiiiliiliiiiil.kd
    .uniform_work_group_size: 1
    .uses_dynamic_stack: false
    .vgpr_count:     123
    .vgpr_spill_count: 0
    .wavefront_size: 64
amdhsa.target:   amdgcn-amd-amdhsa--gfx950
amdhsa.version:
  - 1
  - 2
...

	.end_amdgpu_metadata
